;; amdgpu-corpus repo=ROCm/rocSOLVER kind=compiled arch=gfx1250 opt=O3
	.amdgcn_target "amdgcn-amd-amdhsa--gfx1250"
	.amdhsa_code_object_version 6
	.section	.text._ZN9rocsolver6v33100L6iota_nIfEEvPT_jS2_,"axG",@progbits,_ZN9rocsolver6v33100L6iota_nIfEEvPT_jS2_,comdat
	.globl	_ZN9rocsolver6v33100L6iota_nIfEEvPT_jS2_ ; -- Begin function _ZN9rocsolver6v33100L6iota_nIfEEvPT_jS2_
	.p2align	8
	.type	_ZN9rocsolver6v33100L6iota_nIfEEvPT_jS2_,@function
_ZN9rocsolver6v33100L6iota_nIfEEvPT_jS2_: ; @_ZN9rocsolver6v33100L6iota_nIfEEvPT_jS2_
; %bb.0:
	s_load_b64 s[2:3], s[0:1], 0x8
	s_wait_kmcnt 0x0
	v_cmp_gt_u32_e32 vcc_lo, s2, v0
	s_and_saveexec_b32 s2, vcc_lo
	s_cbranch_execz .LBB0_2
; %bb.1:
	s_load_b64 s[0:1], s[0:1], 0x0
	v_cvt_f32_ubyte0_e32 v1, v0
	s_delay_alu instid0(VALU_DEP_1)
	v_add_f32_e32 v1, s3, v1
	s_wait_kmcnt 0x0
	global_store_b32 v0, v1, s[0:1] scale_offset
.LBB0_2:
	s_endpgm
	.section	.rodata,"a",@progbits
	.p2align	6, 0x0
	.amdhsa_kernel _ZN9rocsolver6v33100L6iota_nIfEEvPT_jS2_
		.amdhsa_group_segment_fixed_size 0
		.amdhsa_private_segment_fixed_size 0
		.amdhsa_kernarg_size 16
		.amdhsa_user_sgpr_count 2
		.amdhsa_user_sgpr_dispatch_ptr 0
		.amdhsa_user_sgpr_queue_ptr 0
		.amdhsa_user_sgpr_kernarg_segment_ptr 1
		.amdhsa_user_sgpr_dispatch_id 0
		.amdhsa_user_sgpr_kernarg_preload_length 0
		.amdhsa_user_sgpr_kernarg_preload_offset 0
		.amdhsa_user_sgpr_private_segment_size 0
		.amdhsa_wavefront_size32 1
		.amdhsa_uses_dynamic_stack 0
		.amdhsa_enable_private_segment 0
		.amdhsa_system_sgpr_workgroup_id_x 1
		.amdhsa_system_sgpr_workgroup_id_y 0
		.amdhsa_system_sgpr_workgroup_id_z 0
		.amdhsa_system_sgpr_workgroup_info 0
		.amdhsa_system_vgpr_workitem_id 0
		.amdhsa_next_free_vgpr 2
		.amdhsa_next_free_sgpr 4
		.amdhsa_named_barrier_count 0
		.amdhsa_reserve_vcc 1
		.amdhsa_float_round_mode_32 0
		.amdhsa_float_round_mode_16_64 0
		.amdhsa_float_denorm_mode_32 3
		.amdhsa_float_denorm_mode_16_64 3
		.amdhsa_fp16_overflow 0
		.amdhsa_memory_ordered 1
		.amdhsa_forward_progress 1
		.amdhsa_inst_pref_size 1
		.amdhsa_round_robin_scheduling 0
		.amdhsa_exception_fp_ieee_invalid_op 0
		.amdhsa_exception_fp_denorm_src 0
		.amdhsa_exception_fp_ieee_div_zero 0
		.amdhsa_exception_fp_ieee_overflow 0
		.amdhsa_exception_fp_ieee_underflow 0
		.amdhsa_exception_fp_ieee_inexact 0
		.amdhsa_exception_int_div_zero 0
	.end_amdhsa_kernel
	.section	.text._ZN9rocsolver6v33100L6iota_nIfEEvPT_jS2_,"axG",@progbits,_ZN9rocsolver6v33100L6iota_nIfEEvPT_jS2_,comdat
.Lfunc_end0:
	.size	_ZN9rocsolver6v33100L6iota_nIfEEvPT_jS2_, .Lfunc_end0-_ZN9rocsolver6v33100L6iota_nIfEEvPT_jS2_
                                        ; -- End function
	.set _ZN9rocsolver6v33100L6iota_nIfEEvPT_jS2_.num_vgpr, 2
	.set _ZN9rocsolver6v33100L6iota_nIfEEvPT_jS2_.num_agpr, 0
	.set _ZN9rocsolver6v33100L6iota_nIfEEvPT_jS2_.numbered_sgpr, 4
	.set _ZN9rocsolver6v33100L6iota_nIfEEvPT_jS2_.num_named_barrier, 0
	.set _ZN9rocsolver6v33100L6iota_nIfEEvPT_jS2_.private_seg_size, 0
	.set _ZN9rocsolver6v33100L6iota_nIfEEvPT_jS2_.uses_vcc, 1
	.set _ZN9rocsolver6v33100L6iota_nIfEEvPT_jS2_.uses_flat_scratch, 0
	.set _ZN9rocsolver6v33100L6iota_nIfEEvPT_jS2_.has_dyn_sized_stack, 0
	.set _ZN9rocsolver6v33100L6iota_nIfEEvPT_jS2_.has_recursion, 0
	.set _ZN9rocsolver6v33100L6iota_nIfEEvPT_jS2_.has_indirect_call, 0
	.section	.AMDGPU.csdata,"",@progbits
; Kernel info:
; codeLenInByte = 64
; TotalNumSgprs: 6
; NumVgprs: 2
; ScratchSize: 0
; MemoryBound: 0
; FloatMode: 240
; IeeeMode: 1
; LDSByteSize: 0 bytes/workgroup (compile time only)
; SGPRBlocks: 0
; VGPRBlocks: 0
; NumSGPRsForWavesPerEU: 6
; NumVGPRsForWavesPerEU: 2
; NamedBarCnt: 0
; Occupancy: 16
; WaveLimiterHint : 0
; COMPUTE_PGM_RSRC2:SCRATCH_EN: 0
; COMPUTE_PGM_RSRC2:USER_SGPR: 2
; COMPUTE_PGM_RSRC2:TRAP_HANDLER: 0
; COMPUTE_PGM_RSRC2:TGID_X_EN: 1
; COMPUTE_PGM_RSRC2:TGID_Y_EN: 0
; COMPUTE_PGM_RSRC2:TGID_Z_EN: 0
; COMPUTE_PGM_RSRC2:TIDIG_COMP_CNT: 0
	.section	.text._ZN9rocsolver6v33100L10reset_infoIfiiEEvPT_T0_T1_S4_,"axG",@progbits,_ZN9rocsolver6v33100L10reset_infoIfiiEEvPT_T0_T1_S4_,comdat
	.globl	_ZN9rocsolver6v33100L10reset_infoIfiiEEvPT_T0_T1_S4_ ; -- Begin function _ZN9rocsolver6v33100L10reset_infoIfiiEEvPT_T0_T1_S4_
	.p2align	8
	.type	_ZN9rocsolver6v33100L10reset_infoIfiiEEvPT_T0_T1_S4_,@function
_ZN9rocsolver6v33100L10reset_infoIfiiEEvPT_T0_T1_S4_: ; @_ZN9rocsolver6v33100L10reset_infoIfiiEEvPT_T0_T1_S4_
; %bb.0:
	s_clause 0x1
	s_load_b32 s2, s[0:1], 0x24
	s_load_b96 s[4:6], s[0:1], 0x8
	s_bfe_u32 s3, ttmp6, 0x4000c
	s_and_b32 s7, ttmp6, 15
	s_add_co_i32 s3, s3, 1
	s_getreg_b32 s8, hwreg(HW_REG_IB_STS2, 6, 4)
	s_mul_i32 s3, ttmp9, s3
	s_delay_alu instid0(SALU_CYCLE_1) | instskip(SKIP_4) | instid1(SALU_CYCLE_1)
	s_add_co_i32 s7, s7, s3
	s_wait_kmcnt 0x0
	s_and_b32 s2, s2, 0xffff
	s_cmp_eq_u32 s8, 0
	s_cselect_b32 s3, ttmp9, s7
	v_mad_u32 v0, s3, s2, v0
	s_mov_b32 s2, exec_lo
	s_delay_alu instid0(VALU_DEP_1)
	v_cmpx_gt_i32_e64 s4, v0
	s_cbranch_execz .LBB1_2
; %bb.1:
	v_mul_lo_u32 v1, v0, s6
	s_load_b64 s[0:1], s[0:1], 0x0
	s_cvt_f32_i32 s2, s5
	s_delay_alu instid0(VALU_DEP_1)
	v_cvt_f32_i32_e32 v1, v1
	s_delay_alu instid0(VALU_DEP_1) | instid1(SALU_CYCLE_2)
	v_add_f32_e32 v1, s2, v1
	s_wait_kmcnt 0x0
	global_store_b32 v0, v1, s[0:1] scale_offset
.LBB1_2:
	s_endpgm
	.section	.rodata,"a",@progbits
	.p2align	6, 0x0
	.amdhsa_kernel _ZN9rocsolver6v33100L10reset_infoIfiiEEvPT_T0_T1_S4_
		.amdhsa_group_segment_fixed_size 0
		.amdhsa_private_segment_fixed_size 0
		.amdhsa_kernarg_size 280
		.amdhsa_user_sgpr_count 2
		.amdhsa_user_sgpr_dispatch_ptr 0
		.amdhsa_user_sgpr_queue_ptr 0
		.amdhsa_user_sgpr_kernarg_segment_ptr 1
		.amdhsa_user_sgpr_dispatch_id 0
		.amdhsa_user_sgpr_kernarg_preload_length 0
		.amdhsa_user_sgpr_kernarg_preload_offset 0
		.amdhsa_user_sgpr_private_segment_size 0
		.amdhsa_wavefront_size32 1
		.amdhsa_uses_dynamic_stack 0
		.amdhsa_enable_private_segment 0
		.amdhsa_system_sgpr_workgroup_id_x 1
		.amdhsa_system_sgpr_workgroup_id_y 0
		.amdhsa_system_sgpr_workgroup_id_z 0
		.amdhsa_system_sgpr_workgroup_info 0
		.amdhsa_system_vgpr_workitem_id 0
		.amdhsa_next_free_vgpr 2
		.amdhsa_next_free_sgpr 9
		.amdhsa_named_barrier_count 0
		.amdhsa_reserve_vcc 0
		.amdhsa_float_round_mode_32 0
		.amdhsa_float_round_mode_16_64 0
		.amdhsa_float_denorm_mode_32 3
		.amdhsa_float_denorm_mode_16_64 3
		.amdhsa_fp16_overflow 0
		.amdhsa_memory_ordered 1
		.amdhsa_forward_progress 1
		.amdhsa_inst_pref_size 2
		.amdhsa_round_robin_scheduling 0
		.amdhsa_exception_fp_ieee_invalid_op 0
		.amdhsa_exception_fp_denorm_src 0
		.amdhsa_exception_fp_ieee_div_zero 0
		.amdhsa_exception_fp_ieee_overflow 0
		.amdhsa_exception_fp_ieee_underflow 0
		.amdhsa_exception_fp_ieee_inexact 0
		.amdhsa_exception_int_div_zero 0
	.end_amdhsa_kernel
	.section	.text._ZN9rocsolver6v33100L10reset_infoIfiiEEvPT_T0_T1_S4_,"axG",@progbits,_ZN9rocsolver6v33100L10reset_infoIfiiEEvPT_T0_T1_S4_,comdat
.Lfunc_end1:
	.size	_ZN9rocsolver6v33100L10reset_infoIfiiEEvPT_T0_T1_S4_, .Lfunc_end1-_ZN9rocsolver6v33100L10reset_infoIfiiEEvPT_T0_T1_S4_
                                        ; -- End function
	.set _ZN9rocsolver6v33100L10reset_infoIfiiEEvPT_T0_T1_S4_.num_vgpr, 2
	.set _ZN9rocsolver6v33100L10reset_infoIfiiEEvPT_T0_T1_S4_.num_agpr, 0
	.set _ZN9rocsolver6v33100L10reset_infoIfiiEEvPT_T0_T1_S4_.numbered_sgpr, 9
	.set _ZN9rocsolver6v33100L10reset_infoIfiiEEvPT_T0_T1_S4_.num_named_barrier, 0
	.set _ZN9rocsolver6v33100L10reset_infoIfiiEEvPT_T0_T1_S4_.private_seg_size, 0
	.set _ZN9rocsolver6v33100L10reset_infoIfiiEEvPT_T0_T1_S4_.uses_vcc, 0
	.set _ZN9rocsolver6v33100L10reset_infoIfiiEEvPT_T0_T1_S4_.uses_flat_scratch, 0
	.set _ZN9rocsolver6v33100L10reset_infoIfiiEEvPT_T0_T1_S4_.has_dyn_sized_stack, 0
	.set _ZN9rocsolver6v33100L10reset_infoIfiiEEvPT_T0_T1_S4_.has_recursion, 0
	.set _ZN9rocsolver6v33100L10reset_infoIfiiEEvPT_T0_T1_S4_.has_indirect_call, 0
	.section	.AMDGPU.csdata,"",@progbits
; Kernel info:
; codeLenInByte = 156
; TotalNumSgprs: 9
; NumVgprs: 2
; ScratchSize: 0
; MemoryBound: 0
; FloatMode: 240
; IeeeMode: 1
; LDSByteSize: 0 bytes/workgroup (compile time only)
; SGPRBlocks: 0
; VGPRBlocks: 0
; NumSGPRsForWavesPerEU: 9
; NumVGPRsForWavesPerEU: 2
; NamedBarCnt: 0
; Occupancy: 16
; WaveLimiterHint : 0
; COMPUTE_PGM_RSRC2:SCRATCH_EN: 0
; COMPUTE_PGM_RSRC2:USER_SGPR: 2
; COMPUTE_PGM_RSRC2:TRAP_HANDLER: 0
; COMPUTE_PGM_RSRC2:TGID_X_EN: 1
; COMPUTE_PGM_RSRC2:TGID_Y_EN: 0
; COMPUTE_PGM_RSRC2:TGID_Z_EN: 0
; COMPUTE_PGM_RSRC2:TIDIG_COMP_CNT: 0
	.section	.text._ZN9rocsolver6v33100L10reset_infoIiiiEEvPT_T0_T1_S4_,"axG",@progbits,_ZN9rocsolver6v33100L10reset_infoIiiiEEvPT_T0_T1_S4_,comdat
	.globl	_ZN9rocsolver6v33100L10reset_infoIiiiEEvPT_T0_T1_S4_ ; -- Begin function _ZN9rocsolver6v33100L10reset_infoIiiiEEvPT_T0_T1_S4_
	.p2align	8
	.type	_ZN9rocsolver6v33100L10reset_infoIiiiEEvPT_T0_T1_S4_,@function
_ZN9rocsolver6v33100L10reset_infoIiiiEEvPT_T0_T1_S4_: ; @_ZN9rocsolver6v33100L10reset_infoIiiiEEvPT_T0_T1_S4_
; %bb.0:
	s_clause 0x1
	s_load_b32 s2, s[0:1], 0x24
	s_load_b96 s[4:6], s[0:1], 0x8
	s_bfe_u32 s3, ttmp6, 0x4000c
	s_and_b32 s7, ttmp6, 15
	s_add_co_i32 s3, s3, 1
	s_getreg_b32 s8, hwreg(HW_REG_IB_STS2, 6, 4)
	s_mul_i32 s3, ttmp9, s3
	s_delay_alu instid0(SALU_CYCLE_1) | instskip(SKIP_4) | instid1(SALU_CYCLE_1)
	s_add_co_i32 s7, s7, s3
	s_wait_kmcnt 0x0
	s_and_b32 s2, s2, 0xffff
	s_cmp_eq_u32 s8, 0
	s_cselect_b32 s3, ttmp9, s7
	v_mad_u32 v0, s3, s2, v0
	s_mov_b32 s2, exec_lo
	s_delay_alu instid0(VALU_DEP_1)
	v_cmpx_gt_i32_e64 s4, v0
	s_cbranch_execz .LBB2_2
; %bb.1:
	s_load_b64 s[0:1], s[0:1], 0x0
	v_mad_u32 v1, v0, s6, s5
	s_wait_kmcnt 0x0
	global_store_b32 v0, v1, s[0:1] scale_offset
.LBB2_2:
	s_endpgm
	.section	.rodata,"a",@progbits
	.p2align	6, 0x0
	.amdhsa_kernel _ZN9rocsolver6v33100L10reset_infoIiiiEEvPT_T0_T1_S4_
		.amdhsa_group_segment_fixed_size 0
		.amdhsa_private_segment_fixed_size 0
		.amdhsa_kernarg_size 280
		.amdhsa_user_sgpr_count 2
		.amdhsa_user_sgpr_dispatch_ptr 0
		.amdhsa_user_sgpr_queue_ptr 0
		.amdhsa_user_sgpr_kernarg_segment_ptr 1
		.amdhsa_user_sgpr_dispatch_id 0
		.amdhsa_user_sgpr_kernarg_preload_length 0
		.amdhsa_user_sgpr_kernarg_preload_offset 0
		.amdhsa_user_sgpr_private_segment_size 0
		.amdhsa_wavefront_size32 1
		.amdhsa_uses_dynamic_stack 0
		.amdhsa_enable_private_segment 0
		.amdhsa_system_sgpr_workgroup_id_x 1
		.amdhsa_system_sgpr_workgroup_id_y 0
		.amdhsa_system_sgpr_workgroup_id_z 0
		.amdhsa_system_sgpr_workgroup_info 0
		.amdhsa_system_vgpr_workitem_id 0
		.amdhsa_next_free_vgpr 2
		.amdhsa_next_free_sgpr 9
		.amdhsa_named_barrier_count 0
		.amdhsa_reserve_vcc 0
		.amdhsa_float_round_mode_32 0
		.amdhsa_float_round_mode_16_64 0
		.amdhsa_float_denorm_mode_32 3
		.amdhsa_float_denorm_mode_16_64 3
		.amdhsa_fp16_overflow 0
		.amdhsa_memory_ordered 1
		.amdhsa_forward_progress 1
		.amdhsa_inst_pref_size 2
		.amdhsa_round_robin_scheduling 0
		.amdhsa_exception_fp_ieee_invalid_op 0
		.amdhsa_exception_fp_denorm_src 0
		.amdhsa_exception_fp_ieee_div_zero 0
		.amdhsa_exception_fp_ieee_overflow 0
		.amdhsa_exception_fp_ieee_underflow 0
		.amdhsa_exception_fp_ieee_inexact 0
		.amdhsa_exception_int_div_zero 0
	.end_amdhsa_kernel
	.section	.text._ZN9rocsolver6v33100L10reset_infoIiiiEEvPT_T0_T1_S4_,"axG",@progbits,_ZN9rocsolver6v33100L10reset_infoIiiiEEvPT_T0_T1_S4_,comdat
.Lfunc_end2:
	.size	_ZN9rocsolver6v33100L10reset_infoIiiiEEvPT_T0_T1_S4_, .Lfunc_end2-_ZN9rocsolver6v33100L10reset_infoIiiiEEvPT_T0_T1_S4_
                                        ; -- End function
	.set _ZN9rocsolver6v33100L10reset_infoIiiiEEvPT_T0_T1_S4_.num_vgpr, 2
	.set _ZN9rocsolver6v33100L10reset_infoIiiiEEvPT_T0_T1_S4_.num_agpr, 0
	.set _ZN9rocsolver6v33100L10reset_infoIiiiEEvPT_T0_T1_S4_.numbered_sgpr, 9
	.set _ZN9rocsolver6v33100L10reset_infoIiiiEEvPT_T0_T1_S4_.num_named_barrier, 0
	.set _ZN9rocsolver6v33100L10reset_infoIiiiEEvPT_T0_T1_S4_.private_seg_size, 0
	.set _ZN9rocsolver6v33100L10reset_infoIiiiEEvPT_T0_T1_S4_.uses_vcc, 0
	.set _ZN9rocsolver6v33100L10reset_infoIiiiEEvPT_T0_T1_S4_.uses_flat_scratch, 0
	.set _ZN9rocsolver6v33100L10reset_infoIiiiEEvPT_T0_T1_S4_.has_dyn_sized_stack, 0
	.set _ZN9rocsolver6v33100L10reset_infoIiiiEEvPT_T0_T1_S4_.has_recursion, 0
	.set _ZN9rocsolver6v33100L10reset_infoIiiiEEvPT_T0_T1_S4_.has_indirect_call, 0
	.section	.AMDGPU.csdata,"",@progbits
; Kernel info:
; codeLenInByte = 136
; TotalNumSgprs: 9
; NumVgprs: 2
; ScratchSize: 0
; MemoryBound: 0
; FloatMode: 240
; IeeeMode: 1
; LDSByteSize: 0 bytes/workgroup (compile time only)
; SGPRBlocks: 0
; VGPRBlocks: 0
; NumSGPRsForWavesPerEU: 9
; NumVGPRsForWavesPerEU: 2
; NamedBarCnt: 0
; Occupancy: 16
; WaveLimiterHint : 0
; COMPUTE_PGM_RSRC2:SCRATCH_EN: 0
; COMPUTE_PGM_RSRC2:USER_SGPR: 2
; COMPUTE_PGM_RSRC2:TRAP_HANDLER: 0
; COMPUTE_PGM_RSRC2:TGID_X_EN: 1
; COMPUTE_PGM_RSRC2:TGID_Y_EN: 0
; COMPUTE_PGM_RSRC2:TGID_Z_EN: 0
; COMPUTE_PGM_RSRC2:TIDIG_COMP_CNT: 0
	.section	.text._ZN9rocsolver6v33100L16syev_scalar_caseIfPfTnNSt9enable_ifIXnt18rocblas_is_complexIT_EEiE4typeELi0EEEv14rocblas_evect_T0_lPS4_li,"axG",@progbits,_ZN9rocsolver6v33100L16syev_scalar_caseIfPfTnNSt9enable_ifIXnt18rocblas_is_complexIT_EEiE4typeELi0EEEv14rocblas_evect_T0_lPS4_li,comdat
	.globl	_ZN9rocsolver6v33100L16syev_scalar_caseIfPfTnNSt9enable_ifIXnt18rocblas_is_complexIT_EEiE4typeELi0EEEv14rocblas_evect_T0_lPS4_li ; -- Begin function _ZN9rocsolver6v33100L16syev_scalar_caseIfPfTnNSt9enable_ifIXnt18rocblas_is_complexIT_EEiE4typeELi0EEEv14rocblas_evect_T0_lPS4_li
	.p2align	8
	.type	_ZN9rocsolver6v33100L16syev_scalar_caseIfPfTnNSt9enable_ifIXnt18rocblas_is_complexIT_EEiE4typeELi0EEEv14rocblas_evect_T0_lPS4_li,@function
_ZN9rocsolver6v33100L16syev_scalar_caseIfPfTnNSt9enable_ifIXnt18rocblas_is_complexIT_EEiE4typeELi0EEEv14rocblas_evect_T0_lPS4_li: ; @_ZN9rocsolver6v33100L16syev_scalar_caseIfPfTnNSt9enable_ifIXnt18rocblas_is_complexIT_EEiE4typeELi0EEEv14rocblas_evect_T0_lPS4_li
; %bb.0:
	s_clause 0x1
	s_load_b32 s2, s[0:1], 0x3c
	s_load_b32 s3, s[0:1], 0x28
	s_bfe_u32 s4, ttmp6, 0x4000c
	s_and_b32 s5, ttmp6, 15
	s_add_co_i32 s4, s4, 1
	s_getreg_b32 s6, hwreg(HW_REG_IB_STS2, 6, 4)
	s_mul_i32 s4, ttmp9, s4
	s_delay_alu instid0(SALU_CYCLE_1) | instskip(SKIP_4) | instid1(SALU_CYCLE_1)
	s_add_co_i32 s5, s5, s4
	s_wait_kmcnt 0x0
	s_and_b32 s2, s2, 0xffff
	s_cmp_eq_u32 s6, 0
	s_cselect_b32 s4, ttmp9, s5
	v_mad_u32 v0, s4, s2, v0
	s_mov_b32 s2, exec_lo
	s_delay_alu instid0(VALU_DEP_1)
	v_cmpx_gt_i32_e64 s3, v0
	s_cbranch_execz .LBB3_3
; %bb.1:
	s_load_b256 s[4:11], s[0:1], 0x8
	v_ashrrev_i32_e32 v1, 31, v0
	s_wait_xcnt 0x0
	s_load_b32 s0, s[0:1], 0x0
	s_wait_kmcnt 0x0
	s_delay_alu instid0(VALU_DEP_1) | instskip(SKIP_2) | instid1(VALU_DEP_2)
	v_mul_u64_e32 v[2:3], s[6:7], v[0:1]
	v_mul_u64_e32 v[0:1], s[10:11], v[0:1]
	s_cmp_lg_u32 s0, 0xd3
	v_lshl_add_u64 v[2:3], v[2:3], 2, s[4:5]
	s_delay_alu instid0(VALU_DEP_2)
	v_lshl_add_u64 v[0:1], v[0:1], 2, s[8:9]
	global_load_b32 v4, v[2:3], off
	s_wait_loadcnt 0x0
	global_store_b32 v[0:1], v4, off
	s_cbranch_scc1 .LBB3_3
; %bb.2:
	s_wait_xcnt 0x0
	v_mov_b32_e32 v0, 1.0
	global_store_b32 v[2:3], v0, off
.LBB3_3:
	s_endpgm
	.section	.rodata,"a",@progbits
	.p2align	6, 0x0
	.amdhsa_kernel _ZN9rocsolver6v33100L16syev_scalar_caseIfPfTnNSt9enable_ifIXnt18rocblas_is_complexIT_EEiE4typeELi0EEEv14rocblas_evect_T0_lPS4_li
		.amdhsa_group_segment_fixed_size 0
		.amdhsa_private_segment_fixed_size 0
		.amdhsa_kernarg_size 304
		.amdhsa_user_sgpr_count 2
		.amdhsa_user_sgpr_dispatch_ptr 0
		.amdhsa_user_sgpr_queue_ptr 0
		.amdhsa_user_sgpr_kernarg_segment_ptr 1
		.amdhsa_user_sgpr_dispatch_id 0
		.amdhsa_user_sgpr_kernarg_preload_length 0
		.amdhsa_user_sgpr_kernarg_preload_offset 0
		.amdhsa_user_sgpr_private_segment_size 0
		.amdhsa_wavefront_size32 1
		.amdhsa_uses_dynamic_stack 0
		.amdhsa_enable_private_segment 0
		.amdhsa_system_sgpr_workgroup_id_x 1
		.amdhsa_system_sgpr_workgroup_id_y 0
		.amdhsa_system_sgpr_workgroup_id_z 0
		.amdhsa_system_sgpr_workgroup_info 0
		.amdhsa_system_vgpr_workitem_id 0
		.amdhsa_next_free_vgpr 5
		.amdhsa_next_free_sgpr 12
		.amdhsa_named_barrier_count 0
		.amdhsa_reserve_vcc 0
		.amdhsa_float_round_mode_32 0
		.amdhsa_float_round_mode_16_64 0
		.amdhsa_float_denorm_mode_32 3
		.amdhsa_float_denorm_mode_16_64 3
		.amdhsa_fp16_overflow 0
		.amdhsa_memory_ordered 1
		.amdhsa_forward_progress 1
		.amdhsa_inst_pref_size 2
		.amdhsa_round_robin_scheduling 0
		.amdhsa_exception_fp_ieee_invalid_op 0
		.amdhsa_exception_fp_denorm_src 0
		.amdhsa_exception_fp_ieee_div_zero 0
		.amdhsa_exception_fp_ieee_overflow 0
		.amdhsa_exception_fp_ieee_underflow 0
		.amdhsa_exception_fp_ieee_inexact 0
		.amdhsa_exception_int_div_zero 0
	.end_amdhsa_kernel
	.section	.text._ZN9rocsolver6v33100L16syev_scalar_caseIfPfTnNSt9enable_ifIXnt18rocblas_is_complexIT_EEiE4typeELi0EEEv14rocblas_evect_T0_lPS4_li,"axG",@progbits,_ZN9rocsolver6v33100L16syev_scalar_caseIfPfTnNSt9enable_ifIXnt18rocblas_is_complexIT_EEiE4typeELi0EEEv14rocblas_evect_T0_lPS4_li,comdat
.Lfunc_end3:
	.size	_ZN9rocsolver6v33100L16syev_scalar_caseIfPfTnNSt9enable_ifIXnt18rocblas_is_complexIT_EEiE4typeELi0EEEv14rocblas_evect_T0_lPS4_li, .Lfunc_end3-_ZN9rocsolver6v33100L16syev_scalar_caseIfPfTnNSt9enable_ifIXnt18rocblas_is_complexIT_EEiE4typeELi0EEEv14rocblas_evect_T0_lPS4_li
                                        ; -- End function
	.set _ZN9rocsolver6v33100L16syev_scalar_caseIfPfTnNSt9enable_ifIXnt18rocblas_is_complexIT_EEiE4typeELi0EEEv14rocblas_evect_T0_lPS4_li.num_vgpr, 5
	.set _ZN9rocsolver6v33100L16syev_scalar_caseIfPfTnNSt9enable_ifIXnt18rocblas_is_complexIT_EEiE4typeELi0EEEv14rocblas_evect_T0_lPS4_li.num_agpr, 0
	.set _ZN9rocsolver6v33100L16syev_scalar_caseIfPfTnNSt9enable_ifIXnt18rocblas_is_complexIT_EEiE4typeELi0EEEv14rocblas_evect_T0_lPS4_li.numbered_sgpr, 12
	.set _ZN9rocsolver6v33100L16syev_scalar_caseIfPfTnNSt9enable_ifIXnt18rocblas_is_complexIT_EEiE4typeELi0EEEv14rocblas_evect_T0_lPS4_li.num_named_barrier, 0
	.set _ZN9rocsolver6v33100L16syev_scalar_caseIfPfTnNSt9enable_ifIXnt18rocblas_is_complexIT_EEiE4typeELi0EEEv14rocblas_evect_T0_lPS4_li.private_seg_size, 0
	.set _ZN9rocsolver6v33100L16syev_scalar_caseIfPfTnNSt9enable_ifIXnt18rocblas_is_complexIT_EEiE4typeELi0EEEv14rocblas_evect_T0_lPS4_li.uses_vcc, 0
	.set _ZN9rocsolver6v33100L16syev_scalar_caseIfPfTnNSt9enable_ifIXnt18rocblas_is_complexIT_EEiE4typeELi0EEEv14rocblas_evect_T0_lPS4_li.uses_flat_scratch, 0
	.set _ZN9rocsolver6v33100L16syev_scalar_caseIfPfTnNSt9enable_ifIXnt18rocblas_is_complexIT_EEiE4typeELi0EEEv14rocblas_evect_T0_lPS4_li.has_dyn_sized_stack, 0
	.set _ZN9rocsolver6v33100L16syev_scalar_caseIfPfTnNSt9enable_ifIXnt18rocblas_is_complexIT_EEiE4typeELi0EEEv14rocblas_evect_T0_lPS4_li.has_recursion, 0
	.set _ZN9rocsolver6v33100L16syev_scalar_caseIfPfTnNSt9enable_ifIXnt18rocblas_is_complexIT_EEiE4typeELi0EEEv14rocblas_evect_T0_lPS4_li.has_indirect_call, 0
	.section	.AMDGPU.csdata,"",@progbits
; Kernel info:
; codeLenInByte = 224
; TotalNumSgprs: 12
; NumVgprs: 5
; ScratchSize: 0
; MemoryBound: 0
; FloatMode: 240
; IeeeMode: 1
; LDSByteSize: 0 bytes/workgroup (compile time only)
; SGPRBlocks: 0
; VGPRBlocks: 0
; NumSGPRsForWavesPerEU: 12
; NumVGPRsForWavesPerEU: 5
; NamedBarCnt: 0
; Occupancy: 16
; WaveLimiterHint : 0
; COMPUTE_PGM_RSRC2:SCRATCH_EN: 0
; COMPUTE_PGM_RSRC2:USER_SGPR: 2
; COMPUTE_PGM_RSRC2:TRAP_HANDLER: 0
; COMPUTE_PGM_RSRC2:TGID_X_EN: 1
; COMPUTE_PGM_RSRC2:TGID_Y_EN: 0
; COMPUTE_PGM_RSRC2:TGID_Z_EN: 0
; COMPUTE_PGM_RSRC2:TIDIG_COMP_CNT: 0
	.section	.text._ZN9rocsolver6v33100L18syevj_small_kernelIffPfEEv14rocblas_esort_14rocblas_evect_13rocblas_fill_iT1_iilT0_S7_PS7_iPiS8_lS9_PT_,"axG",@progbits,_ZN9rocsolver6v33100L18syevj_small_kernelIffPfEEv14rocblas_esort_14rocblas_evect_13rocblas_fill_iT1_iilT0_S7_PS7_iPiS8_lS9_PT_,comdat
	.globl	_ZN9rocsolver6v33100L18syevj_small_kernelIffPfEEv14rocblas_esort_14rocblas_evect_13rocblas_fill_iT1_iilT0_S7_PS7_iPiS8_lS9_PT_ ; -- Begin function _ZN9rocsolver6v33100L18syevj_small_kernelIffPfEEv14rocblas_esort_14rocblas_evect_13rocblas_fill_iT1_iilT0_S7_PS7_iPiS8_lS9_PT_
	.p2align	8
	.type	_ZN9rocsolver6v33100L18syevj_small_kernelIffPfEEv14rocblas_esort_14rocblas_evect_13rocblas_fill_iT1_iilT0_S7_PS7_iPiS8_lS9_PT_,@function
_ZN9rocsolver6v33100L18syevj_small_kernelIffPfEEv14rocblas_esort_14rocblas_evect_13rocblas_fill_iT1_iilT0_S7_PS7_iPiS8_lS9_PT_: ; @_ZN9rocsolver6v33100L18syevj_small_kernelIffPfEEv14rocblas_esort_14rocblas_evect_13rocblas_fill_iT1_iilT0_S7_PS7_iPiS8_lS9_PT_
; %bb.0:
	s_load_b256 s[12:19], s[0:1], 0x0
	s_bfe_u32 s4, ttmp6, 0x40014
	s_lshr_b32 s2, ttmp7, 16
	s_add_co_i32 s4, s4, 1
	s_bfe_u32 s5, ttmp6, 0x40008
	s_getreg_b32 s6, hwreg(HW_REG_IB_STS2, 6, 4)
	s_mov_b32 s35, 0
	s_load_b256 s[20:27], s[0:1], 0x40
	s_wait_kmcnt 0x0
	s_lshr_b32 s3, s15, 31
	s_delay_alu instid0(SALU_CYCLE_1) | instskip(NEXT) | instid1(SALU_CYCLE_1)
	s_add_co_i32 s3, s15, s3
	s_and_b32 s3, s3, -2
	s_delay_alu instid0(SALU_CYCLE_1)
	s_sub_co_i32 s47, s15, s3
	s_mul_i32 s3, s2, s4
	s_add_co_i32 s47, s47, s15
	s_add_co_i32 s5, s5, s3
	s_lshr_b32 s4, s47, 31
	s_ashr_i32 s3, s18, 31
	s_add_co_i32 s4, s47, s4
	s_delay_alu instid0(SALU_CYCLE_1) | instskip(SKIP_4) | instid1(SALU_CYCLE_1)
	s_ashr_i32 s28, s4, 1
	s_cmp_eq_u32 s6, 0
	s_load_b64 s[6:7], s[0:1], 0x60
	s_cselect_b32 s34, s2, s5
	s_min_i32 s33, s28, 0x100
	s_abs_i32 s10, s33
	s_ashr_i32 s55, s33, 31
	s_cvt_f32_u32 s2, s10
	s_sub_co_i32 s4, 0, s10
	s_delay_alu instid0(SALU_CYCLE_2) | instskip(SKIP_1) | instid1(TRANS32_DEP_1)
	v_rcp_iflag_f32_e32 v1, s2
	v_nop
	v_readfirstlane_b32 s2, v1
	s_mul_f32 s2, s2, 0x4f7ffffe
	s_delay_alu instid0(SALU_CYCLE_3) | instskip(NEXT) | instid1(SALU_CYCLE_3)
	s_cvt_u32_f32 s2, s2
	s_mul_i32 s4, s4, s2
	s_delay_alu instid0(SALU_CYCLE_1) | instskip(NEXT) | instid1(SALU_CYCLE_1)
	s_mul_hi_u32 s4, s2, s4
	s_add_co_i32 s8, s2, s4
	s_load_b64 s[4:5], s[0:1], 0x20
	v_mul_hi_u32 v1, v0, s8
	s_mov_b32 s2, s18
	s_delay_alu instid0(SALU_CYCLE_1) | instskip(SKIP_1) | instid1(SALU_CYCLE_1)
	s_lshl_b64 s[40:41], s[2:3], 2
	s_mul_i32 s2, s15, s34
	s_mul_i32 s2, s2, s15
	s_delay_alu instid0(SALU_CYCLE_1) | instskip(NEXT) | instid1(VALU_DEP_1)
	s_ashr_i32 s3, s2, 31
	v_mul_lo_u32 v2, v1, s10
	v_add_nc_u32_e32 v3, 1, v1
	s_wait_kmcnt 0x0
	s_mul_u64 s[4:5], s[4:5], s[34:35]
	s_delay_alu instid0(SALU_CYCLE_1) | instskip(NEXT) | instid1(VALU_DEP_2)
	s_lshl_b64 s[38:39], s[4:5], 2
	v_sub_nc_u32_e32 v2, v0, v2
	s_lshr_b32 s4, s8, 22
	s_lshl_b64 s[8:9], s[2:3], 2
	s_mul_i32 s5, s4, s10
	s_add_co_i32 s3, s4, 1
	v_subrev_nc_u32_e32 v4, s10, v2
	v_cmp_le_u32_e32 vcc_lo, s10, v2
	s_sub_co_i32 s2, 0x400, s5
	s_add_nc_u64 s[36:37], s[6:7], s[8:9]
	s_sub_co_i32 s5, s2, s10
	s_cmp_ge_u32 s2, s10
	v_dual_cndmask_b32 v1, v1, v3 :: v_dual_cndmask_b32 v2, v2, v4
	s_cselect_b32 s3, s3, s4
	s_cselect_b32 s2, s5, s2
	s_add_co_i32 s4, s3, 1
	s_delay_alu instid0(VALU_DEP_1) | instskip(SKIP_3) | instid1(VALU_DEP_2)
	v_add_nc_u32_e32 v3, 1, v1
	v_cmp_le_u32_e32 vcc_lo, s10, v2
	s_cmp_ge_u32 s2, s10
	s_cselect_b32 s2, s4, s3
	v_cndmask_b32_e32 v1, v1, v3, vcc_lo
	s_xor_b32 s4, s2, s55
	s_add_nc_u64 s[2:3], s[16:17], s[38:39]
	s_sub_co_i32 s30, s4, s55
	s_add_nc_u64 s[10:11], s[2:3], s[40:41]
	v_xor_b32_e32 v1, s55, v1
	s_min_i32 s18, s28, s30
	s_delay_alu instid0(SALU_CYCLE_1) | instskip(NEXT) | instid1(VALU_DEP_1)
	s_lshl_b32 s43, s18, 2
	v_subrev_nc_u32_e32 v2, s55, v1
	s_add_co_i32 s56, s43, 0
	s_delay_alu instid0(VALU_DEP_1) | instskip(NEXT) | instid1(VALU_DEP_1)
	v_mul_lo_u32 v18, v2, s33
	v_sub_nc_u32_e32 v19, v0, v18
	s_delay_alu instid0(VALU_DEP_1)
	v_cmp_eq_u32_e64 s2, 0, v19
	s_and_saveexec_b32 s42, s2
	s_cbranch_execz .LBB4_32
; %bb.1:
	v_cmp_gt_i32_e64 s3, s15, v2
	s_cmp_eq_u32 s14, 0x79
	s_cbranch_scc1 .LBB4_13
; %bb.2:
	v_dual_mov_b32 v3, 0 :: v_dual_mov_b32 v20, 0
	s_and_saveexec_b32 s14, s3
	s_cbranch_execz .LBB4_15
; %bb.3:
	s_cmp_lg_u32 s13, 0xd5
	v_dual_mov_b32 v22, 0 :: v_dual_ashrrev_i32 v3, 31, v2
	s_cselect_b32 s44, -1, 0
	s_ashr_i32 s29, s28, 31
	s_ashr_i32 s31, s30, 31
	s_delay_alu instid0(VALU_DEP_1)
	v_lshlrev_b64_e32 v[8:9], 2, v[2:3]
	v_min_i64 v[10:11], s[28:29], s[30:31]
	v_mul_lo_u32 v21, s19, v2
	v_mul_lo_u32 v4, s15, v2
	s_add_nc_u64 s[38:39], s[38:39], s[40:41]
	s_add_nc_u64 s[4:5], s[6:7], s[8:9]
	;; [unrolled: 1-line block ×3, first 2 shown]
	v_add_nc_u64_e32 v[6:7], s[4:5], v[8:9]
	v_add_nc_u64_e32 v[8:9], s[16:17], v[8:9]
	v_dual_mov_b32 v23, 1.0 :: v_dual_mov_b32 v24, v2
	v_dual_mov_b32 v3, 0 :: v_dual_mov_b32 v20, 0
	s_mov_b32 s48, s15
	s_mov_b32 s40, s19
	s_ashr_i32 s49, s15, 31
	s_ashr_i32 s41, s19, 31
	s_mul_i32 s29, s19, s18
	s_mul_i32 s31, s15, s18
	s_lshl_b64 s[16:17], s[48:49], 2
	s_lshl_b64 s[38:39], s[40:41], 2
	s_mov_b32 s40, 0
	v_lshlrev_b64_e32 v[10:11], 2, v[10:11]
	s_branch .LBB4_6
.LBB4_4:                                ;   in Loop: Header=BB4_6 Depth=1
	s_or_b32 exec_lo, exec_lo, s45
.LBB4_5:                                ;   in Loop: Header=BB4_6 Depth=1
	s_delay_alu instid0(SALU_CYCLE_1) | instskip(SKIP_4) | instid1(VALU_DEP_4)
	s_or_b32 exec_lo, exec_lo, s41
	v_dual_add_nc_u32 v24, s18, v24 :: v_dual_fmac_f32 v20, v25, v25
	v_add_nc_u64_e32 v[6:7], v[6:7], v[10:11]
	v_add_nc_u64_e32 v[8:9], v[8:9], v[10:11]
	v_dual_add_nc_u32 v21, s29, v21 :: v_dual_add_nc_u32 v4, s31, v4
	v_cmp_le_i32_e32 vcc_lo, s15, v24
	s_or_b32 s40, vcc_lo, s40
	s_delay_alu instid0(SALU_CYCLE_1)
	s_and_not1_b32 exec_lo, exec_lo, s40
	s_cbranch_execz .LBB4_14
.LBB4_6:                                ; =>This Loop Header: Depth=1
                                        ;     Child Loop BB4_11 Depth 2
	v_mad_u32 v12, v24, s19, v24
	v_mad_u32 v5, v24, s15, v24
	s_and_not1_b32 vcc_lo, exec_lo, s44
	global_load_b32 v25, v12, s[10:11] scale_offset
	s_wait_loadcnt 0x0
	global_store_b32 v5, v25, s[36:37] scale_offset
	s_cbranch_vccnz .LBB4_8
; %bb.7:                                ;   in Loop: Header=BB4_6 Depth=1
	v_ashrrev_i32_e32 v13, 31, v12
	s_wait_xcnt 0x1
	s_delay_alu instid0(VALU_DEP_1)
	v_lshl_add_u64 v[12:13], v[12:13], 2, s[10:11]
	global_store_b32 v[12:13], v23, off
.LBB4_8:                                ;   in Loop: Header=BB4_6 Depth=1
	s_mov_b32 s41, exec_lo
	s_wait_xcnt 0x0
	v_cmpx_lt_i32_e32 0, v24
	s_cbranch_execz .LBB4_5
; %bb.9:                                ;   in Loop: Header=BB4_6 Depth=1
	v_ashrrev_i32_e32 v5, 31, v4
	v_mov_b64_e32 v[12:13], v[8:9]
	v_mov_b64_e32 v[16:17], v[6:7]
	s_mov_b32 s45, 0
	s_mov_b32 s46, 0
	v_lshl_add_u64 v[14:15], v[4:5], 2, s[4:5]
	s_branch .LBB4_11
.LBB4_10:                               ;   in Loop: Header=BB4_11 Depth=2
	s_wait_xcnt 0x0
	v_mul_f32_e32 v5, v5, v5
	s_add_co_i32 s46, s46, 1
	v_add_nc_u64_e32 v[14:15], 4, v[14:15]
	v_add_nc_u64_e32 v[16:17], s[16:17], v[16:17]
	v_cmp_eq_u32_e32 vcc_lo, s46, v24
	v_add_nc_u64_e32 v[12:13], s[38:39], v[12:13]
	v_fmac_f32_e32 v3, 2.0, v5
	s_or_b32 s45, vcc_lo, s45
	s_delay_alu instid0(SALU_CYCLE_1)
	s_and_not1_b32 exec_lo, exec_lo, s45
	s_cbranch_execz .LBB4_4
.LBB4_11:                               ;   Parent Loop BB4_6 Depth=1
                                        ; =>  This Inner Loop Header: Depth=2
	global_load_b32 v5, v[12:13], off
	s_and_not1_b32 vcc_lo, exec_lo, s44
	s_wait_loadcnt 0x0
	global_store_b32 v[16:17], v5, off
	global_store_b32 v[14:15], v5, off
	s_cbranch_vccnz .LBB4_10
; %bb.12:                               ;   in Loop: Header=BB4_11 Depth=2
	v_add_nc_u32_e32 v26, s46, v21
	global_store_b32 v[12:13], v22, off
	global_store_b32 v26, v22, s[10:11] scale_offset
	s_branch .LBB4_10
.LBB4_13:
                                        ; implicit-def: $vgpr3
                                        ; implicit-def: $vgpr20
	s_branch .LBB4_16
.LBB4_14:
	s_or_b32 exec_lo, exec_lo, s40
.LBB4_15:
	s_delay_alu instid0(SALU_CYCLE_1)
	s_or_b32 exec_lo, exec_lo, s14
	s_cbranch_execnz .LBB4_29
.LBB4_16:
	v_dual_mov_b32 v3, 0 :: v_dual_mov_b32 v20, 0
	s_and_saveexec_b32 s14, s3
	s_cbranch_execz .LBB4_28
; %bb.17:
	s_cmp_lg_u32 s13, 0xd5
	v_mul_lo_u32 v10, s19, v2
	s_cselect_b32 s3, -1, 0
	s_add_co_i32 s16, s15, -1
	v_dual_mov_b32 v11, 0 :: v_dual_mov_b32 v12, 1.0
	v_mad_u32 v5, s15, s16, v1
	v_mad_u32 v6, s19, s16, v1
	;; [unrolled: 1-line block ×3, first 2 shown]
	v_dual_mov_b32 v13, v2 :: v_dual_mov_b32 v3, 0
	v_mov_b32_e32 v20, 0
	s_mul_i32 s17, s19, s18
	s_add_nc_u64 s[4:5], s[6:7], s[8:9]
	s_mul_i32 s31, s15, s18
	s_mov_b32 s29, 0
	v_subrev_nc_u32_e32 v14, s55, v5
	v_subrev_nc_u32_e32 v15, s55, v6
	s_branch .LBB4_20
.LBB4_18:                               ;   in Loop: Header=BB4_20 Depth=1
	s_or_b32 exec_lo, exec_lo, s39
.LBB4_19:                               ;   in Loop: Header=BB4_20 Depth=1
	s_delay_alu instid0(SALU_CYCLE_1) | instskip(SKIP_3) | instid1(VALU_DEP_3)
	s_or_b32 exec_lo, exec_lo, s38
	v_dual_fmac_f32 v20, v16, v16 :: v_dual_add_nc_u32 v13, s18, v13
	v_dual_add_nc_u32 v10, s17, v10 :: v_dual_add_nc_u32 v4, s31, v4
	v_dual_add_nc_u32 v14, s18, v14 :: v_dual_add_nc_u32 v15, s18, v15
	v_cmp_le_i32_e32 vcc_lo, s15, v13
	s_or_b32 s29, vcc_lo, s29
	s_delay_alu instid0(SALU_CYCLE_1)
	s_and_not1_b32 exec_lo, exec_lo, s29
	s_cbranch_execz .LBB4_27
.LBB4_20:                               ; =>This Loop Header: Depth=1
                                        ;     Child Loop BB4_25 Depth 2
	v_mad_u32 v6, v13, s19, v13
	v_mad_u32 v5, v13, s15, v13
	s_and_not1_b32 vcc_lo, exec_lo, s3
	global_load_b32 v16, v6, s[10:11] scale_offset
	s_wait_loadcnt 0x0
	global_store_b32 v5, v16, s[36:37] scale_offset
	s_cbranch_vccnz .LBB4_22
; %bb.21:                               ;   in Loop: Header=BB4_20 Depth=1
	v_ashrrev_i32_e32 v7, 31, v6
	s_wait_xcnt 0x1
	s_delay_alu instid0(VALU_DEP_1)
	v_lshl_add_u64 v[6:7], v[6:7], 2, s[10:11]
	global_store_b32 v[6:7], v12, off
.LBB4_22:                               ;   in Loop: Header=BB4_20 Depth=1
	s_mov_b32 s38, exec_lo
	s_wait_xcnt 0x0
	v_cmpx_gt_i32_e64 s16, v13
	s_cbranch_execz .LBB4_19
; %bb.23:                               ;   in Loop: Header=BB4_20 Depth=1
	v_dual_mov_b32 v6, v15 :: v_dual_ashrrev_i32 v5, 31, v4
	s_mov_b32 s39, 0
	s_mov_b32 s40, s16
	s_delay_alu instid0(VALU_DEP_1)
	v_lshl_add_u64 v[8:9], v[4:5], 2, s[4:5]
	v_mov_b32_e32 v5, v14
	s_branch .LBB4_25
.LBB4_24:                               ;   in Loop: Header=BB4_25 Depth=2
	s_wait_xcnt 0x0
	v_mul_f32_e32 v7, v17, v17
	s_add_co_i32 s40, s40, -1
	v_add_nc_u64_e32 v[8:9], -4, v[8:9]
	v_cmp_le_i32_e32 vcc_lo, s40, v13
	v_subrev_nc_u32_e32 v5, s15, v5
	v_fmac_f32_e32 v3, 2.0, v7
	v_subrev_nc_u32_e32 v6, s19, v6
	s_or_b32 s39, vcc_lo, s39
	s_delay_alu instid0(SALU_CYCLE_1)
	s_and_not1_b32 exec_lo, exec_lo, s39
	s_cbranch_execz .LBB4_18
.LBB4_25:                               ;   Parent Loop BB4_20 Depth=1
                                        ; =>  This Inner Loop Header: Depth=2
	global_load_b32 v17, v6, s[10:11] scale_offset
	s_and_not1_b32 vcc_lo, exec_lo, s3
	s_wait_loadcnt 0x0
	global_store_b32 v5, v17, s[36:37] scale_offset
	global_store_b32 v[8:9], v17, off
	s_cbranch_vccnz .LBB4_24
; %bb.26:                               ;   in Loop: Header=BB4_25 Depth=2
	v_ashrrev_i32_e32 v7, 31, v6
	s_delay_alu instid0(VALU_DEP_1)
	v_lshl_add_u64 v[22:23], v[6:7], 2, s[10:11]
	v_add_nc_u32_e32 v7, s40, v10
	s_clause 0x1
	global_store_b32 v[22:23], v11, off
	global_store_b32 v7, v11, s[10:11] scale_offset
	s_branch .LBB4_24
.LBB4_27:
	s_or_b32 exec_lo, exec_lo, s29
.LBB4_28:
	s_delay_alu instid0(SALU_CYCLE_1)
	s_or_b32 exec_lo, exec_lo, s14
.LBB4_29:
	v_lshlrev_b32_e32 v4, 2, v2
	v_cmp_gt_i32_e32 vcc_lo, s28, v2
	s_mov_b32 s3, 0
	s_delay_alu instid0(VALU_DEP_2)
	v_dual_add_nc_u32 v5, 0, v4 :: v_dual_add_nc_u32 v4, s56, v4
	ds_store_b32 v5, v3
	ds_store_b32 v4, v20
	s_and_b32 exec_lo, exec_lo, vcc_lo
	s_cbranch_execz .LBB4_32
; %bb.30:
	v_dual_lshlrev_b32 v3, 2, v1 :: v_dual_lshlrev_b32 v4, 1, v1
	s_lshl_b32 s4, s55, 2
	s_lshl_b32 s5, s18, 1
	s_delay_alu instid0(VALU_DEP_1) | instskip(NEXT) | instid1(VALU_DEP_1)
	v_lshl_add_u32 v3, s18, 3, v3
	v_subrev_nc_u32_e32 v5, s4, v3
	s_lshl_b32 s4, s55, 1
	s_delay_alu instid0(SALU_CYCLE_1) | instskip(SKIP_1) | instid1(VALU_DEP_2)
	v_subrev_nc_u32_e32 v3, s4, v4
	s_lshl_b32 s4, s28, 2
	v_dual_mov_b32 v5, v2 :: v_dual_add_nc_u32 v4, 0, v5
.LBB4_31:                               ; =>This Inner Loop Header: Depth=1
	s_delay_alu instid0(VALU_DEP_1)
	v_dual_add_nc_u32 v5, s18, v5 :: v_dual_add_nc_u32 v6, 1, v3
	ds_store_b32 v4, v3
	v_dual_add_nc_u32 v7, s4, v4 :: v_dual_add_nc_u32 v4, s43, v4
	v_cmp_le_i32_e32 vcc_lo, s28, v5
	v_add_nc_u32_e32 v3, s5, v3
	ds_store_b32 v7, v6
	s_or_b32 s3, vcc_lo, s3
	s_delay_alu instid0(SALU_CYCLE_1)
	s_and_not1_b32 exec_lo, exec_lo, s3
	s_cbranch_execnz .LBB4_31
.LBB4_32:
	s_or_b32 exec_lo, exec_lo, s42
	s_cmp_gt_i32 s18, 0
	s_mov_b32 s3, 0
	s_cselect_b32 s14, -1, 0
	s_cmp_lt_i32 s18, 1
	s_wait_storecnt_dscnt 0x0
	s_barrier_signal -1
	s_barrier_wait -1
	s_cbranch_scc1 .LBB4_39
; %bb.33:
	v_mov_b64_e32 v[6:7], 0
	s_cmp_lt_u32 s18, 8
	s_cbranch_scc1 .LBB4_36
; %bb.34:
	v_dual_mov_b32 v6, 0 :: v_dual_mov_b32 v7, 0
	s_and_b32 s3, s18, 0x7ffffff8
	s_mov_b32 s4, 0
	s_mov_b32 s5, 0
.LBB4_35:                               ; =>This Inner Loop Header: Depth=1
	s_delay_alu instid0(SALU_CYCLE_1) | instskip(NEXT) | instid1(SALU_CYCLE_1)
	s_add_co_i32 s16, s5, s43
	v_dual_mov_b32 v3, s5 :: v_dual_mov_b32 v22, s16
	s_add_co_i32 s4, s4, 8
	s_add_co_i32 s5, s5, 32
	s_cmp_lg_u32 s3, s4
	ds_load_2addr_b64 v[8:11], v3 offset1:1
	ds_load_2addr_b32 v[4:5], v22 offset1:1
	ds_load_2addr_b32 v[16:17], v22 offset0:2 offset1:3
	ds_load_2addr_b64 v[12:15], v3 offset0:2 offset1:3
	ds_load_2addr_b32 v[20:21], v22 offset0:4 offset1:5
	ds_load_2addr_b32 v[22:23], v22 offset0:6 offset1:7
	s_wait_dscnt 0x4
	v_dual_mov_b32 v25, v8 :: v_dual_mov_b32 v24, v4
	v_mov_b32_e32 v8, v5
	s_delay_alu instid0(VALU_DEP_2) | instskip(SKIP_3) | instid1(VALU_DEP_3)
	v_pk_add_f32 v[4:5], v[6:7], v[24:25]
	s_wait_dscnt 0x3
	v_dual_mov_b32 v7, v10 :: v_dual_mov_b32 v6, v16
	v_mov_b32_e32 v10, v17
	v_pk_add_f32 v[4:5], v[4:5], v[8:9]
	s_delay_alu instid0(VALU_DEP_1) | instskip(SKIP_3) | instid1(VALU_DEP_3)
	v_pk_add_f32 v[4:5], v[4:5], v[6:7]
	s_wait_dscnt 0x1
	v_dual_mov_b32 v7, v12 :: v_dual_mov_b32 v6, v20
	v_mov_b32_e32 v12, v21
	v_pk_add_f32 v[4:5], v[4:5], v[10:11]
	s_delay_alu instid0(VALU_DEP_1) | instskip(SKIP_3) | instid1(VALU_DEP_3)
	v_pk_add_f32 v[4:5], v[4:5], v[6:7]
	s_wait_dscnt 0x0
	v_dual_mov_b32 v7, v14 :: v_dual_mov_b32 v6, v22
	v_mov_b32_e32 v14, v23
	v_pk_add_f32 v[4:5], v[4:5], v[12:13]
	s_delay_alu instid0(VALU_DEP_1) | instskip(NEXT) | instid1(VALU_DEP_1)
	v_pk_add_f32 v[4:5], v[4:5], v[6:7]
	v_pk_add_f32 v[6:7], v[4:5], v[14:15]
	s_cbranch_scc1 .LBB4_35
.LBB4_36:
	s_and_b32 s4, s18, 7
	s_delay_alu instid0(SALU_CYCLE_1)
	s_cmp_eq_u32 s4, 0
	s_cbranch_scc1 .LBB4_40
; %bb.37:
	s_lshl_b32 s3, s3, 2
	s_delay_alu instid0(SALU_CYCLE_1)
	s_add_co_i32 s3, s3, 0
.LBB4_38:                               ; =>This Inner Loop Header: Depth=1
	s_delay_alu instid0(SALU_CYCLE_1) | instskip(NEXT) | instid1(SALU_CYCLE_1)
	s_add_co_i32 s5, s3, s43
	v_dual_mov_b32 v3, s3 :: v_dual_mov_b32 v4, s5
	s_add_co_i32 s4, s4, -1
	s_add_co_i32 s3, s3, 4
	s_cmp_lg_u32 s4, 0
	ds_load_b32 v5, v3
	ds_load_b32 v4, v4
	s_wait_dscnt 0x0
	v_pk_add_f32 v[6:7], v[6:7], v[4:5]
	s_cbranch_scc1 .LBB4_38
	s_branch .LBB4_40
.LBB4_39:
	v_dual_mov_b32 v6, 0 :: v_dual_mov_b32 v7, 0
.LBB4_40:
	s_clause 0x1
	s_load_b64 s[4:5], s[0:1], 0x28
	s_load_b32 s42, s[0:1], 0x38
	s_delay_alu instid0(VALU_DEP_1) | instskip(SKIP_2) | instid1(VALU_DEP_1)
	v_add_f32_e32 v3, v6, v7
	s_mov_b32 s29, 0
	s_wait_kmcnt 0x0
	v_mul_f32_e32 v3, s4, v3
	s_cmp_gt_i32 s42, 0
	s_cselect_b32 s3, -1, 0
	s_delay_alu instid0(VALU_DEP_1) | instskip(NEXT) | instid1(VALU_DEP_1)
	v_mul_f32_e32 v14, s4, v3
	v_cmp_gt_f32_e32 vcc_lo, v7, v14
	s_and_b32 s3, s3, vcc_lo
	s_delay_alu instid0(SALU_CYCLE_1)
	s_and_not1_b32 vcc_lo, exec_lo, s3
	s_cbranch_vccnz .LBB4_119
; %bb.41:
	s_abs_i32 s3, s18
	s_add_co_i32 s29, s28, -1
	s_cvt_f32_u32 s4, s3
	s_sub_co_i32 s16, 0, s3
	s_abs_i32 s31, s29
	s_add_co_i32 s43, s56, s43
	v_rcp_iflag_f32_e32 v3, s4
	s_lshl_b32 s17, s28, 2
	s_add_nc_u64 s[6:7], s[6:7], s[8:9]
	s_add_co_i32 s44, s43, s17
	v_mov_b32_e32 v22, 0
                                        ; implicit-def: $vgpr24
                                        ; implicit-def: $vgpr23
	v_dual_lshlrev_b32 v10, 2, v2 :: v_dual_sub_nc_u32 v1, s55, v1
	s_delay_alu instid0(TRANS32_DEP_1) | instskip(SKIP_1) | instid1(VALU_DEP_3)
	v_readfirstlane_b32 s4, v3
	v_div_scale_f32 v3, null, s5, s5, 0x800000
	v_dual_add_nc_u32 v16, 0, v10 :: v_dual_add_nc_u32 v17, s56, v10
	s_delay_alu instid0(VALU_DEP_3) | instskip(NEXT) | instid1(VALU_DEP_2)
	s_mul_f32 s4, s4, 0x4f7ffffe
	v_rcp_f32_e32 v7, v3
	v_xor_b32_e32 v6, 0x80000000, v3
                                        ; implicit-def: $vgpr10
	v_lshlrev_b32_e32 v12, 1, v0
	s_cvt_u32_f32 s4, s4
	s_delay_alu instid0(SALU_CYCLE_3)
	s_mul_i32 s16, s16, s4
	s_delay_alu instid0(TRANS32_DEP_1) | instid1(VALU_DEP_2)
	v_fma_f32 v3, v6, v7, 1.0
	s_mul_hi_u32 s16, s4, s16
	s_delay_alu instid0(SALU_CYCLE_1)
	s_add_co_i32 s4, s4, s16
	s_xor_b32 s16, s29, s18
	s_mul_hi_u32 s4, s31, s4
	s_ashr_i32 s16, s16, 31
	s_mul_i32 s17, s4, s3
	s_add_co_i32 s29, s4, 1
	s_sub_co_i32 s17, s31, s17
	v_fmac_f32_e32 v7, v3, v7
	s_sub_co_i32 s31, s17, s3
	s_cmp_ge_u32 s17, s3
	s_cselect_b32 s4, s29, s4
	s_cselect_b32 s17, s31, s17
	s_add_co_i32 s29, s4, 1
	s_cmp_ge_u32 s17, s3
	s_cselect_b32 s3, s29, s4
	s_add_co_i32 s45, s47, -1
	s_xor_b32 s3, s3, s16
	v_cmp_gt_i32_e64 s4, s15, v2
	s_sub_co_i32 s46, s3, s16
	s_cmp_gt_i32 s47, 1
	s_mov_b32 s3, 0x800000
	s_cselect_b32 s47, -1, 0
	s_cmp_gt_i32 s46, -1
	v_div_scale_f32 v8, vcc_lo, s3, s5, s3
	s_cselect_b32 s48, -1, 0
	s_add_co_i32 s49, s15, 1
	s_cmp_lg_u32 s13, 0xd5
	v_mul_f32_e32 v9, v8, v7
	s_cselect_b32 s50, -1, 0
	s_and_b32 s51, s18, 7
	s_cmp_gt_u32 s18, 7
	v_cmp_gt_i32_e64 s3, s28, v19
	s_cselect_b32 s52, -1, 0
	s_and_b32 s53, s18, 0x7ffffff8
	s_cmp_lg_u32 s51, 0
	v_fma_f32 v11, v6, v9, v8
	s_cselect_b32 s54, -1, 0
	s_ashr_i32 s29, s28, 31
	s_ashr_i32 s31, s30, 31
	s_delay_alu instid0(VALU_DEP_1) | instskip(SKIP_3) | instid1(VALU_DEP_4)
	v_dual_lshlrev_b32 v13, 1, v18 :: v_dual_fmac_f32 v9, v11, v7
	v_min_i64 v[4:5], s[28:29], s[30:31]
	v_ashrrev_i32_e32 v3, 31, v2
	v_mad_u32 v18, s33, v1, v0
	v_sub_nc_u32_e32 v15, v12, v13
	v_fmac_f32_e32 v8, v6, v9
	s_lshl_b32 s16, s33, 1
	v_lshl_add_u64 v[0:1], v[2:3], 2, s[6:7]
	s_mul_i32 s31, s15, s33
	v_or_b32_e32 v19, 1, v15
	v_mul_lo_u32 v3, s15, v15
	v_div_fmas_f32 v6, v8, v7, v9
	s_ashr_i32 s17, s16, 31
	s_ashr_i32 s7, s15, 31
	v_mul_lo_u32 v20, s15, v19
	s_mov_b32 s6, s15
	v_div_fixup_f32 v21, v6, s5, 0x800000
	s_mov_b32 s29, 0
	s_lshl_b64 s[38:39], s[16:17], 2
	s_lshl_b32 s17, s31, 1
	s_lshl_b64 s[40:41], s[6:7], 2
	v_lshlrev_b64_e32 v[4:5], 2, v[4:5]
	s_branch .LBB4_43
.LBB4_42:                               ;   in Loop: Header=BB4_43 Depth=1
	s_add_co_i32 s29, s29, 1
	s_delay_alu instid0(VALU_DEP_1) | instskip(SKIP_2) | instid1(SALU_CYCLE_1)
	v_cmp_gt_f32_e32 vcc_lo, v7, v14
	s_cmp_lt_i32 s29, s42
	s_cselect_b32 s5, -1, 0
	s_and_b32 s5, s5, vcc_lo
	s_delay_alu instid0(SALU_CYCLE_1)
	s_and_b32 vcc_lo, exec_lo, s5
	s_cbranch_vccz .LBB4_119
.LBB4_43:                               ; =>This Loop Header: Depth=1
                                        ;     Child Loop BB4_46 Depth 2
                                        ;       Child Loop BB4_48 Depth 3
                                        ;         Child Loop BB4_73 Depth 4
                                        ;         Child Loop BB4_83 Depth 4
                                        ;     Child Loop BB4_105 Depth 2
                                        ;       Child Loop BB4_107 Depth 3
                                        ;     Child Loop BB4_114 Depth 2
                                        ;     Child Loop BB4_118 Depth 2
	s_and_not1_b32 vcc_lo, exec_lo, s47
	s_cbranch_vccnz .LBB4_101
; %bb.44:                               ;   in Loop: Header=BB4_43 Depth=1
	s_mov_b32 s31, 0
	s_branch .LBB4_46
.LBB4_45:                               ;   in Loop: Header=BB4_46 Depth=2
	s_add_co_i32 s31, s31, 1
	s_delay_alu instid0(SALU_CYCLE_1)
	s_cmp_eq_u32 s31, s45
	s_cbranch_scc1 .LBB4_101
.LBB4_46:                               ;   Parent Loop BB4_43 Depth=1
                                        ; =>  This Loop Header: Depth=2
                                        ;       Child Loop BB4_48 Depth 3
                                        ;         Child Loop BB4_73 Depth 4
                                        ;         Child Loop BB4_83 Depth 4
	s_and_not1_b32 vcc_lo, exec_lo, s48
	s_cbranch_vccnz .LBB4_45
; %bb.47:                               ;   in Loop: Header=BB4_46 Depth=2
	s_mov_b32 s55, 0
.LBB4_48:                               ;   Parent Loop BB4_43 Depth=1
                                        ;     Parent Loop BB4_46 Depth=2
                                        ; =>    This Loop Header: Depth=3
                                        ;         Child Loop BB4_73 Depth 4
                                        ;         Child Loop BB4_83 Depth 4
	s_delay_alu instid0(SALU_CYCLE_1) | instskip(SKIP_1) | instid1(VALU_DEP_2)
	v_mad_u32 v27, s55, s18, v2
	v_mov_b32_e32 v28, s15
	v_cmp_gt_i32_e64 s5, s28, v27
	s_and_saveexec_b32 s6, s5
; %bb.49:                               ;   in Loop: Header=BB4_48 Depth=3
	v_lshl_add_u32 v6, v27, 2, s43
	ds_load_b32 v28, v6
; %bb.50:                               ;   in Loop: Header=BB4_48 Depth=3
	s_or_b32 exec_lo, exec_lo, s6
	v_mov_b32_e32 v26, s15
	v_lshl_add_u32 v25, v27, 2, s44
	s_and_saveexec_b32 s6, s5
; %bb.51:                               ;   in Loop: Header=BB4_48 Depth=3
	ds_load_b32 v26, v25
; %bb.52:                               ;   in Loop: Header=BB4_48 Depth=3
	s_or_b32 exec_lo, exec_lo, s6
	s_wait_dscnt 0x0
	v_cmp_gt_i32_e64 s6, s15, v28
	v_cmp_gt_i32_e64 s7, s15, v26
	s_and_b32 s8, s2, s6
	s_delay_alu instid0(SALU_CYCLE_1) | instskip(NEXT) | instid1(SALU_CYCLE_1)
	s_and_b32 s56, s8, s7
	s_and_saveexec_b32 s9, s56
	s_cbranch_execz .LBB4_68
; %bb.53:                               ;   in Loop: Header=BB4_48 Depth=3
	v_mul_lo_u32 v7, v26, s15
	s_mov_b32 s57, exec_lo
	v_dual_mov_b32 v23, 1.0 :: v_dual_mov_b32 v24, 0
	s_delay_alu instid0(VALU_DEP_2) | instskip(SKIP_3) | instid1(VALU_DEP_1)
	v_add_nc_u32_e32 v6, v7, v28
	global_load_b32 v6, v6, s[36:37] scale_offset
	s_wait_loadcnt 0x0
	v_mul_f32_e32 v8, v6, v6
	v_cmpx_nlt_f32_e32 v8, v21
	s_cbranch_execz .LBB4_67
; %bb.54:                               ;   in Loop: Header=BB4_48 Depth=3
	v_mul_lo_u32 v8, v28, s49
	v_add_nc_u32_e32 v7, v7, v26
	s_mov_b32 s8, exec_lo
	s_clause 0x1
	global_load_b32 v9, v7, s[36:37] scale_offset
	global_load_b32 v8, v8, s[36:37] scale_offset
	s_wait_xcnt 0x1
	v_add_f32_e64 v7, |v6|, |v6|
	s_wait_loadcnt 0x0
	v_sub_f32_e32 v8, v9, v8
	s_delay_alu instid0(VALU_DEP_1) | instskip(NEXT) | instid1(VALU_DEP_1)
	v_max_num_f32_e64 v9, |v8|, |v7|
	v_cvt_f64_f32_e32 v[12:13], v9
	s_delay_alu instid0(VALU_DEP_1) | instskip(NEXT) | instid1(VALU_DEP_1)
	v_frexp_exp_i32_f64_e32 v12, v[12:13]
	v_sub_nc_u32_e32 v11, 0, v12
	s_delay_alu instid0(VALU_DEP_1) | instskip(NEXT) | instid1(VALU_DEP_1)
	v_ldexp_f32 v13, |v7|, v11
	v_mul_f32_e32 v13, v13, v13
	v_ldexp_f32 v11, |v8|, v11
	s_delay_alu instid0(VALU_DEP_1) | instskip(NEXT) | instid1(VALU_DEP_1)
	v_fmac_f32_e32 v13, v11, v11
                                        ; implicit-def: $vgpr11
	v_sqrt_f32_e32 v13, v13
	v_cmpx_ngt_f32_e32 0, v8
	s_xor_b32 s8, exec_lo, s8
; %bb.55:                               ;   in Loop: Header=BB4_48 Depth=3
	s_delay_alu instid0(TRANS32_DEP_1) | instskip(SKIP_1) | instid1(VALU_DEP_2)
	v_ldexp_f32 v11, v13, v12
	v_cmp_neq_f32_e32 vcc_lo, 0x7f800000, v9
                                        ; implicit-def: $vgpr13
                                        ; implicit-def: $vgpr12
                                        ; implicit-def: $vgpr9
	v_cndmask_b32_e32 v11, 0x7f800000, v11, vcc_lo
; %bb.56:                               ;   in Loop: Header=BB4_48 Depth=3
	s_and_not1_saveexec_b32 s8, s8
; %bb.57:                               ;   in Loop: Header=BB4_48 Depth=3
	v_ldexp_f32 v11, -v13, v12
	v_cmp_neq_f32_e32 vcc_lo, 0x7f800000, v9
	s_delay_alu instid0(VALU_DEP_2)
	v_cndmask_b32_e32 v11, 0xff800000, v11, vcc_lo
; %bb.58:                               ;   in Loop: Header=BB4_48 Depth=3
	s_or_b32 exec_lo, exec_lo, s8
	v_dual_mov_b32 v9, 0 :: v_dual_mov_b32 v23, 1.0
	s_mov_b32 s58, exec_lo
	v_cmpx_neq_f32_e32 0, v7
	s_cbranch_execz .LBB4_66
; %bb.59:                               ;   in Loop: Header=BB4_48 Depth=3
	v_dual_add_f32 v8, v8, v11 :: v_dual_mov_b32 v23, 0
	v_mov_b32_e32 v9, 1.0
	s_mov_b32 s59, exec_lo
	s_delay_alu instid0(VALU_DEP_2)
	v_cmpx_neq_f32_e32 0, v8
	s_cbranch_execz .LBB4_65
; %bb.60:                               ;   in Loop: Header=BB4_48 Depth=3
	s_mov_b32 s60, exec_lo
                                        ; implicit-def: $vgpr9
                                        ; implicit-def: $vgpr23
	v_cmpx_ngt_f32_e64 |v7|, |v8|
	s_xor_b32 s60, exec_lo, s60
	s_cbranch_execz .LBB4_62
; %bb.61:                               ;   in Loop: Header=BB4_48 Depth=3
	v_div_scale_f32 v9, null, v8, v8, -v7
	v_div_scale_f32 v13, vcc_lo, -v7, v8, -v7
	s_delay_alu instid0(VALU_DEP_2) | instskip(SKIP_1) | instid1(TRANS32_DEP_1)
	v_rcp_f32_e32 v11, v9
	v_nop
	v_fma_f32 v12, -v9, v11, 1.0
	s_delay_alu instid0(VALU_DEP_1) | instskip(NEXT) | instid1(VALU_DEP_1)
	v_fmac_f32_e32 v11, v12, v11
	v_mul_f32_e32 v12, v13, v11
	s_delay_alu instid0(VALU_DEP_1) | instskip(NEXT) | instid1(VALU_DEP_1)
	v_fma_f32 v23, -v9, v12, v13
	v_fmac_f32_e32 v12, v23, v11
	s_delay_alu instid0(VALU_DEP_1) | instskip(NEXT) | instid1(VALU_DEP_1)
	v_fma_f32 v9, -v9, v12, v13
	v_div_fmas_f32 v9, v9, v11, v12
	s_delay_alu instid0(VALU_DEP_1) | instskip(NEXT) | instid1(VALU_DEP_1)
	v_div_fixup_f32 v7, v9, v8, -v7
	v_fma_f32 v8, v7, v7, 1.0
	s_delay_alu instid0(VALU_DEP_1) | instskip(SKIP_1) | instid1(VALU_DEP_2)
	v_mul_f32_e32 v9, 0x4f800000, v8
	v_cmp_gt_f32_e32 vcc_lo, 0xf800000, v8
	v_cndmask_b32_e32 v8, v8, v9, vcc_lo
	s_delay_alu instid0(VALU_DEP_1) | instskip(SKIP_1) | instid1(TRANS32_DEP_1)
	v_sqrt_f32_e32 v9, v8
	v_nop
	v_dual_add_nc_u32 v11, -1, v9 :: v_dual_add_nc_u32 v12, 1, v9
	s_delay_alu instid0(VALU_DEP_1) | instskip(NEXT) | instid1(VALU_DEP_1)
	v_dual_fma_f32 v13, -v11, v9, v8 :: v_dual_fma_f32 v23, -v12, v9, v8
	v_cmp_ge_f32_e64 s8, 0, v13
	s_delay_alu instid0(VALU_DEP_1) | instskip(NEXT) | instid1(VALU_DEP_3)
	v_cndmask_b32_e64 v9, v9, v11, s8
	v_cmp_lt_f32_e64 s8, 0, v23
	s_delay_alu instid0(VALU_DEP_1) | instskip(NEXT) | instid1(VALU_DEP_1)
	v_cndmask_b32_e64 v9, v9, v12, s8
	v_mul_f32_e32 v11, 0x37800000, v9
	s_delay_alu instid0(VALU_DEP_1) | instskip(SKIP_1) | instid1(VALU_DEP_2)
	v_cndmask_b32_e32 v9, v9, v11, vcc_lo
	v_cmp_class_f32_e64 vcc_lo, v8, 0x260
	v_cndmask_b32_e32 v8, v9, v8, vcc_lo
	s_delay_alu instid0(VALU_DEP_1) | instskip(NEXT) | instid1(VALU_DEP_1)
	v_div_scale_f32 v9, null, v8, v8, 1.0
	v_rcp_f32_e32 v11, v9
	v_nop
	s_delay_alu instid0(TRANS32_DEP_1) | instskip(NEXT) | instid1(VALU_DEP_1)
	v_fma_f32 v12, -v9, v11, 1.0
	v_fmac_f32_e32 v11, v12, v11
	v_div_scale_f32 v12, vcc_lo, 1.0, v8, 1.0
	s_delay_alu instid0(VALU_DEP_1) | instskip(NEXT) | instid1(VALU_DEP_1)
	v_mul_f32_e32 v13, v12, v11
	v_fma_f32 v23, -v9, v13, v12
	s_delay_alu instid0(VALU_DEP_1) | instskip(NEXT) | instid1(VALU_DEP_1)
	v_fmac_f32_e32 v13, v23, v11
	v_fma_f32 v9, -v9, v13, v12
	s_delay_alu instid0(VALU_DEP_1) | instskip(NEXT) | instid1(VALU_DEP_1)
	v_div_fmas_f32 v9, v9, v11, v13
	v_div_fixup_f32 v23, v9, v8, 1.0
                                        ; implicit-def: $vgpr8
	s_delay_alu instid0(VALU_DEP_1)
	v_mul_f32_e32 v9, v7, v23
                                        ; implicit-def: $vgpr7
.LBB4_62:                               ;   in Loop: Header=BB4_48 Depth=3
	s_and_not1_saveexec_b32 s60, s60
	s_cbranch_execz .LBB4_64
; %bb.63:                               ;   in Loop: Header=BB4_48 Depth=3
	v_div_scale_f32 v9, null, v7, v7, -v8
	v_div_scale_f32 v13, vcc_lo, -v8, v7, -v8
	s_delay_alu instid0(VALU_DEP_2) | instskip(SKIP_1) | instid1(TRANS32_DEP_1)
	v_rcp_f32_e32 v11, v9
	v_nop
	v_fma_f32 v12, -v9, v11, 1.0
	s_delay_alu instid0(VALU_DEP_1) | instskip(NEXT) | instid1(VALU_DEP_1)
	v_fmac_f32_e32 v11, v12, v11
	v_mul_f32_e32 v12, v13, v11
	s_delay_alu instid0(VALU_DEP_1) | instskip(NEXT) | instid1(VALU_DEP_1)
	v_fma_f32 v23, -v9, v12, v13
	v_fmac_f32_e32 v12, v23, v11
	s_delay_alu instid0(VALU_DEP_1) | instskip(NEXT) | instid1(VALU_DEP_1)
	v_fma_f32 v9, -v9, v12, v13
	v_div_fmas_f32 v9, v9, v11, v12
	s_delay_alu instid0(VALU_DEP_1) | instskip(NEXT) | instid1(VALU_DEP_1)
	v_div_fixup_f32 v7, v9, v7, -v8
	v_fma_f32 v8, v7, v7, 1.0
	s_delay_alu instid0(VALU_DEP_1) | instskip(SKIP_1) | instid1(VALU_DEP_2)
	v_mul_f32_e32 v9, 0x4f800000, v8
	v_cmp_gt_f32_e32 vcc_lo, 0xf800000, v8
	v_cndmask_b32_e32 v8, v8, v9, vcc_lo
	s_delay_alu instid0(VALU_DEP_1) | instskip(SKIP_1) | instid1(TRANS32_DEP_1)
	v_sqrt_f32_e32 v9, v8
	v_nop
	v_dual_add_nc_u32 v11, -1, v9 :: v_dual_add_nc_u32 v12, 1, v9
	s_delay_alu instid0(VALU_DEP_1) | instskip(NEXT) | instid1(VALU_DEP_1)
	v_dual_fma_f32 v13, -v11, v9, v8 :: v_dual_fma_f32 v23, -v12, v9, v8
	v_cmp_ge_f32_e64 s8, 0, v13
	s_delay_alu instid0(VALU_DEP_1) | instskip(NEXT) | instid1(VALU_DEP_3)
	v_cndmask_b32_e64 v9, v9, v11, s8
	v_cmp_lt_f32_e64 s8, 0, v23
	s_delay_alu instid0(VALU_DEP_1) | instskip(NEXT) | instid1(VALU_DEP_1)
	v_cndmask_b32_e64 v9, v9, v12, s8
	v_mul_f32_e32 v11, 0x37800000, v9
	s_delay_alu instid0(VALU_DEP_1) | instskip(SKIP_1) | instid1(VALU_DEP_2)
	v_cndmask_b32_e32 v9, v9, v11, vcc_lo
	v_cmp_class_f32_e64 vcc_lo, v8, 0x260
	v_cndmask_b32_e32 v8, v9, v8, vcc_lo
	s_delay_alu instid0(VALU_DEP_1) | instskip(NEXT) | instid1(VALU_DEP_1)
	v_div_scale_f32 v9, null, v8, v8, 1.0
	v_rcp_f32_e32 v11, v9
	v_nop
	s_delay_alu instid0(TRANS32_DEP_1) | instskip(NEXT) | instid1(VALU_DEP_1)
	v_fma_f32 v12, -v9, v11, 1.0
	v_fmac_f32_e32 v11, v12, v11
	v_div_scale_f32 v12, vcc_lo, 1.0, v8, 1.0
	s_delay_alu instid0(VALU_DEP_1) | instskip(NEXT) | instid1(VALU_DEP_1)
	v_mul_f32_e32 v13, v12, v11
	v_fma_f32 v23, -v9, v13, v12
	s_delay_alu instid0(VALU_DEP_1) | instskip(NEXT) | instid1(VALU_DEP_1)
	v_fmac_f32_e32 v13, v23, v11
	v_fma_f32 v9, -v9, v13, v12
	s_delay_alu instid0(VALU_DEP_1) | instskip(NEXT) | instid1(VALU_DEP_1)
	v_div_fmas_f32 v9, v9, v11, v13
	v_div_fixup_f32 v9, v9, v8, 1.0
	s_delay_alu instid0(VALU_DEP_1)
	v_mul_f32_e32 v23, v7, v9
.LBB4_64:                               ;   in Loop: Header=BB4_48 Depth=3
	s_or_b32 exec_lo, exec_lo, s60
.LBB4_65:                               ;   in Loop: Header=BB4_48 Depth=3
	s_delay_alu instid0(SALU_CYCLE_1)
	s_or_b32 exec_lo, exec_lo, s59
.LBB4_66:                               ;   in Loop: Header=BB4_48 Depth=3
	s_delay_alu instid0(SALU_CYCLE_1) | instskip(SKIP_2) | instid1(VALU_DEP_1)
	s_or_b32 exec_lo, exec_lo, s58
	v_mul_f32_e32 v7, v6, v9
	v_and_b32_e32 v8, 0x7fffffff, v6
	v_div_scale_f32 v9, null, v8, v8, v7
	s_delay_alu instid0(VALU_DEP_1) | instskip(SKIP_1) | instid1(TRANS32_DEP_1)
	v_rcp_f32_e32 v11, v9
	v_nop
	v_fma_f32 v12, -v9, v11, 1.0
	s_delay_alu instid0(VALU_DEP_1) | instskip(SKIP_1) | instid1(VALU_DEP_1)
	v_fmac_f32_e32 v11, v12, v11
	v_div_scale_f32 v8, vcc_lo, v7, v8, v7
	v_mul_f32_e32 v12, v8, v11
	s_delay_alu instid0(VALU_DEP_1) | instskip(NEXT) | instid1(VALU_DEP_1)
	v_fma_f32 v13, -v9, v12, v8
	v_fmac_f32_e32 v12, v13, v11
	s_delay_alu instid0(VALU_DEP_1) | instskip(NEXT) | instid1(VALU_DEP_1)
	v_fma_f32 v8, -v9, v12, v8
	v_div_fmas_f32 v8, v8, v11, v12
	s_delay_alu instid0(VALU_DEP_1)
	v_div_fixup_f32 v24, v8, |v6|, v7
.LBB4_67:                               ;   in Loop: Header=BB4_48 Depth=3
	s_or_b32 exec_lo, exec_lo, s57
	ds_store_b32 v16, v23
	ds_store_b32 v17, v24
.LBB4_68:                               ;   in Loop: Header=BB4_48 Depth=3
	s_or_b32 exec_lo, exec_lo, s9
	s_and_b32 s6, s6, s7
	s_mov_b32 s8, 0
	s_wait_dscnt 0x0
	s_barrier_signal -1
	s_barrier_wait -1
	s_and_saveexec_b32 s7, s6
	s_cbranch_execz .LBB4_80
; %bb.69:                               ;   in Loop: Header=BB4_48 Depth=3
	ds_load_b32 v23, v16
	ds_load_b32 v24, v17
	s_mov_b32 s6, 0
	s_and_saveexec_b32 s57, s3
	s_cbranch_execz .LBB4_79
; %bb.70:                               ;   in Loop: Header=BB4_48 Depth=3
	v_mad_u32 v6, v26, s15, v15
	v_mad_u32 v8, v28, s15, v15
	v_mul_lo_u32 v29, v28, s19
	v_mul_lo_u32 v30, v26, s19
	v_dual_mov_b32 v31, v15 :: v_dual_mov_b32 v32, v18
	s_mov_b32 s58, 0
	s_mov_b64 s[8:9], s[36:37]
	s_delay_alu instid0(VALU_DEP_4) | instskip(NEXT) | instid1(VALU_DEP_1)
	v_dual_ashrrev_i32 v7, 31, v6 :: v_dual_ashrrev_i32 v9, 31, v8
	v_lshlrev_b64_e32 v[6:7], 2, v[6:7]
	s_delay_alu instid0(VALU_DEP_2)
	v_lshlrev_b64_e32 v[8:9], 2, v[8:9]
	s_branch .LBB4_73
.LBB4_71:                               ;   in Loop: Header=BB4_73 Depth=4
	s_wait_xcnt 0x0
	s_or_b32 exec_lo, exec_lo, s59
.LBB4_72:                               ;   in Loop: Header=BB4_73 Depth=4
	v_dual_add_nc_u32 v32, s33, v32 :: v_dual_add_nc_u32 v31, s16, v31
	s_add_nc_u64 s[8:9], s[8:9], s[38:39]
	s_delay_alu instid0(VALU_DEP_1) | instskip(SKIP_1) | instid1(SALU_CYCLE_1)
	v_cmp_le_i32_e32 vcc_lo, s28, v32
	s_or_b32 s58, vcc_lo, s58
	s_and_not1_b32 exec_lo, exec_lo, s58
	s_cbranch_execz .LBB4_78
.LBB4_73:                               ;   Parent Loop BB4_43 Depth=1
                                        ;     Parent Loop BB4_46 Depth=2
                                        ;       Parent Loop BB4_48 Depth=3
                                        ; =>      This Inner Loop Header: Depth=4
	s_delay_alu instid0(VALU_DEP_2) | instskip(NEXT) | instid1(VALU_DEP_2)
	v_add_nc_u64_e32 v[10:11], s[8:9], v[6:7]
	v_add_nc_u64_e32 v[12:13], s[8:9], v[8:9]
	s_clause 0x1
	global_load_b32 v33, v[10:11], off
	global_load_b32 v34, v[12:13], off
	s_wait_loadcnt_dscnt 0x0
	v_dual_mul_f32 v35, v24, v33 :: v_dual_mul_f32 v36, v24, v34
	s_delay_alu instid0(VALU_DEP_1) | instskip(NEXT) | instid1(VALU_DEP_2)
	v_dual_add_nc_u32 v37, 1, v31 :: v_dual_fmac_f32 v35, v23, v34
	v_fma_f32 v33, v23, v33, -v36
	s_delay_alu instid0(VALU_DEP_2)
	v_cmp_gt_i32_e64 s6, s15, v37
	s_clause 0x1
	global_store_b32 v[12:13], v35, off
	global_store_b32 v[10:11], v33, off
	s_wait_xcnt 0x0
	s_and_saveexec_b32 s59, s6
	s_cbranch_execz .LBB4_75
; %bb.74:                               ;   in Loop: Header=BB4_73 Depth=4
	s_clause 0x1
	global_load_b32 v33, v[10:11], off offset:4
	global_load_b32 v34, v[12:13], off offset:4
	s_wait_loadcnt 0x0
	v_dual_mul_f32 v35, v24, v33 :: v_dual_mul_f32 v36, v24, v34
	s_delay_alu instid0(VALU_DEP_1)
	v_dual_fmac_f32 v35, v23, v34 :: v_dual_fma_f32 v33, v23, v33, -v36
	s_clause 0x1
	global_store_b32 v[12:13], v35, off offset:4
	global_store_b32 v[10:11], v33, off offset:4
.LBB4_75:                               ;   in Loop: Header=BB4_73 Depth=4
	s_wait_xcnt 0x0
	s_or_b32 exec_lo, exec_lo, s59
	s_delay_alu instid0(SALU_CYCLE_1)
	s_and_not1_b32 vcc_lo, exec_lo, s50
	s_cbranch_vccnz .LBB4_72
; %bb.76:                               ;   in Loop: Header=BB4_73 Depth=4
	v_dual_add_nc_u32 v12, v30, v31 :: v_dual_add_nc_u32 v10, v29, v31
	s_clause 0x1
	global_load_b32 v11, v12, s[10:11] scale_offset
	global_load_b32 v13, v10, s[10:11] scale_offset
	s_wait_loadcnt 0x0
	v_dual_mul_f32 v33, v24, v11 :: v_dual_mul_f32 v34, v24, v13
	s_delay_alu instid0(VALU_DEP_1)
	v_dual_fmac_f32 v33, v23, v13 :: v_dual_fma_f32 v11, v23, v11, -v34
	s_clause 0x1
	global_store_b32 v10, v33, s[10:11] scale_offset
	global_store_b32 v12, v11, s[10:11] scale_offset
	s_wait_xcnt 0x0
	s_and_saveexec_b32 s59, s6
	s_cbranch_execz .LBB4_71
; %bb.77:                               ;   in Loop: Header=BB4_73 Depth=4
	v_dual_ashrrev_i32 v13, 31, v12 :: v_dual_ashrrev_i32 v11, 31, v10
	s_delay_alu instid0(VALU_DEP_1) | instskip(NEXT) | instid1(VALU_DEP_2)
	v_lshl_add_u64 v[12:13], v[12:13], 2, s[10:11]
	v_lshl_add_u64 v[10:11], v[10:11], 2, s[10:11]
	s_clause 0x1
	global_load_b32 v33, v[12:13], off offset:4
	global_load_b32 v34, v[10:11], off offset:4
	s_wait_loadcnt 0x0
	v_dual_mul_f32 v35, v24, v33 :: v_dual_mul_f32 v36, v24, v34
	s_delay_alu instid0(VALU_DEP_1)
	v_dual_fmac_f32 v35, v23, v34 :: v_dual_fma_f32 v33, v23, v33, -v36
	s_clause 0x1
	global_store_b32 v[10:11], v35, off offset:4
	global_store_b32 v[12:13], v33, off offset:4
	s_branch .LBB4_71
.LBB4_78:                               ;   in Loop: Header=BB4_48 Depth=3
	s_or_b32 exec_lo, exec_lo, s58
	s_delay_alu instid0(SALU_CYCLE_1)
	s_mov_b32 s6, exec_lo
.LBB4_79:                               ;   in Loop: Header=BB4_48 Depth=3
	s_or_b32 exec_lo, exec_lo, s57
	s_wait_dscnt 0x0
	v_mov_b32_e32 v10, v24
	s_and_b32 s8, s6, exec_lo
.LBB4_80:                               ;   in Loop: Header=BB4_48 Depth=3
	s_or_b32 exec_lo, exec_lo, s7
	s_wait_storecnt 0x0
	s_barrier_signal -1
	s_barrier_wait -1
	s_and_saveexec_b32 s6, s8
	s_cbranch_execz .LBB4_85
; %bb.81:                               ;   in Loop: Header=BB4_48 Depth=3
	v_dual_add_nc_u32 v6, v20, v28 :: v_dual_add_nc_u32 v7, v20, v26
	v_dual_add_nc_u32 v8, v3, v26 :: v_dual_add_nc_u32 v9, v3, v28
	v_dual_mov_b32 v11, v19 :: v_dual_mov_b32 v12, v18
	s_mov_b32 s7, 0
	s_mov_b32 s8, 0
	s_branch .LBB4_83
.LBB4_82:                               ;   in Loop: Header=BB4_83 Depth=4
	s_wait_xcnt 0x0
	s_or_b32 exec_lo, exec_lo, s9
	v_dual_add_nc_u32 v12, s33, v12 :: v_dual_add_nc_u32 v11, s16, v11
	s_add_co_i32 s8, s8, s17
	s_delay_alu instid0(VALU_DEP_1) | instskip(SKIP_1) | instid1(SALU_CYCLE_1)
	v_cmp_le_i32_e32 vcc_lo, s28, v12
	s_or_b32 s7, vcc_lo, s7
	s_and_not1_b32 exec_lo, exec_lo, s7
	s_cbranch_execz .LBB4_85
.LBB4_83:                               ;   Parent Loop BB4_43 Depth=1
                                        ;     Parent Loop BB4_46 Depth=2
                                        ;       Parent Loop BB4_48 Depth=3
                                        ; =>      This Inner Loop Header: Depth=4
	v_dual_add_nc_u32 v13, s8, v8 :: v_dual_add_nc_u32 v29, s8, v9
	s_mov_b32 s9, exec_lo
	s_clause 0x1
	global_load_b32 v30, v13, s[36:37] scale_offset
	global_load_b32 v31, v29, s[36:37] scale_offset
	s_wait_loadcnt 0x0
	v_dual_mul_f32 v32, v24, v30 :: v_dual_mul_f32 v33, v10, v31
	s_delay_alu instid0(VALU_DEP_1)
	v_dual_fmac_f32 v32, v23, v31 :: v_dual_fma_f32 v30, v23, v30, -v33
	s_clause 0x1
	global_store_b32 v29, v32, s[36:37] scale_offset
	global_store_b32 v13, v30, s[36:37] scale_offset
	s_wait_xcnt 0x0
	v_cmpx_gt_i32_e64 s15, v11
	s_cbranch_execz .LBB4_82
; %bb.84:                               ;   in Loop: Header=BB4_83 Depth=4
	v_dual_add_nc_u32 v13, s8, v7 :: v_dual_add_nc_u32 v29, s8, v6
	s_clause 0x1
	global_load_b32 v30, v13, s[36:37] scale_offset
	global_load_b32 v31, v29, s[36:37] scale_offset
	s_wait_loadcnt 0x0
	v_dual_mul_f32 v32, v24, v30 :: v_dual_mul_f32 v33, v10, v31
	s_delay_alu instid0(VALU_DEP_1)
	v_dual_fmac_f32 v32, v23, v31 :: v_dual_fma_f32 v30, v23, v30, -v33
	s_clause 0x1
	global_store_b32 v29, v32, s[36:37] scale_offset
	global_store_b32 v13, v30, s[36:37] scale_offset
	s_branch .LBB4_82
.LBB4_85:                               ;   in Loop: Header=BB4_48 Depth=3
	s_or_b32 exec_lo, exec_lo, s6
	s_wait_storecnt 0x0
	s_barrier_signal -1
	s_barrier_wait -1
	s_and_saveexec_b32 s6, s56
	s_cbranch_execz .LBB4_87
; %bb.86:                               ;   in Loop: Header=BB4_48 Depth=3
	v_mad_u32 v6, v26, s15, v28
	v_mad_u32 v7, v28, s15, v26
	s_clause 0x1
	global_store_b32 v6, v22, s[36:37] scale_offset
	global_store_b32 v7, v22, s[36:37] scale_offset
.LBB4_87:                               ;   in Loop: Header=BB4_48 Depth=3
	s_wait_xcnt 0x0
	s_or_b32 exec_lo, exec_lo, s6
	s_and_b32 s5, s2, s5
	s_wait_storecnt 0x0
	s_barrier_signal -1
	s_barrier_wait -1
	s_and_saveexec_b32 s6, s5
	s_cbranch_execz .LBB4_99
; %bb.88:                               ;   in Loop: Header=BB4_48 Depth=3
	s_mov_b32 s7, exec_lo
	v_cmpx_lt_i32_e32 0, v28
	s_cbranch_execz .LBB4_94
; %bb.89:                               ;   in Loop: Header=BB4_48 Depth=3
	v_cmp_ne_u32_e32 vcc_lo, 2, v28
	v_cmp_ne_u32_e64 s5, s45, v28
                                        ; implicit-def: $vgpr6
	s_and_b32 s5, vcc_lo, s5
	s_delay_alu instid0(SALU_CYCLE_1) | instskip(NEXT) | instid1(SALU_CYCLE_1)
	s_and_saveexec_b32 s8, s5
	s_xor_b32 s5, exec_lo, s8
; %bb.90:                               ;   in Loop: Header=BB4_48 Depth=3
	v_and_b32_e32 v6, 1, v28
	s_delay_alu instid0(VALU_DEP_1) | instskip(SKIP_1) | instid1(VALU_DEP_1)
	v_cmp_eq_u32_e32 vcc_lo, 0, v6
	v_cndmask_b32_e64 v6, 2, -2, vcc_lo
	v_add_nc_u32_e32 v6, v6, v28
                                        ; implicit-def: $vgpr28
; %bb.91:                               ;   in Loop: Header=BB4_48 Depth=3
	s_and_not1_saveexec_b32 s5, s5
; %bb.92:                               ;   in Loop: Header=BB4_48 Depth=3
	v_add_nc_u32_e32 v6, -1, v28
; %bb.93:                               ;   in Loop: Header=BB4_48 Depth=3
	s_or_b32 exec_lo, exec_lo, s5
	v_lshl_add_u32 v7, v27, 2, s43
	ds_store_b32 v7, v6
.LBB4_94:                               ;   in Loop: Header=BB4_48 Depth=3
	s_or_b32 exec_lo, exec_lo, s7
	v_cmp_ne_u32_e32 vcc_lo, 2, v26
	v_cmp_ne_u32_e64 s5, s45, v26
                                        ; implicit-def: $vgpr6
	s_and_b32 s5, vcc_lo, s5
	s_delay_alu instid0(SALU_CYCLE_1) | instskip(NEXT) | instid1(SALU_CYCLE_1)
	s_and_saveexec_b32 s7, s5
	s_xor_b32 s5, exec_lo, s7
; %bb.95:                               ;   in Loop: Header=BB4_48 Depth=3
	v_and_b32_e32 v6, 1, v26
	s_delay_alu instid0(VALU_DEP_1) | instskip(SKIP_1) | instid1(VALU_DEP_1)
	v_cmp_eq_u32_e32 vcc_lo, 0, v6
	v_cndmask_b32_e64 v6, 2, -2, vcc_lo
	v_add_nc_u32_e32 v6, v6, v26
                                        ; implicit-def: $vgpr26
; %bb.96:                               ;   in Loop: Header=BB4_48 Depth=3
	s_and_not1_saveexec_b32 s5, s5
; %bb.97:                               ;   in Loop: Header=BB4_48 Depth=3
	v_add_nc_u32_e32 v6, -1, v26
; %bb.98:                               ;   in Loop: Header=BB4_48 Depth=3
	s_or_b32 exec_lo, exec_lo, s5
	ds_store_b32 v25, v6
.LBB4_99:                               ;   in Loop: Header=BB4_48 Depth=3
	s_or_b32 exec_lo, exec_lo, s6
	s_add_co_i32 s5, s55, 1
	s_cmp_eq_u32 s55, s46
	s_wait_dscnt 0x0
	s_barrier_signal -1
	s_barrier_wait -1
	s_cbranch_scc1 .LBB4_45
; %bb.100:                              ;   in Loop: Header=BB4_48 Depth=3
	s_mov_b32 s55, s5
	s_branch .LBB4_48
.LBB4_101:                              ;   in Loop: Header=BB4_43 Depth=1
	s_and_saveexec_b32 s5, s2
	s_cbranch_execz .LBB4_111
; %bb.102:                              ;   in Loop: Header=BB4_43 Depth=1
	v_mov_b32_e32 v11, 0
	s_and_saveexec_b32 s6, s4
	s_cbranch_execz .LBB4_110
; %bb.103:                              ;   in Loop: Header=BB4_43 Depth=1
	v_mov_b64_e32 v[6:7], v[0:1]
	v_dual_mov_b32 v11, 0 :: v_dual_mov_b32 v12, v2
	s_mov_b32 s7, 0
	s_branch .LBB4_105
.LBB4_104:                              ;   in Loop: Header=BB4_105 Depth=2
	s_or_b32 exec_lo, exec_lo, s8
	v_add_nc_u32_e32 v12, s18, v12
	v_add_nc_u64_e32 v[6:7], v[6:7], v[4:5]
	s_delay_alu instid0(VALU_DEP_2) | instskip(SKIP_1) | instid1(SALU_CYCLE_1)
	v_cmp_le_i32_e32 vcc_lo, s15, v12
	s_or_b32 s7, vcc_lo, s7
	s_and_not1_b32 exec_lo, exec_lo, s7
	s_cbranch_execz .LBB4_109
.LBB4_105:                              ;   Parent Loop BB4_43 Depth=1
                                        ; =>  This Loop Header: Depth=2
                                        ;       Child Loop BB4_107 Depth 3
	s_mov_b32 s8, exec_lo
	s_delay_alu instid0(VALU_DEP_1)
	v_cmpx_lt_i32_e32 0, v12
	s_cbranch_execz .LBB4_104
; %bb.106:                              ;   in Loop: Header=BB4_105 Depth=2
	v_mov_b64_e32 v[8:9], v[6:7]
	s_mov_b32 s9, 0
	s_mov_b32 s31, 0
.LBB4_107:                              ;   Parent Loop BB4_43 Depth=1
                                        ;     Parent Loop BB4_105 Depth=2
                                        ; =>    This Inner Loop Header: Depth=3
	global_load_b32 v13, v[8:9], off
	s_add_co_i32 s31, s31, 1
	s_wait_xcnt 0x0
	v_add_nc_u64_e32 v[8:9], s[40:41], v[8:9]
	v_cmp_eq_u32_e32 vcc_lo, s31, v12
	s_or_b32 s9, vcc_lo, s9
	s_wait_loadcnt 0x0
	v_mul_f32_e32 v13, v13, v13
	s_delay_alu instid0(VALU_DEP_1)
	v_fmac_f32_e32 v11, 2.0, v13
	s_and_not1_b32 exec_lo, exec_lo, s9
	s_cbranch_execnz .LBB4_107
; %bb.108:                              ;   in Loop: Header=BB4_105 Depth=2
	s_or_b32 exec_lo, exec_lo, s9
	s_branch .LBB4_104
.LBB4_109:                              ;   in Loop: Header=BB4_43 Depth=1
	s_or_b32 exec_lo, exec_lo, s7
.LBB4_110:                              ;   in Loop: Header=BB4_43 Depth=1
	s_delay_alu instid0(SALU_CYCLE_1)
	s_or_b32 exec_lo, exec_lo, s6
	ds_store_b32 v16, v11
.LBB4_111:                              ;   in Loop: Header=BB4_43 Depth=1
	s_or_b32 exec_lo, exec_lo, s5
	v_mov_b32_e32 v7, 0
	s_and_not1_b32 vcc_lo, exec_lo, s14
	s_wait_dscnt 0x0
	s_barrier_signal -1
	s_barrier_wait -1
	s_cbranch_vccnz .LBB4_42
; %bb.112:                              ;   in Loop: Header=BB4_43 Depth=1
	s_mov_b32 s5, 0
	s_and_not1_b32 vcc_lo, exec_lo, s52
	s_cbranch_vccnz .LBB4_116
; %bb.113:                              ;   in Loop: Header=BB4_43 Depth=1
	s_mov_b32 s6, 0
.LBB4_114:                              ;   Parent Loop BB4_43 Depth=1
                                        ; =>  This Inner Loop Header: Depth=2
	s_delay_alu instid0(SALU_CYCLE_1)
	v_mov_b32_e32 v6, s6
	s_add_co_i32 s5, s5, 8
	s_add_co_i32 s6, s6, 32
	s_cmp_lg_u32 s53, s5
	ds_load_2addr_b64 v[26:29], v6 offset1:1
	ds_load_2addr_b64 v[30:33], v6 offset0:2 offset1:3
	s_wait_dscnt 0x1
	v_add_f32_e32 v6, v7, v26
	s_delay_alu instid0(VALU_DEP_1) | instskip(NEXT) | instid1(VALU_DEP_1)
	v_add_f32_e32 v6, v6, v27
	v_add_f32_e32 v6, v6, v28
	s_delay_alu instid0(VALU_DEP_1) | instskip(SKIP_1) | instid1(VALU_DEP_1)
	v_add_f32_e32 v6, v6, v29
	s_wait_dscnt 0x0
	v_add_f32_e32 v6, v6, v30
	s_delay_alu instid0(VALU_DEP_1) | instskip(NEXT) | instid1(VALU_DEP_1)
	v_add_f32_e32 v6, v6, v31
	v_add_f32_e32 v6, v6, v32
	s_delay_alu instid0(VALU_DEP_1)
	v_add_f32_e32 v7, v6, v33
	s_cbranch_scc1 .LBB4_114
; %bb.115:                              ;   in Loop: Header=BB4_43 Depth=1
	s_mov_b32 s5, s53
.LBB4_116:                              ;   in Loop: Header=BB4_43 Depth=1
	s_and_not1_b32 vcc_lo, exec_lo, s54
	s_cbranch_vccnz .LBB4_42
; %bb.117:                              ;   in Loop: Header=BB4_43 Depth=1
	s_lshl_b32 s5, s5, 2
	s_mov_b32 s6, s51
	s_add_co_i32 s5, s5, 0
.LBB4_118:                              ;   Parent Loop BB4_43 Depth=1
                                        ; =>  This Inner Loop Header: Depth=2
	s_delay_alu instid0(SALU_CYCLE_1)
	v_mov_b32_e32 v6, s5
	s_add_co_i32 s6, s6, -1
	s_add_co_i32 s5, s5, 4
	s_cmp_lg_u32 s6, 0
	ds_load_b32 v6, v6
	s_wait_dscnt 0x0
	v_add_f32_e32 v7, v7, v6
	s_cbranch_scc1 .LBB4_118
	s_branch .LBB4_42
.LBB4_119:
	s_mul_u64 s[4:5], s[24:25], s[34:35]
	s_and_saveexec_b32 s6, s2
	s_cbranch_execz .LBB4_125
; %bb.120:
	s_mov_b32 s7, exec_lo
	v_cmpx_eq_u32_e32 0, v2
	s_cbranch_execz .LBB4_122
; %bb.121:
	v_mul_f32_e32 v0, 0x4f800000, v7
	v_cmp_gt_f32_e32 vcc_lo, 0xf800000, v7
	s_load_b64 s[8:9], s[0:1], 0x30
	s_cmp_gt_i32 s29, s42
	s_delay_alu instid0(VALU_DEP_2) | instskip(NEXT) | instid1(VALU_DEP_1)
	v_cndmask_b32_e32 v0, v7, v0, vcc_lo
	v_sqrt_f32_e32 v1, v0
	v_nop
	s_delay_alu instid0(TRANS32_DEP_1) | instskip(NEXT) | instid1(VALU_DEP_1)
	v_dual_add_nc_u32 v3, -1, v1 :: v_dual_add_nc_u32 v4, 1, v1
	v_xor_b32_e32 v5, 0x80000000, v3
	s_delay_alu instid0(VALU_DEP_2) | instskip(NEXT) | instid1(VALU_DEP_1)
	v_xor_b32_e32 v6, 0x80000000, v4
	v_dual_fma_f32 v5, v5, v1, v0 :: v_dual_fma_f32 v6, v6, v1, v0
	s_delay_alu instid0(VALU_DEP_1) | instskip(SKIP_1) | instid1(VALU_DEP_2)
	v_cmp_ge_f32_e64 s3, 0, v5
	s_wait_xcnt 0x0
	v_cmp_lt_f32_e64 s0, 0, v6
	s_delay_alu instid0(VALU_DEP_2) | instskip(NEXT) | instid1(VALU_DEP_1)
	v_cndmask_b32_e64 v1, v1, v3, s3
	v_cndmask_b32_e64 v1, v1, v4, s0
	s_cselect_b32 s0, -1, 0
	s_min_i32 s1, s29, s42
	v_cndmask_b32_e64 v4, 0, 1, s0
	s_delay_alu instid0(VALU_DEP_2) | instskip(NEXT) | instid1(VALU_DEP_1)
	v_mul_f32_e32 v3, 0x37800000, v1
	v_cndmask_b32_e32 v1, v1, v3, vcc_lo
	v_cmp_class_f32_e64 vcc_lo, v0, 0x260
	s_delay_alu instid0(VALU_DEP_2)
	v_dual_mov_b32 v3, s34 :: v_dual_cndmask_b32 v0, v1, v0
	v_mov_b32_e32 v1, s1
	s_wait_kmcnt 0x0
	s_clause 0x2
	global_store_b32 v3, v0, s[8:9] scale_offset
	global_store_b32 v3, v1, s[20:21] scale_offset
	;; [unrolled: 1-line block ×3, first 2 shown]
.LBB4_122:
	s_wait_xcnt 0x0
	s_or_b32 exec_lo, exec_lo, s7
	v_cmp_gt_i32_e32 vcc_lo, s15, v2
	s_and_b32 exec_lo, exec_lo, vcc_lo
	s_cbranch_execz .LBB4_125
; %bb.123:
	s_ashr_i32 s29, s28, 31
	s_ashr_i32 s31, s30, 31
	v_mad_u32 v6, v2, s15, v2
	v_min_i64 v[0:1], s[28:29], s[30:31]
	v_ashrrev_i32_e32 v3, 31, v2
	s_lshl_b64 s[0:1], s[4:5], 2
	s_add_co_i32 s3, s15, 1
	s_add_nc_u64 s[0:1], s[22:23], s[0:1]
	s_delay_alu instid0(VALU_DEP_1) | instid1(SALU_CYCLE_1)
	v_lshl_add_u64 v[4:5], v[2:3], 2, s[0:1]
	v_mov_b32_e32 v3, v2
	s_mul_i32 s0, s18, s3
	s_mov_b32 s1, 0
	s_delay_alu instid0(VALU_DEP_4)
	v_lshlrev_b64_e32 v[0:1], 2, v[0:1]
.LBB4_124:                              ; =>This Inner Loop Header: Depth=1
	global_load_b32 v7, v6, s[36:37] scale_offset
	s_wait_xcnt 0x0
	v_dual_add_nc_u32 v3, s18, v3 :: v_dual_add_nc_u32 v6, s0, v6
	s_delay_alu instid0(VALU_DEP_1)
	v_cmp_le_i32_e32 vcc_lo, s15, v3
	s_or_b32 s1, vcc_lo, s1
	s_wait_loadcnt 0x0
	global_store_b32 v[4:5], v7, off
	s_wait_xcnt 0x0
	v_add_nc_u64_e32 v[4:5], v[4:5], v[0:1]
	s_and_not1_b32 exec_lo, exec_lo, s1
	s_cbranch_execnz .LBB4_124
.LBB4_125:
	s_or_b32 exec_lo, exec_lo, s6
	s_cmp_eq_u32 s12, 0xfb
	s_wait_storecnt 0x0
	s_cselect_b32 s0, -1, 0
	s_cmp_lt_i32 s15, 2
	s_barrier_signal -1
	s_cselect_b32 s1, -1, 0
	s_barrier_wait -1
	s_or_b32 s0, s0, s1
	s_delay_alu instid0(SALU_CYCLE_1)
	s_and_b32 vcc_lo, exec_lo, s0
	s_cbranch_vccnz .LBB4_136
; %bb.126:
	s_lshl_b64 s[4:5], s[4:5], 2
	s_cmp_lg_u32 s13, 0xd5
	v_cmp_gt_i32_e64 s0, s15, v2
	s_cselect_b32 s1, -1, 0
	s_ashr_i32 s29, s28, 31
	s_ashr_i32 s31, s30, 31
	v_dual_mov_b32 v3, 0 :: v_dual_mov_b32 v4, v2
	v_min_i64 v[0:1], s[28:29], s[30:31]
	s_add_nc_u64 s[4:5], s[22:23], s[4:5]
	s_mov_b32 s7, 0
	s_and_b32 s1, s1, s0
	s_add_co_i32 s3, s15, -2
	s_add_nc_u64 s[8:9], s[4:5], 4
	s_mov_b32 s6, s7
	v_cmp_eq_u32_e32 vcc_lo, 0, v2
	s_delay_alu instid0(VALU_DEP_2)
	v_lshlrev_b64_e32 v[0:1], 2, v[0:1]
	s_branch .LBB4_128
.LBB4_127:                              ;   in Loop: Header=BB4_128 Depth=1
	s_or_b32 exec_lo, exec_lo, s16
	v_add_nc_u32_e32 v4, s19, v4
	s_add_nc_u64 s[8:9], s[8:9], 4
	s_cmp_lg_u32 s6, s3
	s_mov_b32 s6, s14
	s_wait_storecnt 0x0
	s_barrier_signal -1
	s_barrier_wait -1
	s_cbranch_scc0 .LBB4_136
.LBB4_128:                              ; =>This Loop Header: Depth=1
                                        ;     Child Loop BB4_129 Depth 2
                                        ;     Child Loop BB4_135 Depth 2
	v_mov_b32_e32 v5, s6
	s_lshl_b64 s[12:13], s[6:7], 2
	s_add_co_i32 s14, s6, 1
	s_add_nc_u64 s[12:13], s[4:5], s[12:13]
	s_mov_b64 s[16:17], s[8:9]
	global_load_b32 v6, v5, s[4:5] scale_offset
	s_mov_b32 s20, s14
.LBB4_129:                              ;   Parent Loop BB4_128 Depth=1
                                        ; =>  This Inner Loop Header: Depth=2
	global_load_b32 v7, v3, s[16:17]
	s_wait_xcnt 0x0
	s_add_nc_u64 s[16:17], s[16:17], 4
	s_wait_loadcnt 0x0
	v_cmp_lt_f32_e64 s0, v7, v6
	s_delay_alu instid0(VALU_DEP_1) | instskip(SKIP_2) | instid1(SALU_CYCLE_1)
	v_cndmask_b32_e64 v5, v5, s20, s0
	v_cndmask_b32_e64 v6, v6, v7, s0
	s_add_co_i32 s20, s20, 1
	s_cmp_lg_u32 s15, s20
	s_cbranch_scc1 .LBB4_129
; %bb.130:                              ;   in Loop: Header=BB4_128 Depth=1
	v_cmp_ne_u32_e64 s0, s6, v5
	s_barrier_signal -1
	s_barrier_wait -1
	s_and_b32 s0, s2, s0
	s_delay_alu instid0(SALU_CYCLE_1)
	s_and_saveexec_b32 s16, s0
	s_cbranch_execz .LBB4_127
; %bb.131:                              ;   in Loop: Header=BB4_128 Depth=1
	s_and_saveexec_b32 s0, vcc_lo
	s_cbranch_execz .LBB4_133
; %bb.132:                              ;   in Loop: Header=BB4_128 Depth=1
	global_load_b32 v7, v3, s[12:13]
	s_wait_loadcnt 0x0
	s_clause 0x1
	global_store_b32 v5, v7, s[4:5] scale_offset
	global_store_b32 v3, v6, s[12:13]
.LBB4_133:                              ;   in Loop: Header=BB4_128 Depth=1
	s_wait_xcnt 0x0
	s_or_b32 exec_lo, exec_lo, s0
	s_delay_alu instid0(SALU_CYCLE_1)
	s_and_b32 exec_lo, exec_lo, s1
	s_cbranch_execz .LBB4_127
; %bb.134:                              ;   in Loop: Header=BB4_128 Depth=1
	v_mad_u32 v8, v5, s19, v2
	v_ashrrev_i32_e32 v5, 31, v4
	v_mov_b64_e32 v[10:11], s[10:11]
	s_mov_b32 s12, 0
	s_delay_alu instid0(VALU_DEP_2) | instskip(NEXT) | instid1(VALU_DEP_4)
	v_lshlrev_b64_e32 v[6:7], 2, v[4:5]
	v_dual_mov_b32 v5, v2 :: v_dual_ashrrev_i32 v9, 31, v8
	s_delay_alu instid0(VALU_DEP_1)
	v_lshlrev_b64_e32 v[8:9], 2, v[8:9]
.LBB4_135:                              ;   Parent Loop BB4_128 Depth=1
                                        ; =>  This Inner Loop Header: Depth=2
	s_delay_alu instid0(VALU_DEP_3) | instskip(NEXT) | instid1(VALU_DEP_2)
	v_add_nc_u64_e32 v[12:13], v[10:11], v[6:7]
	v_add_nc_u64_e32 v[14:15], v[10:11], v[8:9]
	s_delay_alu instid0(VALU_DEP_4)
	v_add_nc_u32_e32 v5, s18, v5
	v_add_nc_u64_e32 v[10:11], v[10:11], v[0:1]
	s_clause 0x1
	global_load_b32 v16, v[12:13], off
	global_load_b32 v17, v[14:15], off
	v_cmp_le_i32_e64 s0, s15, v5
	s_wait_loadcnt 0x1
	global_store_b32 v[14:15], v16, off
	s_wait_loadcnt 0x0
	global_store_b32 v[12:13], v17, off
	s_or_b32 s12, s0, s12
	s_wait_xcnt 0x0
	s_and_not1_b32 exec_lo, exec_lo, s12
	s_cbranch_execnz .LBB4_135
	s_branch .LBB4_127
.LBB4_136:
	s_endpgm
	.section	.rodata,"a",@progbits
	.p2align	6, 0x0
	.amdhsa_kernel _ZN9rocsolver6v33100L18syevj_small_kernelIffPfEEv14rocblas_esort_14rocblas_evect_13rocblas_fill_iT1_iilT0_S7_PS7_iPiS8_lS9_PT_
		.amdhsa_group_segment_fixed_size 0
		.amdhsa_private_segment_fixed_size 0
		.amdhsa_kernarg_size 104
		.amdhsa_user_sgpr_count 2
		.amdhsa_user_sgpr_dispatch_ptr 0
		.amdhsa_user_sgpr_queue_ptr 0
		.amdhsa_user_sgpr_kernarg_segment_ptr 1
		.amdhsa_user_sgpr_dispatch_id 0
		.amdhsa_user_sgpr_kernarg_preload_length 0
		.amdhsa_user_sgpr_kernarg_preload_offset 0
		.amdhsa_user_sgpr_private_segment_size 0
		.amdhsa_wavefront_size32 1
		.amdhsa_uses_dynamic_stack 0
		.amdhsa_enable_private_segment 0
		.amdhsa_system_sgpr_workgroup_id_x 1
		.amdhsa_system_sgpr_workgroup_id_y 0
		.amdhsa_system_sgpr_workgroup_id_z 1
		.amdhsa_system_sgpr_workgroup_info 0
		.amdhsa_system_vgpr_workitem_id 0
		.amdhsa_next_free_vgpr 38
		.amdhsa_next_free_sgpr 61
		.amdhsa_named_barrier_count 0
		.amdhsa_reserve_vcc 1
		.amdhsa_float_round_mode_32 0
		.amdhsa_float_round_mode_16_64 0
		.amdhsa_float_denorm_mode_32 3
		.amdhsa_float_denorm_mode_16_64 3
		.amdhsa_fp16_overflow 0
		.amdhsa_memory_ordered 1
		.amdhsa_forward_progress 1
		.amdhsa_inst_pref_size 52
		.amdhsa_round_robin_scheduling 0
		.amdhsa_exception_fp_ieee_invalid_op 0
		.amdhsa_exception_fp_denorm_src 0
		.amdhsa_exception_fp_ieee_div_zero 0
		.amdhsa_exception_fp_ieee_overflow 0
		.amdhsa_exception_fp_ieee_underflow 0
		.amdhsa_exception_fp_ieee_inexact 0
		.amdhsa_exception_int_div_zero 0
	.end_amdhsa_kernel
	.section	.text._ZN9rocsolver6v33100L18syevj_small_kernelIffPfEEv14rocblas_esort_14rocblas_evect_13rocblas_fill_iT1_iilT0_S7_PS7_iPiS8_lS9_PT_,"axG",@progbits,_ZN9rocsolver6v33100L18syevj_small_kernelIffPfEEv14rocblas_esort_14rocblas_evect_13rocblas_fill_iT1_iilT0_S7_PS7_iPiS8_lS9_PT_,comdat
.Lfunc_end4:
	.size	_ZN9rocsolver6v33100L18syevj_small_kernelIffPfEEv14rocblas_esort_14rocblas_evect_13rocblas_fill_iT1_iilT0_S7_PS7_iPiS8_lS9_PT_, .Lfunc_end4-_ZN9rocsolver6v33100L18syevj_small_kernelIffPfEEv14rocblas_esort_14rocblas_evect_13rocblas_fill_iT1_iilT0_S7_PS7_iPiS8_lS9_PT_
                                        ; -- End function
	.set _ZN9rocsolver6v33100L18syevj_small_kernelIffPfEEv14rocblas_esort_14rocblas_evect_13rocblas_fill_iT1_iilT0_S7_PS7_iPiS8_lS9_PT_.num_vgpr, 38
	.set _ZN9rocsolver6v33100L18syevj_small_kernelIffPfEEv14rocblas_esort_14rocblas_evect_13rocblas_fill_iT1_iilT0_S7_PS7_iPiS8_lS9_PT_.num_agpr, 0
	.set _ZN9rocsolver6v33100L18syevj_small_kernelIffPfEEv14rocblas_esort_14rocblas_evect_13rocblas_fill_iT1_iilT0_S7_PS7_iPiS8_lS9_PT_.numbered_sgpr, 61
	.set _ZN9rocsolver6v33100L18syevj_small_kernelIffPfEEv14rocblas_esort_14rocblas_evect_13rocblas_fill_iT1_iilT0_S7_PS7_iPiS8_lS9_PT_.num_named_barrier, 0
	.set _ZN9rocsolver6v33100L18syevj_small_kernelIffPfEEv14rocblas_esort_14rocblas_evect_13rocblas_fill_iT1_iilT0_S7_PS7_iPiS8_lS9_PT_.private_seg_size, 0
	.set _ZN9rocsolver6v33100L18syevj_small_kernelIffPfEEv14rocblas_esort_14rocblas_evect_13rocblas_fill_iT1_iilT0_S7_PS7_iPiS8_lS9_PT_.uses_vcc, 1
	.set _ZN9rocsolver6v33100L18syevj_small_kernelIffPfEEv14rocblas_esort_14rocblas_evect_13rocblas_fill_iT1_iilT0_S7_PS7_iPiS8_lS9_PT_.uses_flat_scratch, 0
	.set _ZN9rocsolver6v33100L18syevj_small_kernelIffPfEEv14rocblas_esort_14rocblas_evect_13rocblas_fill_iT1_iilT0_S7_PS7_iPiS8_lS9_PT_.has_dyn_sized_stack, 0
	.set _ZN9rocsolver6v33100L18syevj_small_kernelIffPfEEv14rocblas_esort_14rocblas_evect_13rocblas_fill_iT1_iilT0_S7_PS7_iPiS8_lS9_PT_.has_recursion, 0
	.set _ZN9rocsolver6v33100L18syevj_small_kernelIffPfEEv14rocblas_esort_14rocblas_evect_13rocblas_fill_iT1_iilT0_S7_PS7_iPiS8_lS9_PT_.has_indirect_call, 0
	.section	.AMDGPU.csdata,"",@progbits
; Kernel info:
; codeLenInByte = 6592
; TotalNumSgprs: 63
; NumVgprs: 38
; ScratchSize: 0
; MemoryBound: 0
; FloatMode: 240
; IeeeMode: 1
; LDSByteSize: 0 bytes/workgroup (compile time only)
; SGPRBlocks: 0
; VGPRBlocks: 2
; NumSGPRsForWavesPerEU: 63
; NumVGPRsForWavesPerEU: 38
; NamedBarCnt: 0
; Occupancy: 16
; WaveLimiterHint : 0
; COMPUTE_PGM_RSRC2:SCRATCH_EN: 0
; COMPUTE_PGM_RSRC2:USER_SGPR: 2
; COMPUTE_PGM_RSRC2:TRAP_HANDLER: 0
; COMPUTE_PGM_RSRC2:TGID_X_EN: 1
; COMPUTE_PGM_RSRC2:TGID_Y_EN: 0
; COMPUTE_PGM_RSRC2:TGID_Z_EN: 1
; COMPUTE_PGM_RSRC2:TIDIG_COMP_CNT: 0
	.section	.text._ZN9rocsolver6v33100L10syevj_initIffPfEEv14rocblas_evect_13rocblas_fill_iiT1_iilT0_PS6_PT_S7_PiSA_SA_,"axG",@progbits,_ZN9rocsolver6v33100L10syevj_initIffPfEEv14rocblas_evect_13rocblas_fill_iiT1_iilT0_PS6_PT_S7_PiSA_SA_,comdat
	.globl	_ZN9rocsolver6v33100L10syevj_initIffPfEEv14rocblas_evect_13rocblas_fill_iiT1_iilT0_PS6_PT_S7_PiSA_SA_ ; -- Begin function _ZN9rocsolver6v33100L10syevj_initIffPfEEv14rocblas_evect_13rocblas_fill_iiT1_iilT0_PS6_PT_S7_PiSA_SA_
	.p2align	8
	.type	_ZN9rocsolver6v33100L10syevj_initIffPfEEv14rocblas_evect_13rocblas_fill_iiT1_iilT0_PS6_PT_S7_PiSA_SA_,@function
_ZN9rocsolver6v33100L10syevj_initIffPfEEv14rocblas_evect_13rocblas_fill_iiT1_iilT0_PS6_PT_S7_PiSA_SA_: ; @_ZN9rocsolver6v33100L10syevj_initIffPfEEv14rocblas_evect_13rocblas_fill_iiT1_iilT0_PS6_PT_S7_PiSA_SA_
; %bb.0:
	s_clause 0x4
	s_load_b32 s2, s[0:1], 0x6c
	s_load_b256 s[4:11], s[0:1], 0x0
	s_load_b64 s[26:27], s[0:1], 0x20
	s_load_b128 s[20:23], s[0:1], 0x50
	s_load_b256 s[12:19], s[0:1], 0x30
	s_bfe_u32 s3, ttmp6, 0x40010
	s_bfe_u32 s24, ttmp6, 0x40004
	s_add_co_i32 s3, s3, 1
	s_getreg_b32 s25, hwreg(HW_REG_IB_STS2, 6, 4)
	s_mul_i32 s3, ttmp7, s3
	s_delay_alu instid0(SALU_CYCLE_1)
	s_add_co_i32 s24, s24, s3
	s_wait_kmcnt 0x0
	s_and_b32 s33, s2, 0xffff
	s_ashr_i32 s29, s10, 31
	s_cmp_eq_u32 s25, 0
	s_mov_b32 s28, s10
	s_cselect_b32 s24, ttmp7, s24
	s_lshl_b64 s[30:31], s[28:29], 2
	s_ashr_i32 s25, s24, 31
	s_mul_i32 s3, s7, s24
	s_mul_u64 s[26:27], s[26:27], s[24:25]
	s_mul_i32 s28, s3, s7
	s_lshl_b64 s[34:35], s[26:27], 2
	s_ashr_i32 s29, s28, 31
	v_cmp_gt_i32_e64 s2, s7, v0
	s_add_nc_u64 s[26:27], s[8:9], s[34:35]
	s_lshl_b64 s[28:29], s[28:29], 2
	s_cmp_eq_u32 s5, 0x79
	s_add_nc_u64 s[26:27], s[26:27], s[30:31]
	s_add_nc_u64 s[14:15], s[14:15], s[28:29]
	s_cbranch_scc1 .LBB5_12
; %bb.1:
	v_mov_b64_e32 v[2:3], 0
	s_and_saveexec_b32 s3, s2
	s_cbranch_execz .LBB5_14
; %bb.2:
	v_dual_mov_b32 v5, 0 :: v_dual_lshlrev_b32 v4, 2, v0
	v_mul_lo_u32 v1, v0, s11
	v_mul_lo_u32 v6, v0, s7
	s_add_nc_u64 s[30:31], s[34:35], s[30:31]
	s_add_co_i32 s5, s7, 1
	s_add_nc_u64 s[8:9], s[8:9], s[30:31]
	v_add_nc_u64_e32 v[8:9], s[14:15], v[4:5]
	v_add_nc_u64_e32 v[10:11], s[8:9], v[4:5]
	s_cmp_lg_u32 s4, 0xd5
	v_dual_mov_b32 v4, 1.0 :: v_dual_mov_b32 v2, 0
	v_dual_mov_b32 v3, 0 :: v_dual_mov_b32 v18, v0
	s_cselect_b32 s10, -1, 0
	s_mov_b32 s29, 0
	s_ashr_i32 s35, s7, 31
	s_mov_b32 s34, s7
	s_ashr_i32 s31, s11, 31
	s_mov_b32 s30, s11
	s_mul_i32 s36, s11, s33
	s_mul_i32 s37, s7, s33
	s_lshl_b32 s28, s33, 2
	s_lshl_b64 s[8:9], s[34:35], 2
	s_lshl_b64 s[30:31], s[30:31], 2
	s_mov_b32 s34, s29
	s_branch .LBB5_5
.LBB5_3:                                ;   in Loop: Header=BB5_5 Depth=1
	s_or_b32 exec_lo, exec_lo, s38
.LBB5_4:                                ;   in Loop: Header=BB5_5 Depth=1
	s_delay_alu instid0(SALU_CYCLE_1) | instskip(SKIP_4) | instid1(VALU_DEP_4)
	s_or_b32 exec_lo, exec_lo, s35
	v_dual_add_nc_u32 v18, s33, v18 :: v_dual_fmac_f32 v2, v19, v19
	v_add_nc_u64_e32 v[8:9], s[28:29], v[8:9]
	v_add_nc_u64_e32 v[10:11], s[28:29], v[10:11]
	v_dual_add_nc_u32 v1, s36, v1 :: v_dual_add_nc_u32 v6, s37, v6
	v_cmp_le_i32_e32 vcc_lo, s7, v18
	s_or_b32 s34, vcc_lo, s34
	s_delay_alu instid0(SALU_CYCLE_1)
	s_and_not1_b32 exec_lo, exec_lo, s34
	s_cbranch_execz .LBB5_13
.LBB5_5:                                ; =>This Loop Header: Depth=1
                                        ;     Child Loop BB5_10 Depth 2
	v_mad_u32 v12, v18, s11, v18
	v_mul_lo_u32 v7, v18, s5
	s_and_not1_b32 vcc_lo, exec_lo, s10
	global_load_b32 v19, v12, s[26:27] scale_offset
	s_wait_loadcnt 0x0
	global_store_b32 v7, v19, s[14:15] scale_offset
	s_cbranch_vccnz .LBB5_7
; %bb.6:                                ;   in Loop: Header=BB5_5 Depth=1
	v_ashrrev_i32_e32 v13, 31, v12
	s_wait_xcnt 0x1
	s_delay_alu instid0(VALU_DEP_1)
	v_lshl_add_u64 v[12:13], v[12:13], 2, s[26:27]
	global_store_b32 v[12:13], v4, off
.LBB5_7:                                ;   in Loop: Header=BB5_5 Depth=1
	s_mov_b32 s35, exec_lo
	s_wait_xcnt 0x0
	v_cmpx_ne_u32_e32 0, v18
	s_cbranch_execz .LBB5_4
; %bb.8:                                ;   in Loop: Header=BB5_5 Depth=1
	v_ashrrev_i32_e32 v7, 31, v6
	v_mov_b64_e32 v[12:13], v[10:11]
	v_mov_b64_e32 v[16:17], v[8:9]
	s_mov_b32 s38, 0
	s_mov_b32 s39, 0
	v_lshl_add_u64 v[14:15], v[6:7], 2, s[14:15]
	s_branch .LBB5_10
.LBB5_9:                                ;   in Loop: Header=BB5_10 Depth=2
	s_wait_xcnt 0x0
	v_mul_f32_e32 v7, v7, v7
	s_add_co_i32 s39, s39, 1
	v_add_nc_u64_e32 v[14:15], 4, v[14:15]
	v_add_nc_u64_e32 v[16:17], s[8:9], v[16:17]
	v_cmp_eq_u32_e32 vcc_lo, s39, v18
	v_add_nc_u64_e32 v[12:13], s[30:31], v[12:13]
	v_fmac_f32_e32 v3, 2.0, v7
	s_or_b32 s38, vcc_lo, s38
	s_delay_alu instid0(SALU_CYCLE_1)
	s_and_not1_b32 exec_lo, exec_lo, s38
	s_cbranch_execz .LBB5_3
.LBB5_10:                               ;   Parent Loop BB5_5 Depth=1
                                        ; =>  This Inner Loop Header: Depth=2
	global_load_b32 v7, v[12:13], off
	s_and_not1_b32 vcc_lo, exec_lo, s10
	s_wait_loadcnt 0x0
	global_store_b32 v[16:17], v7, off
	global_store_b32 v[14:15], v7, off
	s_cbranch_vccnz .LBB5_9
; %bb.11:                               ;   in Loop: Header=BB5_10 Depth=2
	v_add_nc_u32_e32 v20, s39, v1
	global_store_b32 v[12:13], v5, off
	global_store_b32 v20, v5, s[26:27] scale_offset
	s_branch .LBB5_9
.LBB5_12:
                                        ; implicit-def: $vgpr2_vgpr3
	s_branch .LBB5_15
.LBB5_13:
	s_or_b32 exec_lo, exec_lo, s34
.LBB5_14:
	s_delay_alu instid0(SALU_CYCLE_1)
	s_or_b32 exec_lo, exec_lo, s3
	s_cbranch_execnz .LBB5_28
.LBB5_15:
	v_mov_b64_e32 v[2:3], 0
	s_and_saveexec_b32 s3, s2
	s_cbranch_execz .LBB5_27
; %bb.16:
	s_add_co_i32 s2, s7, 1
	s_cmp_lg_u32 s4, 0xd5
	v_mul_lo_u32 v11, v0, s11
	s_cselect_b32 s4, -1, 0
	s_add_co_i32 s5, s7, -1
	v_dual_mov_b32 v12, 0 :: v_dual_mov_b32 v13, 1.0
	v_mad_u32 v1, s11, s5, v0
	v_mad_u32 v10, s7, s5, v0
	;; [unrolled: 1-line block ×3, first 2 shown]
	v_dual_mov_b32 v2, 0 :: v_dual_mov_b32 v3, 0
	v_mov_b32_e32 v14, v0
	s_mul_i32 s8, s7, s33
	s_mul_i32 s10, s11, s33
	s_mov_b32 s9, 0
	s_branch .LBB5_19
.LBB5_17:                               ;   in Loop: Header=BB5_19 Depth=1
	s_or_b32 exec_lo, exec_lo, s29
.LBB5_18:                               ;   in Loop: Header=BB5_19 Depth=1
	s_delay_alu instid0(SALU_CYCLE_1) | instskip(SKIP_3) | instid1(VALU_DEP_3)
	s_or_b32 exec_lo, exec_lo, s28
	v_dual_add_nc_u32 v14, s33, v14 :: v_dual_fmac_f32 v2, v15, v15
	v_dual_add_nc_u32 v1, s33, v1 :: v_dual_add_nc_u32 v10, s33, v10
	v_dual_add_nc_u32 v4, s8, v4 :: v_dual_add_nc_u32 v11, s10, v11
	v_cmp_le_i32_e32 vcc_lo, s7, v14
	s_or_b32 s9, vcc_lo, s9
	s_delay_alu instid0(SALU_CYCLE_1)
	s_and_not1_b32 exec_lo, exec_lo, s9
	s_cbranch_execz .LBB5_26
.LBB5_19:                               ; =>This Loop Header: Depth=1
                                        ;     Child Loop BB5_24 Depth 2
	v_mad_u32 v6, v14, s11, v14
	v_mul_lo_u32 v5, v14, s2
	s_and_not1_b32 vcc_lo, exec_lo, s4
	global_load_b32 v15, v6, s[26:27] scale_offset
	s_wait_loadcnt 0x0
	global_store_b32 v5, v15, s[14:15] scale_offset
	s_cbranch_vccnz .LBB5_21
; %bb.20:                               ;   in Loop: Header=BB5_19 Depth=1
	v_ashrrev_i32_e32 v7, 31, v6
	s_wait_xcnt 0x1
	s_delay_alu instid0(VALU_DEP_1)
	v_lshl_add_u64 v[6:7], v[6:7], 2, s[26:27]
	global_store_b32 v[6:7], v13, off
.LBB5_21:                               ;   in Loop: Header=BB5_19 Depth=1
	s_mov_b32 s28, exec_lo
	s_wait_xcnt 0x0
	v_cmpx_gt_i32_e64 s5, v14
	s_cbranch_execz .LBB5_18
; %bb.22:                               ;   in Loop: Header=BB5_19 Depth=1
	v_dual_mov_b32 v16, v10 :: v_dual_ashrrev_i32 v5, 31, v4
	v_mov_b32_e32 v8, v1
	s_mov_b32 s29, 0
	s_mov_b32 s30, s5
	s_delay_alu instid0(VALU_DEP_2)
	v_lshl_add_u64 v[6:7], v[4:5], 2, s[14:15]
	s_branch .LBB5_24
.LBB5_23:                               ;   in Loop: Header=BB5_24 Depth=2
	s_wait_xcnt 0x0
	v_mul_f32_e32 v5, v5, v5
	s_add_co_i32 s30, s30, -1
	v_add_nc_u64_e32 v[6:7], -4, v[6:7]
	v_cmp_le_i32_e32 vcc_lo, s30, v14
	v_subrev_nc_u32_e32 v8, s11, v8
	v_fmac_f32_e32 v3, 2.0, v5
	v_subrev_nc_u32_e32 v16, s7, v16
	s_or_b32 s29, vcc_lo, s29
	s_delay_alu instid0(SALU_CYCLE_1)
	s_and_not1_b32 exec_lo, exec_lo, s29
	s_cbranch_execz .LBB5_17
.LBB5_24:                               ;   Parent Loop BB5_19 Depth=1
                                        ; =>  This Inner Loop Header: Depth=2
	global_load_b32 v5, v8, s[26:27] scale_offset
	s_and_not1_b32 vcc_lo, exec_lo, s4
	s_wait_loadcnt 0x0
	global_store_b32 v16, v5, s[14:15] scale_offset
	global_store_b32 v[6:7], v5, off
	s_cbranch_vccnz .LBB5_23
; %bb.25:                               ;   in Loop: Header=BB5_24 Depth=2
	v_ashrrev_i32_e32 v9, 31, v8
	s_delay_alu instid0(VALU_DEP_1)
	v_lshl_add_u64 v[18:19], v[8:9], 2, s[26:27]
	v_add_nc_u32_e32 v9, s30, v11
	s_clause 0x1
	global_store_b32 v[18:19], v12, off
	global_store_b32 v9, v12, s[26:27] scale_offset
	s_branch .LBB5_23
.LBB5_26:
	s_or_b32 exec_lo, exec_lo, s9
.LBB5_27:
	s_delay_alu instid0(SALU_CYCLE_1)
	s_or_b32 exec_lo, exec_lo, s3
.LBB5_28:
	v_lshlrev_b32_e32 v4, 2, v0
	s_lshl_b32 s2, s33, 2
	s_mov_b32 s3, exec_lo
	s_delay_alu instid0(VALU_DEP_1)
	v_add_nc_u32_e32 v1, 0, v4
	v_add3_u32 v5, 0, s2, v4
	ds_store_b32 v1, v3
	ds_store_b32 v5, v2
	s_wait_storecnt_dscnt 0x0
	s_barrier_signal -1
	s_barrier_wait -1
	v_cmpx_eq_u32_e32 0, v0
	s_cbranch_execz .LBB5_40
; %bb.29:
	s_min_i32 s4, s7, s33
	s_delay_alu instid0(SALU_CYCLE_1)
	s_cmp_lt_i32 s4, 2
	s_cbranch_scc1 .LBB5_37
; %bb.30:
	s_add_co_i32 s5, s4, -2
	s_add_co_i32 s4, s4, -1
	s_cmp_lt_u32 s5, 7
	s_cbranch_scc1 .LBB5_34
; %bb.31:
	s_and_b32 s5, s4, -8
	s_mov_b32 s8, 0
	s_add_co_i32 s7, 0, 4
.LBB5_32:                               ; =>This Inner Loop Header: Depth=1
	s_delay_alu instid0(SALU_CYCLE_1) | instskip(NEXT) | instid1(SALU_CYCLE_1)
	s_add_co_i32 s9, s7, s2
	v_dual_mov_b32 v1, s7 :: v_dual_mov_b32 v5, s9
	s_mov_b32 s9, s8
	s_add_co_i32 s8, s8, 8
	s_add_co_i32 s7, s7, 32
	ds_load_2addr_b32 v[6:7], v1 offset1:1
	ds_load_2addr_b32 v[8:9], v5 offset1:1
	ds_load_2addr_b32 v[10:11], v1 offset0:2 offset1:3
	ds_load_2addr_b32 v[12:13], v5 offset0:2 offset1:3
	;; [unrolled: 1-line block ×6, first 2 shown]
	s_cmp_lg_u32 s5, s8
	s_wait_dscnt 0x6
	v_dual_mov_b32 v23, v6 :: v_dual_mov_b32 v22, v8
	s_wait_dscnt 0x5
	v_dual_mov_b32 v6, v9 :: v_dual_mov_b32 v9, v10
	;; [unrolled: 2-line block ×3, first 2 shown]
	v_pk_add_f32 v[2:3], v[2:3], v[22:23]
	s_delay_alu instid0(VALU_DEP_1) | instskip(SKIP_3) | instid1(VALU_DEP_3)
	v_pk_add_f32 v[2:3], v[2:3], v[6:7]
	s_wait_dscnt 0x1
	v_dual_mov_b32 v7, v14 :: v_dual_mov_b32 v6, v18
	v_mov_b32_e32 v14, v19
	v_pk_add_f32 v[2:3], v[2:3], v[8:9]
	s_delay_alu instid0(VALU_DEP_1) | instskip(NEXT) | instid1(VALU_DEP_1)
	v_pk_add_f32 v[2:3], v[2:3], v[10:11]
	v_pk_add_f32 v[2:3], v[2:3], v[6:7]
	s_wait_dscnt 0x0
	v_dual_mov_b32 v7, v16 :: v_dual_mov_b32 v6, v20
	v_mov_b32_e32 v16, v21
	s_delay_alu instid0(VALU_DEP_3) | instskip(NEXT) | instid1(VALU_DEP_1)
	v_pk_add_f32 v[2:3], v[2:3], v[14:15]
	v_pk_add_f32 v[2:3], v[2:3], v[6:7]
	s_delay_alu instid0(VALU_DEP_1)
	v_pk_add_f32 v[2:3], v[2:3], v[16:17]
	s_cbranch_scc1 .LBB5_32
; %bb.33:
	s_add_co_i32 s5, s9, 9
	s_and_b32 s4, s4, 7
	s_delay_alu instid0(SALU_CYCLE_1)
	s_cmp_eq_u32 s4, 0
	s_cbranch_scc0 .LBB5_35
	s_branch .LBB5_37
.LBB5_34:
	s_mov_b32 s5, 1
	s_and_b32 s4, s4, 7
	s_delay_alu instid0(SALU_CYCLE_1)
	s_cmp_eq_u32 s4, 0
	s_cbranch_scc1 .LBB5_37
.LBB5_35:
	s_lshl_b32 s5, s5, 2
	s_delay_alu instid0(SALU_CYCLE_1)
	s_add_co_i32 s5, s5, 0
.LBB5_36:                               ; =>This Inner Loop Header: Depth=1
	s_delay_alu instid0(SALU_CYCLE_1) | instskip(NEXT) | instid1(SALU_CYCLE_1)
	s_add_co_i32 s7, s5, s2
	v_dual_mov_b32 v1, s5 :: v_dual_mov_b32 v5, s7
	s_add_co_i32 s4, s4, -1
	s_add_co_i32 s5, s5, 4
	s_cmp_lg_u32 s4, 0
	ds_load_b32 v7, v1
	ds_load_b32 v6, v5
	s_wait_dscnt 0x0
	v_pk_add_f32 v[2:3], v[2:3], v[6:7]
	s_cbranch_scc1 .LBB5_36
.LBB5_37:
	s_load_b32 s0, s[0:1], 0x28
	s_delay_alu instid0(VALU_DEP_1) | instskip(SKIP_1) | instid1(VALU_DEP_1)
	v_add_f32_e32 v1, v3, v2
	s_wait_kmcnt 0x0
	v_dual_mul_f32 v2, s0, v1 :: v_dual_mov_b32 v1, 0
	s_delay_alu instid0(VALU_DEP_1) | instskip(SKIP_1) | instid1(SALU_CYCLE_1)
	v_mul_f32_e32 v2, s0, v2
	s_lshl_b64 s[0:1], s[24:25], 2
	s_add_nc_u64 s[4:5], s[16:17], s[0:1]
	s_add_nc_u64 s[8:9], s[12:13], s[0:1]
	s_clause 0x2
	global_store_b32 v1, v2, s[4:5]
	global_store_b32 v1, v3, s[8:9]
	global_load_b32 v2, v1, s[4:5]
	s_wait_loadcnt 0x0
	v_cmp_lt_f32_e32 vcc_lo, v3, v2
	s_wait_xcnt 0x0
	s_and_b32 exec_lo, exec_lo, vcc_lo
	s_cbranch_execz .LBB5_40
; %bb.38:
	s_mov_b32 s4, exec_lo
	v_mov_b32_e32 v3, 1
	v_mbcnt_lo_u32_b32 v2, s4, 0
	s_add_nc_u64 s[0:1], s[22:23], s[0:1]
	global_store_b32 v1, v3, s[0:1] offset:4
	v_cmp_eq_u32_e32 vcc_lo, 0, v2
	s_wait_xcnt 0x0
	s_and_b32 s0, exec_lo, vcc_lo
	s_delay_alu instid0(SALU_CYCLE_1)
	s_mov_b32 exec_lo, s0
	s_cbranch_execz .LBB5_40
; %bb.39:
	s_bcnt1_i32_b32 s0, s4
	s_delay_alu instid0(SALU_CYCLE_1)
	v_dual_mov_b32 v1, 0 :: v_dual_mov_b32 v2, s0
	global_atomic_add_u32 v1, v2, s[22:23] scope:SCOPE_DEV
.LBB5_40:
	s_wait_xcnt 0x0
	s_or_b32 exec_lo, exec_lo, s3
	s_cmp_eq_u32 s24, 0
	v_cmp_gt_i32_e32 vcc_lo, s6, v0
	s_cselect_b32 s0, -1, 0
	s_cmp_lg_u64 s[18:19], 0
	s_cselect_b32 s1, -1, 0
	s_cmp_lg_u64 s[20:21], 0
	s_cselect_b32 s3, -1, 0
	s_delay_alu instid0(SALU_CYCLE_1) | instskip(SKIP_2) | instid1(SALU_CYCLE_1)
	s_and_b32 s1, s1, s3
	s_mov_b32 s3, 0
	s_and_b32 s0, s1, s0
	s_and_b32 s0, s0, vcc_lo
	s_delay_alu instid0(SALU_CYCLE_1)
	s_and_saveexec_b32 s1, s0
	s_cbranch_execz .LBB5_43
; %bb.41:
	v_dual_lshlrev_b32 v1, 1, v0 :: v_dual_mov_b32 v5, 0
	s_lshl_b32 s0, s33, 1
	s_mov_b32 s1, s3
.LBB5_42:                               ; =>This Inner Loop Header: Depth=1
	s_delay_alu instid0(VALU_DEP_1) | instskip(NEXT) | instid1(VALU_DEP_2)
	v_dual_add_nc_u32 v0, s33, v0 :: v_dual_add_nc_u32 v8, 1, v1
	v_add_nc_u64_e32 v[2:3], s[18:19], v[4:5]
	v_add_nc_u64_e32 v[6:7], s[20:21], v[4:5]
	;; [unrolled: 1-line block ×3, first 2 shown]
	s_delay_alu instid0(VALU_DEP_4)
	v_cmp_le_i32_e32 vcc_lo, s6, v0
	global_store_b32 v[2:3], v1, off
	s_wait_xcnt 0x0
	v_add_nc_u32_e32 v1, s0, v1
	s_or_b32 s1, vcc_lo, s1
	global_store_b32 v[6:7], v8, off
	s_wait_xcnt 0x0
	s_and_not1_b32 exec_lo, exec_lo, s1
	s_cbranch_execnz .LBB5_42
.LBB5_43:
	s_endpgm
	.section	.rodata,"a",@progbits
	.p2align	6, 0x0
	.amdhsa_kernel _ZN9rocsolver6v33100L10syevj_initIffPfEEv14rocblas_evect_13rocblas_fill_iiT1_iilT0_PS6_PT_S7_PiSA_SA_
		.amdhsa_group_segment_fixed_size 0
		.amdhsa_private_segment_fixed_size 0
		.amdhsa_kernarg_size 352
		.amdhsa_user_sgpr_count 2
		.amdhsa_user_sgpr_dispatch_ptr 0
		.amdhsa_user_sgpr_queue_ptr 0
		.amdhsa_user_sgpr_kernarg_segment_ptr 1
		.amdhsa_user_sgpr_dispatch_id 0
		.amdhsa_user_sgpr_kernarg_preload_length 0
		.amdhsa_user_sgpr_kernarg_preload_offset 0
		.amdhsa_user_sgpr_private_segment_size 0
		.amdhsa_wavefront_size32 1
		.amdhsa_uses_dynamic_stack 0
		.amdhsa_enable_private_segment 0
		.amdhsa_system_sgpr_workgroup_id_x 1
		.amdhsa_system_sgpr_workgroup_id_y 1
		.amdhsa_system_sgpr_workgroup_id_z 0
		.amdhsa_system_sgpr_workgroup_info 0
		.amdhsa_system_vgpr_workitem_id 0
		.amdhsa_next_free_vgpr 24
		.amdhsa_next_free_sgpr 40
		.amdhsa_named_barrier_count 0
		.amdhsa_reserve_vcc 1
		.amdhsa_float_round_mode_32 0
		.amdhsa_float_round_mode_16_64 0
		.amdhsa_float_denorm_mode_32 3
		.amdhsa_float_denorm_mode_16_64 3
		.amdhsa_fp16_overflow 0
		.amdhsa_memory_ordered 1
		.amdhsa_forward_progress 1
		.amdhsa_inst_pref_size 16
		.amdhsa_round_robin_scheduling 0
		.amdhsa_exception_fp_ieee_invalid_op 0
		.amdhsa_exception_fp_denorm_src 0
		.amdhsa_exception_fp_ieee_div_zero 0
		.amdhsa_exception_fp_ieee_overflow 0
		.amdhsa_exception_fp_ieee_underflow 0
		.amdhsa_exception_fp_ieee_inexact 0
		.amdhsa_exception_int_div_zero 0
	.end_amdhsa_kernel
	.section	.text._ZN9rocsolver6v33100L10syevj_initIffPfEEv14rocblas_evect_13rocblas_fill_iiT1_iilT0_PS6_PT_S7_PiSA_SA_,"axG",@progbits,_ZN9rocsolver6v33100L10syevj_initIffPfEEv14rocblas_evect_13rocblas_fill_iiT1_iilT0_PS6_PT_S7_PiSA_SA_,comdat
.Lfunc_end5:
	.size	_ZN9rocsolver6v33100L10syevj_initIffPfEEv14rocblas_evect_13rocblas_fill_iiT1_iilT0_PS6_PT_S7_PiSA_SA_, .Lfunc_end5-_ZN9rocsolver6v33100L10syevj_initIffPfEEv14rocblas_evect_13rocblas_fill_iiT1_iilT0_PS6_PT_S7_PiSA_SA_
                                        ; -- End function
	.set _ZN9rocsolver6v33100L10syevj_initIffPfEEv14rocblas_evect_13rocblas_fill_iiT1_iilT0_PS6_PT_S7_PiSA_SA_.num_vgpr, 24
	.set _ZN9rocsolver6v33100L10syevj_initIffPfEEv14rocblas_evect_13rocblas_fill_iiT1_iilT0_PS6_PT_S7_PiSA_SA_.num_agpr, 0
	.set _ZN9rocsolver6v33100L10syevj_initIffPfEEv14rocblas_evect_13rocblas_fill_iiT1_iilT0_PS6_PT_S7_PiSA_SA_.numbered_sgpr, 40
	.set _ZN9rocsolver6v33100L10syevj_initIffPfEEv14rocblas_evect_13rocblas_fill_iiT1_iilT0_PS6_PT_S7_PiSA_SA_.num_named_barrier, 0
	.set _ZN9rocsolver6v33100L10syevj_initIffPfEEv14rocblas_evect_13rocblas_fill_iiT1_iilT0_PS6_PT_S7_PiSA_SA_.private_seg_size, 0
	.set _ZN9rocsolver6v33100L10syevj_initIffPfEEv14rocblas_evect_13rocblas_fill_iiT1_iilT0_PS6_PT_S7_PiSA_SA_.uses_vcc, 1
	.set _ZN9rocsolver6v33100L10syevj_initIffPfEEv14rocblas_evect_13rocblas_fill_iiT1_iilT0_PS6_PT_S7_PiSA_SA_.uses_flat_scratch, 0
	.set _ZN9rocsolver6v33100L10syevj_initIffPfEEv14rocblas_evect_13rocblas_fill_iiT1_iilT0_PS6_PT_S7_PiSA_SA_.has_dyn_sized_stack, 0
	.set _ZN9rocsolver6v33100L10syevj_initIffPfEEv14rocblas_evect_13rocblas_fill_iiT1_iilT0_PS6_PT_S7_PiSA_SA_.has_recursion, 0
	.set _ZN9rocsolver6v33100L10syevj_initIffPfEEv14rocblas_evect_13rocblas_fill_iiT1_iilT0_PS6_PT_S7_PiSA_SA_.has_indirect_call, 0
	.section	.AMDGPU.csdata,"",@progbits
; Kernel info:
; codeLenInByte = 1972
; TotalNumSgprs: 42
; NumVgprs: 24
; ScratchSize: 0
; MemoryBound: 0
; FloatMode: 240
; IeeeMode: 1
; LDSByteSize: 0 bytes/workgroup (compile time only)
; SGPRBlocks: 0
; VGPRBlocks: 1
; NumSGPRsForWavesPerEU: 42
; NumVGPRsForWavesPerEU: 24
; NamedBarCnt: 0
; Occupancy: 16
; WaveLimiterHint : 0
; COMPUTE_PGM_RSRC2:SCRATCH_EN: 0
; COMPUTE_PGM_RSRC2:USER_SGPR: 2
; COMPUTE_PGM_RSRC2:TRAP_HANDLER: 0
; COMPUTE_PGM_RSRC2:TGID_X_EN: 1
; COMPUTE_PGM_RSRC2:TGID_Y_EN: 1
; COMPUTE_PGM_RSRC2:TGID_Z_EN: 0
; COMPUTE_PGM_RSRC2:TIDIG_COMP_CNT: 0
	.section	.text._ZN9rocsolver6v33100L17syevj_diag_kernelIffPfEEviT1_iilT0_PT_Pi,"axG",@progbits,_ZN9rocsolver6v33100L17syevj_diag_kernelIffPfEEviT1_iilT0_PT_Pi,comdat
	.globl	_ZN9rocsolver6v33100L17syevj_diag_kernelIffPfEEviT1_iilT0_PT_Pi ; -- Begin function _ZN9rocsolver6v33100L17syevj_diag_kernelIffPfEEviT1_iilT0_PT_Pi
	.p2align	8
	.type	_ZN9rocsolver6v33100L17syevj_diag_kernelIffPfEEviT1_iilT0_PT_Pi,@function
_ZN9rocsolver6v33100L17syevj_diag_kernelIffPfEEviT1_iilT0_PT_Pi: ; @_ZN9rocsolver6v33100L17syevj_diag_kernelIffPfEEviT1_iilT0_PT_Pi
; %bb.0:
	s_load_b128 s[4:7], s[0:1], 0x28
	s_bfe_u32 s2, ttmp6, 0x40014
	s_lshr_b32 s3, ttmp7, 16
	s_add_co_i32 s2, s2, 1
	s_bfe_u32 s9, ttmp6, 0x40008
	s_mul_i32 s8, s3, s2
	s_getreg_b32 s2, hwreg(HW_REG_IB_STS2, 6, 4)
	s_add_co_i32 s9, s9, s8
	s_cmp_eq_u32 s2, 0
	s_mov_b32 s15, 0
	s_cselect_b32 s14, s3, s9
	s_wait_kmcnt 0x0
	s_load_b32 s3, s[6:7], s14 offset:0x4 scale_offset
	s_wait_kmcnt 0x0
	s_cmp_lg_u32 s3, 0
	s_cbranch_scc1 .LBB6_48
; %bb.1:
	s_clause 0x1
	s_load_b32 s11, s[0:1], 0x0
	s_load_b32 s3, s[0:1], 0x44
	s_bfe_u32 s6, ttmp6, 0x4000c
	s_and_b32 s7, ttmp6, 15
	s_add_co_i32 s6, s6, 1
	v_and_b32_e32 v4, 0x3ff, v0
	s_mul_i32 s6, ttmp9, s6
	v_bfe_u32 v1, v0, 10, 10
	s_add_co_i32 s7, s7, s6
	s_cmp_eq_u32 s2, 0
	s_cselect_b32 s2, ttmp9, s7
	s_delay_alu instid0(VALU_DEP_1)
	v_max_i32_e32 v0, v4, v1
	s_wait_kmcnt 0x0
	s_add_co_i32 s6, s11, -1
	s_and_b32 s3, s3, 0xffff
	s_lshr_b32 s7, s6, 31
	s_lshl_b32 s19, s3, 1
	s_add_co_i32 s6, s6, s7
	s_mul_i32 s16, s19, s2
	s_and_b32 s3, s6, -2
	s_mov_b32 s6, exec_lo
	s_sub_co_i32 s3, s3, s16
	s_delay_alu instid0(SALU_CYCLE_1) | instskip(NEXT) | instid1(SALU_CYCLE_1)
	s_add_co_i32 s3, s3, 2
	s_min_i32 s3, s19, s3
	s_delay_alu instid0(SALU_CYCLE_1) | instskip(NEXT) | instid1(SALU_CYCLE_1)
	s_ashr_i32 s20, s3, 1
	v_cmpx_gt_i32_e64 s20, v0
	s_cbranch_execz .LBB6_48
; %bb.2:
	s_cmp_eq_u64 s[4:5], 0
	s_mov_b64 s[12:13], 0
	s_cbranch_scc1 .LBB6_4
; %bb.3:
	s_add_nc_u64 s[6:7], s[0:1], 56
	s_load_b32 s6, s[6:7], 0x0
	s_wait_kmcnt 0x0
	s_mul_i32 s6, s6, s14
	s_delay_alu instid0(SALU_CYCLE_1) | instskip(NEXT) | instid1(SALU_CYCLE_1)
	s_add_co_i32 s6, s6, s2
	s_mul_i32 s2, s19, s6
	s_delay_alu instid0(SALU_CYCLE_1) | instskip(NEXT) | instid1(SALU_CYCLE_1)
	s_mul_i32 s6, s2, s19
	s_ashr_i32 s7, s6, 31
	s_delay_alu instid0(SALU_CYCLE_1) | instskip(NEXT) | instid1(SALU_CYCLE_1)
	s_lshl_b64 s[6:7], s[6:7], 2
	s_add_nc_u64 s[12:13], s[4:5], s[6:7]
.LBB6_4:
	v_dual_lshlrev_b32 v2, 1, v4 :: v_dual_lshlrev_b32 v0, 1, v1
	s_cmp_lg_u64 s[12:13], 0
	s_cselect_b32 s17, -1, 0
	s_cmp_eq_u64 s[12:13], 0
	s_cbranch_scc1 .LBB6_6
; %bb.5:
	v_cmp_eq_u32_e32 vcc_lo, v2, v0
	v_mad_u32_u24 v3, s19, v0, v2
	v_mov_b32_e32 v6, 0
	v_cndmask_b32_e64 v5, 0, 1.0, vcc_lo
	s_delay_alu instid0(VALU_DEP_3)
	v_add_nc_u32_e32 v7, s19, v3
	s_clause 0x3
	global_store_b32 v3, v5, s[12:13] scale_offset
	global_store_b32 v7, v6, s[12:13] scale_offset
	global_store_b32 v3, v6, s[12:13] offset:4 scale_offset
	global_store_b32 v7, v5, s[12:13] offset:4 scale_offset
.LBB6_6:
	s_wait_xcnt 0x0
	v_add_nc_u32_e32 v5, s16, v2
	s_lshl_b32 s4, s20, 2
	v_cmp_eq_u32_e64 s2, 0, v1
	s_add_co_i32 s22, s4, 0
	v_dual_lshlrev_b32 v1, 2, v4 :: v_dual_bitop2_b32 v6, 1, v5 bitop3:0x54
	s_add_co_i32 s21, s22, s4
	s_delay_alu instid0(SALU_CYCLE_1)
	s_add_co_i32 s18, s21, s4
	s_and_saveexec_b32 s4, s2
	s_cbranch_execz .LBB6_8
; %bb.7:
	v_dual_add_nc_u32 v2, s21, v1 :: v_dual_add_nc_u32 v3, s18, v1
	ds_store_b32 v2, v5
	ds_store_b32 v3, v6
.LBB6_8:
	s_or_b32 exec_lo, exec_lo, s4
	s_cmp_lt_i32 s3, 2
	s_cbranch_scc1 .LBB6_48
; %bb.9:
	s_clause 0x1
	s_load_b96 s[8:10], s[0:1], 0x18
	s_load_b128 s[4:7], s[0:1], 0x8
	s_wait_xcnt 0x0
	s_mov_b32 s0, 0x800000
	v_mul_u32_u24_e32 v10, s19, v0
	v_mad_u32_u24 v11, s19, v0, s19
	s_add_co_i32 s20, s20, -1
	s_add_co_i32 s19, s18, -4
	v_cmp_eq_u32_e64 s1, s20, v4
                                        ; implicit-def: $vgpr20
                                        ; implicit-def: $vgpr21
	v_dual_add_nc_u32 v9, s22, v1 :: v_dual_add_nc_u32 v12, s21, v1
	v_mov_b32_e32 v19, 0
	s_wait_kmcnt 0x0
	v_div_scale_f32 v2, null, s10, s10, 0x800000
	v_div_scale_f32 v17, vcc_lo, s0, s10, s0
	s_mul_u64 s[8:9], s[8:9], s[14:15]
	v_rcp_f32_e32 v3, v2
	v_nop
	v_xor_b32_e32 v2, 0x80000000, v2
	s_ashr_i32 s21, s6, 31
	s_mov_b32 s20, s6
	s_lshl_b64 s[8:9], s[8:9], 2
	s_lshl_b64 s[14:15], s[20:21], 2
	s_add_nc_u64 s[4:5], s[4:5], s[8:9]
	v_fma_f32 v8, v2, v3, 1.0
	v_add_nc_u32_e32 v7, s16, v0
	s_add_nc_u64 s[8:9], s[4:5], s[14:15]
	s_add_co_i32 s5, s7, 1
	s_add_co_i32 s6, s3, -1
	v_dual_fmac_f32 v3, v8, v3 :: v_dual_add_nc_u32 v13, s18, v1
	v_dual_add_nc_u32 v8, 0, v1 :: v_dual_bitop2_b32 v1, 1, v7 bitop3:0x54
	s_delay_alu instid0(VALU_DEP_2) | instskip(NEXT) | instid1(VALU_DEP_2)
	v_dual_mul_f32 v0, v17, v3 :: v_dual_add_nc_u32 v16, 4, v13
	v_cmp_gt_i32_e64 s0, s11, v1
                                        ; implicit-def: $vgpr1
	s_delay_alu instid0(VALU_DEP_2) | instskip(NEXT) | instid1(VALU_DEP_1)
	v_fma_f32 v15, v2, v0, v17
	v_dual_add_nc_u32 v14, -4, v12 :: v_dual_fmac_f32 v0, v15, v3
	s_delay_alu instid0(VALU_DEP_4) | instskip(SKIP_1) | instid1(VALU_DEP_3)
	v_cndmask_b32_e64 v15, v16, s19, s1
	v_mul_lo_u32 v16, v7, s7
	v_fmac_f32_e32 v17, v2, v0
	s_delay_alu instid0(VALU_DEP_1) | instskip(NEXT) | instid1(VALU_DEP_3)
	v_div_fmas_f32 v0, v17, v3, v0
	v_add_nc_u32_e32 v17, s7, v16
	s_delay_alu instid0(VALU_DEP_2)
	v_div_fixup_f32 v18, v0, s10, 0x800000
	s_branch .LBB6_11
.LBB6_10:                               ;   in Loop: Header=BB6_11 Depth=1
	s_or_b32 exec_lo, exec_lo, s1
	s_add_co_i32 s6, s6, -1
	s_delay_alu instid0(SALU_CYCLE_1)
	s_cmp_lg_u32 s6, 0
	s_cbranch_scc0 .LBB6_48
.LBB6_11:                               ; =>This Inner Loop Header: Depth=1
	v_cmp_gt_i32_e64 s1, s11, v5
	v_cmp_gt_i32_e64 s3, s11, v6
	s_and_b32 s4, s2, s1
	s_delay_alu instid0(SALU_CYCLE_1) | instskip(NEXT) | instid1(SALU_CYCLE_1)
	s_and_b32 s10, s4, s3
	s_and_saveexec_b32 s14, s10
	s_cbranch_execz .LBB6_27
; %bb.12:                               ;   in Loop: Header=BB6_11 Depth=1
	v_mul_lo_u32 v2, v6, s7
	s_delay_alu instid0(VALU_DEP_1) | instskip(SKIP_3) | instid1(VALU_DEP_1)
	v_dual_mov_b32 v21, 1.0 :: v_dual_add_nc_u32 v0, v5, v2
	global_load_b32 v0, v0, s[8:9] scale_offset
	s_wait_loadcnt 0x0
	v_mul_f32_e32 v1, v0, v0
	v_cmp_nlt_f32_e32 vcc_lo, v1, v18
	v_mov_b32_e32 v1, 0
	s_wait_xcnt 0x0
	s_and_saveexec_b32 s15, vcc_lo
	s_cbranch_execz .LBB6_26
; %bb.13:                               ;   in Loop: Header=BB6_11 Depth=1
	v_mul_lo_u32 v1, v5, s5
	v_add_nc_u32_e32 v2, v2, v6
	s_mov_b32 s4, exec_lo
	s_clause 0x1
	global_load_b32 v3, v2, s[8:9] scale_offset
	global_load_b32 v21, v1, s[8:9] scale_offset
	s_wait_xcnt 0x0
	v_add_f32_e64 v1, |v0|, |v0|
	s_wait_loadcnt 0x0
	v_sub_f32_e32 v2, v3, v21
	s_delay_alu instid0(VALU_DEP_1) | instskip(NEXT) | instid1(VALU_DEP_1)
	v_max_num_f32_e64 v3, |v2|, |v1|
	v_cvt_f64_f32_e32 v[22:23], v3
	s_delay_alu instid0(VALU_DEP_1) | instskip(NEXT) | instid1(VALU_DEP_1)
	v_frexp_exp_i32_f64_e32 v21, v[22:23]
	v_sub_nc_u32_e32 v22, 0, v21
	s_delay_alu instid0(VALU_DEP_1) | instskip(SKIP_1) | instid1(VALU_DEP_2)
	v_ldexp_f32 v23, |v1|, v22
	v_ldexp_f32 v22, |v2|, v22
	v_mul_f32_e32 v23, v23, v23
	s_delay_alu instid0(VALU_DEP_1) | instskip(NEXT) | instid1(VALU_DEP_1)
	v_fmac_f32_e32 v23, v22, v22
                                        ; implicit-def: $vgpr22
	v_sqrt_f32_e32 v23, v23
	v_cmpx_ngt_f32_e32 0, v2
	s_xor_b32 s4, exec_lo, s4
; %bb.14:                               ;   in Loop: Header=BB6_11 Depth=1
	s_delay_alu instid0(TRANS32_DEP_1) | instskip(SKIP_1) | instid1(VALU_DEP_2)
	v_ldexp_f32 v21, v23, v21
	v_cmp_neq_f32_e32 vcc_lo, 0x7f800000, v3
                                        ; implicit-def: $vgpr23
                                        ; implicit-def: $vgpr3
	v_cndmask_b32_e32 v22, 0x7f800000, v21, vcc_lo
                                        ; implicit-def: $vgpr21
; %bb.15:                               ;   in Loop: Header=BB6_11 Depth=1
	s_and_not1_saveexec_b32 s4, s4
; %bb.16:                               ;   in Loop: Header=BB6_11 Depth=1
	v_ldexp_f32 v21, -v23, v21
	v_cmp_neq_f32_e32 vcc_lo, 0x7f800000, v3
	s_delay_alu instid0(VALU_DEP_2)
	v_cndmask_b32_e32 v22, 0xff800000, v21, vcc_lo
; %bb.17:                               ;   in Loop: Header=BB6_11 Depth=1
	s_or_b32 exec_lo, exec_lo, s4
	v_dual_mov_b32 v3, 0 :: v_dual_mov_b32 v21, 1.0
	s_mov_b32 s19, exec_lo
	v_cmpx_neq_f32_e32 0, v1
	s_cbranch_execz .LBB6_25
; %bb.18:                               ;   in Loop: Header=BB6_11 Depth=1
	v_dual_add_f32 v2, v2, v22 :: v_dual_mov_b32 v21, 0
	v_mov_b32_e32 v3, 1.0
	s_mov_b32 s20, exec_lo
	s_delay_alu instid0(VALU_DEP_2)
	v_cmpx_neq_f32_e32 0, v2
	s_cbranch_execz .LBB6_24
; %bb.19:                               ;   in Loop: Header=BB6_11 Depth=1
	s_mov_b32 s21, exec_lo
                                        ; implicit-def: $vgpr21
                                        ; implicit-def: $vgpr3
	v_cmpx_ngt_f32_e64 |v1|, |v2|
	s_xor_b32 s21, exec_lo, s21
	s_cbranch_execz .LBB6_21
; %bb.20:                               ;   in Loop: Header=BB6_11 Depth=1
	v_div_scale_f32 v3, null, v2, v2, -v1
	v_div_scale_f32 v23, vcc_lo, -v1, v2, -v1
	s_delay_alu instid0(VALU_DEP_2) | instskip(SKIP_1) | instid1(TRANS32_DEP_1)
	v_rcp_f32_e32 v21, v3
	v_nop
	v_fma_f32 v22, -v3, v21, 1.0
	s_delay_alu instid0(VALU_DEP_1) | instskip(NEXT) | instid1(VALU_DEP_1)
	v_fmac_f32_e32 v21, v22, v21
	v_mul_f32_e32 v22, v23, v21
	s_delay_alu instid0(VALU_DEP_1) | instskip(NEXT) | instid1(VALU_DEP_1)
	v_fma_f32 v24, -v3, v22, v23
	v_fmac_f32_e32 v22, v24, v21
	s_delay_alu instid0(VALU_DEP_1) | instskip(NEXT) | instid1(VALU_DEP_1)
	v_fma_f32 v3, -v3, v22, v23
	v_div_fmas_f32 v3, v3, v21, v22
	s_delay_alu instid0(VALU_DEP_1) | instskip(NEXT) | instid1(VALU_DEP_1)
	v_div_fixup_f32 v1, v3, v2, -v1
	v_fma_f32 v2, v1, v1, 1.0
	s_delay_alu instid0(VALU_DEP_1) | instskip(SKIP_1) | instid1(VALU_DEP_2)
	v_mul_f32_e32 v3, 0x4f800000, v2
	v_cmp_gt_f32_e32 vcc_lo, 0xf800000, v2
	v_cndmask_b32_e32 v2, v2, v3, vcc_lo
	s_delay_alu instid0(VALU_DEP_1) | instskip(SKIP_1) | instid1(TRANS32_DEP_1)
	v_sqrt_f32_e32 v3, v2
	v_nop
	v_dual_add_nc_u32 v21, -1, v3 :: v_dual_add_nc_u32 v22, 1, v3
	s_delay_alu instid0(VALU_DEP_1) | instskip(NEXT) | instid1(VALU_DEP_1)
	v_dual_fma_f32 v23, -v21, v3, v2 :: v_dual_fma_f32 v24, -v22, v3, v2
	v_cmp_ge_f32_e64 s4, 0, v23
	s_delay_alu instid0(VALU_DEP_1) | instskip(NEXT) | instid1(VALU_DEP_3)
	v_cndmask_b32_e64 v3, v3, v21, s4
	v_cmp_lt_f32_e64 s4, 0, v24
	s_delay_alu instid0(VALU_DEP_1) | instskip(NEXT) | instid1(VALU_DEP_1)
	v_cndmask_b32_e64 v3, v3, v22, s4
	v_mul_f32_e32 v21, 0x37800000, v3
	s_delay_alu instid0(VALU_DEP_1) | instskip(SKIP_1) | instid1(VALU_DEP_2)
	v_cndmask_b32_e32 v3, v3, v21, vcc_lo
	v_cmp_class_f32_e64 vcc_lo, v2, 0x260
	v_cndmask_b32_e32 v2, v3, v2, vcc_lo
	s_delay_alu instid0(VALU_DEP_1) | instskip(NEXT) | instid1(VALU_DEP_1)
	v_div_scale_f32 v3, null, v2, v2, 1.0
	v_rcp_f32_e32 v21, v3
	v_nop
	s_delay_alu instid0(TRANS32_DEP_1) | instskip(NEXT) | instid1(VALU_DEP_1)
	v_fma_f32 v22, -v3, v21, 1.0
	v_fmac_f32_e32 v21, v22, v21
	v_div_scale_f32 v22, vcc_lo, 1.0, v2, 1.0
	s_delay_alu instid0(VALU_DEP_1) | instskip(NEXT) | instid1(VALU_DEP_1)
	v_mul_f32_e32 v23, v22, v21
	v_fma_f32 v24, -v3, v23, v22
	s_delay_alu instid0(VALU_DEP_1) | instskip(NEXT) | instid1(VALU_DEP_1)
	v_fmac_f32_e32 v23, v24, v21
	v_fma_f32 v3, -v3, v23, v22
	s_delay_alu instid0(VALU_DEP_1) | instskip(NEXT) | instid1(VALU_DEP_1)
	v_div_fmas_f32 v3, v3, v21, v23
	v_div_fixup_f32 v21, v3, v2, 1.0
                                        ; implicit-def: $vgpr2
	s_delay_alu instid0(VALU_DEP_1)
	v_mul_f32_e32 v3, v1, v21
                                        ; implicit-def: $vgpr1
.LBB6_21:                               ;   in Loop: Header=BB6_11 Depth=1
	s_and_not1_saveexec_b32 s21, s21
	s_cbranch_execz .LBB6_23
; %bb.22:                               ;   in Loop: Header=BB6_11 Depth=1
	v_div_scale_f32 v3, null, v1, v1, -v2
	v_div_scale_f32 v23, vcc_lo, -v2, v1, -v2
	s_delay_alu instid0(VALU_DEP_2) | instskip(SKIP_1) | instid1(TRANS32_DEP_1)
	v_rcp_f32_e32 v21, v3
	v_nop
	v_fma_f32 v22, -v3, v21, 1.0
	s_delay_alu instid0(VALU_DEP_1) | instskip(NEXT) | instid1(VALU_DEP_1)
	v_fmac_f32_e32 v21, v22, v21
	v_mul_f32_e32 v22, v23, v21
	s_delay_alu instid0(VALU_DEP_1) | instskip(NEXT) | instid1(VALU_DEP_1)
	v_fma_f32 v24, -v3, v22, v23
	v_fmac_f32_e32 v22, v24, v21
	s_delay_alu instid0(VALU_DEP_1) | instskip(NEXT) | instid1(VALU_DEP_1)
	v_fma_f32 v3, -v3, v22, v23
	v_div_fmas_f32 v3, v3, v21, v22
	s_delay_alu instid0(VALU_DEP_1) | instskip(NEXT) | instid1(VALU_DEP_1)
	v_div_fixup_f32 v1, v3, v1, -v2
	v_fma_f32 v2, v1, v1, 1.0
	s_delay_alu instid0(VALU_DEP_1) | instskip(SKIP_1) | instid1(VALU_DEP_2)
	v_mul_f32_e32 v3, 0x4f800000, v2
	v_cmp_gt_f32_e32 vcc_lo, 0xf800000, v2
	v_cndmask_b32_e32 v2, v2, v3, vcc_lo
	s_delay_alu instid0(VALU_DEP_1) | instskip(SKIP_1) | instid1(TRANS32_DEP_1)
	v_sqrt_f32_e32 v3, v2
	v_nop
	v_dual_add_nc_u32 v21, -1, v3 :: v_dual_add_nc_u32 v22, 1, v3
	s_delay_alu instid0(VALU_DEP_1) | instskip(NEXT) | instid1(VALU_DEP_1)
	v_dual_fma_f32 v23, -v21, v3, v2 :: v_dual_fma_f32 v24, -v22, v3, v2
	v_cmp_ge_f32_e64 s4, 0, v23
	s_delay_alu instid0(VALU_DEP_1) | instskip(NEXT) | instid1(VALU_DEP_3)
	v_cndmask_b32_e64 v3, v3, v21, s4
	v_cmp_lt_f32_e64 s4, 0, v24
	s_delay_alu instid0(VALU_DEP_1) | instskip(NEXT) | instid1(VALU_DEP_1)
	v_cndmask_b32_e64 v3, v3, v22, s4
	v_mul_f32_e32 v21, 0x37800000, v3
	s_delay_alu instid0(VALU_DEP_1) | instskip(SKIP_1) | instid1(VALU_DEP_2)
	v_cndmask_b32_e32 v3, v3, v21, vcc_lo
	v_cmp_class_f32_e64 vcc_lo, v2, 0x260
	v_cndmask_b32_e32 v2, v3, v2, vcc_lo
	s_delay_alu instid0(VALU_DEP_1) | instskip(NEXT) | instid1(VALU_DEP_1)
	v_div_scale_f32 v3, null, v2, v2, 1.0
	v_rcp_f32_e32 v21, v3
	v_nop
	s_delay_alu instid0(TRANS32_DEP_1) | instskip(NEXT) | instid1(VALU_DEP_1)
	v_fma_f32 v22, -v3, v21, 1.0
	v_fmac_f32_e32 v21, v22, v21
	v_div_scale_f32 v22, vcc_lo, 1.0, v2, 1.0
	s_delay_alu instid0(VALU_DEP_1) | instskip(NEXT) | instid1(VALU_DEP_1)
	v_mul_f32_e32 v23, v22, v21
	v_fma_f32 v24, -v3, v23, v22
	s_delay_alu instid0(VALU_DEP_1) | instskip(NEXT) | instid1(VALU_DEP_1)
	v_fmac_f32_e32 v23, v24, v21
	v_fma_f32 v3, -v3, v23, v22
	s_delay_alu instid0(VALU_DEP_1) | instskip(NEXT) | instid1(VALU_DEP_1)
	v_div_fmas_f32 v3, v3, v21, v23
	v_div_fixup_f32 v3, v3, v2, 1.0
	s_delay_alu instid0(VALU_DEP_1)
	v_mul_f32_e32 v21, v1, v3
.LBB6_23:                               ;   in Loop: Header=BB6_11 Depth=1
	s_or_b32 exec_lo, exec_lo, s21
.LBB6_24:                               ;   in Loop: Header=BB6_11 Depth=1
	s_delay_alu instid0(SALU_CYCLE_1)
	s_or_b32 exec_lo, exec_lo, s20
.LBB6_25:                               ;   in Loop: Header=BB6_11 Depth=1
	s_delay_alu instid0(SALU_CYCLE_1) | instskip(SKIP_2) | instid1(VALU_DEP_1)
	s_or_b32 exec_lo, exec_lo, s19
	v_mul_f32_e32 v1, v0, v3
	v_and_b32_e32 v2, 0x7fffffff, v0
	v_div_scale_f32 v3, null, v2, v2, v1
	s_delay_alu instid0(VALU_DEP_1) | instskip(SKIP_1) | instid1(TRANS32_DEP_1)
	v_rcp_f32_e32 v22, v3
	v_nop
	v_fma_f32 v23, -v3, v22, 1.0
	s_delay_alu instid0(VALU_DEP_1) | instskip(SKIP_1) | instid1(VALU_DEP_1)
	v_fmac_f32_e32 v22, v23, v22
	v_div_scale_f32 v2, vcc_lo, v1, v2, v1
	v_mul_f32_e32 v23, v2, v22
	s_delay_alu instid0(VALU_DEP_1) | instskip(NEXT) | instid1(VALU_DEP_1)
	v_fma_f32 v24, -v3, v23, v2
	v_fmac_f32_e32 v23, v24, v22
	s_delay_alu instid0(VALU_DEP_1) | instskip(NEXT) | instid1(VALU_DEP_1)
	v_fma_f32 v2, -v3, v23, v2
	v_div_fmas_f32 v2, v2, v22, v23
	s_delay_alu instid0(VALU_DEP_1)
	v_div_fixup_f32 v1, v2, |v0|, v1
.LBB6_26:                               ;   in Loop: Header=BB6_11 Depth=1
	s_or_b32 exec_lo, exec_lo, s15
	ds_store_b32 v8, v21
	ds_store_b32 v9, v1
.LBB6_27:                               ;   in Loop: Header=BB6_11 Depth=1
	s_or_b32 exec_lo, exec_lo, s14
	s_and_b32 s1, s1, s3
	s_wait_storecnt_dscnt 0x0
	s_barrier_signal -1
	s_barrier_wait -1
	s_and_saveexec_b32 s3, s1
	s_cbranch_execz .LBB6_35
; %bb.28:                               ;   in Loop: Header=BB6_11 Depth=1
	ds_load_b32 v21, v8
	ds_load_b32 v20, v9
	s_and_not1_b32 vcc_lo, exec_lo, s17
	s_cbranch_vccnz .LBB6_32
; %bb.29:                               ;   in Loop: Header=BB6_11 Depth=1
	v_subrev_nc_u32_e32 v1, s16, v6
	v_subrev_nc_u32_e32 v0, s16, v5
	s_delay_alu instid0(VALU_DEP_1)
	v_dual_add_nc_u32 v2, v1, v10 :: v_dual_add_nc_u32 v3, v0, v10
	s_clause 0x1
	global_load_b32 v22, v2, s[12:13] scale_offset
	global_load_b32 v23, v3, s[12:13] scale_offset
	s_wait_loadcnt_dscnt 0x0
	v_dual_mul_f32 v24, v20, v22 :: v_dual_mul_f32 v25, v20, v23
	s_delay_alu instid0(VALU_DEP_1)
	v_dual_fmac_f32 v24, v21, v23 :: v_dual_fma_f32 v22, v21, v22, -v25
	s_clause 0x1
	global_store_b32 v3, v24, s[12:13] scale_offset
	global_store_b32 v2, v22, s[12:13] scale_offset
	s_wait_xcnt 0x0
	s_and_saveexec_b32 s4, s0
	s_cbranch_execz .LBB6_31
; %bb.30:                               ;   in Loop: Header=BB6_11 Depth=1
	v_dual_add_nc_u32 v1, v1, v11 :: v_dual_add_nc_u32 v0, v0, v11
	s_clause 0x1
	global_load_b32 v2, v1, s[12:13] scale_offset
	global_load_b32 v3, v0, s[12:13] scale_offset
	s_wait_loadcnt 0x0
	v_dual_mul_f32 v22, v20, v2 :: v_dual_mul_f32 v23, v20, v3
	s_delay_alu instid0(VALU_DEP_1)
	v_dual_fmac_f32 v22, v21, v3 :: v_dual_fma_f32 v2, v21, v2, -v23
	s_clause 0x1
	global_store_b32 v0, v22, s[12:13] scale_offset
	global_store_b32 v1, v2, s[12:13] scale_offset
.LBB6_31:                               ;   in Loop: Header=BB6_11 Depth=1
	s_wait_xcnt 0x0
	s_or_b32 exec_lo, exec_lo, s4
.LBB6_32:                               ;   in Loop: Header=BB6_11 Depth=1
	v_mad_u32 v2, v6, s7, v7
	v_mad_u32 v0, v5, s7, v7
	s_clause 0x1
	global_load_b32 v1, v2, s[8:9] scale_offset
	global_load_b32 v3, v0, s[8:9] scale_offset
	s_wait_loadcnt_dscnt 0x0
	v_dual_mul_f32 v22, v20, v1 :: v_dual_mul_f32 v23, v20, v3
	s_delay_alu instid0(VALU_DEP_1)
	v_dual_fmac_f32 v22, v21, v3 :: v_dual_fma_f32 v1, v21, v1, -v23
	s_clause 0x1
	global_store_b32 v0, v22, s[8:9] scale_offset
	global_store_b32 v2, v1, s[8:9] scale_offset
	s_wait_xcnt 0x0
	s_and_saveexec_b32 s4, s0
	s_cbranch_execz .LBB6_34
; %bb.33:                               ;   in Loop: Header=BB6_11 Depth=1
	v_dual_ashrrev_i32 v3, 31, v2 :: v_dual_ashrrev_i32 v1, 31, v0
	s_delay_alu instid0(VALU_DEP_1) | instskip(NEXT) | instid1(VALU_DEP_2)
	v_lshl_add_u64 v[2:3], v[2:3], 2, s[8:9]
	v_lshl_add_u64 v[0:1], v[0:1], 2, s[8:9]
	s_clause 0x1
	global_load_b32 v22, v[2:3], off offset:4
	global_load_b32 v23, v[0:1], off offset:4
	s_wait_loadcnt 0x0
	v_dual_mul_f32 v24, v20, v22 :: v_dual_mul_f32 v25, v20, v23
	s_delay_alu instid0(VALU_DEP_1)
	v_dual_fmac_f32 v24, v21, v23 :: v_dual_fma_f32 v22, v21, v22, -v25
	s_clause 0x1
	global_store_b32 v[0:1], v24, off offset:4
	global_store_b32 v[2:3], v22, off offset:4
.LBB6_34:                               ;   in Loop: Header=BB6_11 Depth=1
	s_wait_xcnt 0x0
	s_or_b32 exec_lo, exec_lo, s4
	v_mov_b32_e32 v1, v20
.LBB6_35:                               ;   in Loop: Header=BB6_11 Depth=1
	s_or_b32 exec_lo, exec_lo, s3
	s_wait_storecnt 0x0
	s_barrier_signal -1
	s_barrier_wait -1
	s_and_saveexec_b32 s3, s1
	s_cbranch_execz .LBB6_38
; %bb.36:                               ;   in Loop: Header=BB6_11 Depth=1
	v_dual_add_nc_u32 v0, v6, v16 :: v_dual_add_nc_u32 v2, v5, v16
	s_clause 0x1
	global_load_b32 v3, v0, s[8:9] scale_offset
	global_load_b32 v22, v2, s[8:9] scale_offset
	s_wait_loadcnt 0x0
	v_dual_mul_f32 v23, v1, v3 :: v_dual_mul_f32 v24, v20, v22
	s_delay_alu instid0(VALU_DEP_1)
	v_dual_fmac_f32 v23, v21, v22 :: v_dual_fma_f32 v3, v21, v3, -v24
	s_clause 0x1
	global_store_b32 v2, v23, s[8:9] scale_offset
	global_store_b32 v0, v3, s[8:9] scale_offset
	s_wait_xcnt 0x0
	s_and_b32 exec_lo, exec_lo, s0
	s_cbranch_execz .LBB6_38
; %bb.37:                               ;   in Loop: Header=BB6_11 Depth=1
	v_dual_add_nc_u32 v0, v6, v17 :: v_dual_add_nc_u32 v2, v5, v17
	s_clause 0x1
	global_load_b32 v3, v0, s[8:9] scale_offset
	global_load_b32 v22, v2, s[8:9] scale_offset
	s_wait_loadcnt 0x0
	v_dual_mul_f32 v23, v1, v3 :: v_dual_mul_f32 v24, v20, v22
	s_delay_alu instid0(VALU_DEP_1)
	v_dual_fmac_f32 v23, v21, v22 :: v_dual_fma_f32 v3, v21, v3, -v24
	s_clause 0x1
	global_store_b32 v2, v23, s[8:9] scale_offset
	global_store_b32 v0, v3, s[8:9] scale_offset
.LBB6_38:                               ;   in Loop: Header=BB6_11 Depth=1
	s_wait_xcnt 0x0
	s_or_b32 exec_lo, exec_lo, s3
	s_wait_storecnt 0x0
	s_barrier_signal -1
	s_barrier_wait -1
	s_and_saveexec_b32 s1, s10
	s_cbranch_execz .LBB6_40
; %bb.39:                               ;   in Loop: Header=BB6_11 Depth=1
	v_mad_u32 v0, v6, s7, v5
	v_mad_u32 v2, v5, s7, v6
	s_clause 0x1
	global_store_b32 v0, v19, s[8:9] scale_offset
	global_store_b32 v2, v19, s[8:9] scale_offset
.LBB6_40:                               ;   in Loop: Header=BB6_11 Depth=1
	s_wait_xcnt 0x0
	s_or_b32 exec_lo, exec_lo, s1
	s_delay_alu instid0(SALU_CYCLE_1)
	s_mov_b32 s1, exec_lo
	v_cmpx_lt_i32_e32 0, v4
	s_cbranch_execz .LBB6_46
; %bb.41:                               ;   in Loop: Header=BB6_11 Depth=1
	s_mov_b32 s3, exec_lo
                                        ; implicit-def: $vgpr5
	v_cmpx_ne_u32_e32 1, v4
	s_xor_b32 s3, exec_lo, s3
; %bb.42:                               ;   in Loop: Header=BB6_11 Depth=1
	ds_load_b32 v5, v14
; %bb.43:                               ;   in Loop: Header=BB6_11 Depth=1
	s_and_not1_saveexec_b32 s3, s3
	s_cbranch_execz .LBB6_45
; %bb.44:                               ;   in Loop: Header=BB6_11 Depth=1
	v_mov_b32_e32 v0, s18
	s_wait_dscnt 0x0
	ds_load_b32 v5, v0
.LBB6_45:                               ;   in Loop: Header=BB6_11 Depth=1
	s_or_b32 exec_lo, exec_lo, s3
.LBB6_46:                               ;   in Loop: Header=BB6_11 Depth=1
	s_delay_alu instid0(SALU_CYCLE_1)
	s_or_b32 exec_lo, exec_lo, s1
	ds_load_b32 v6, v15
	s_wait_storecnt_dscnt 0x0
	s_barrier_signal -1
	s_barrier_wait -1
	s_and_saveexec_b32 s1, s2
	s_cbranch_execz .LBB6_10
; %bb.47:                               ;   in Loop: Header=BB6_11 Depth=1
	ds_store_b32 v12, v5
	ds_store_b32 v13, v6
	s_branch .LBB6_10
.LBB6_48:
	s_endpgm
	.section	.rodata,"a",@progbits
	.p2align	6, 0x0
	.amdhsa_kernel _ZN9rocsolver6v33100L17syevj_diag_kernelIffPfEEviT1_iilT0_PT_Pi
		.amdhsa_group_segment_fixed_size 0
		.amdhsa_private_segment_fixed_size 0
		.amdhsa_kernarg_size 312
		.amdhsa_user_sgpr_count 2
		.amdhsa_user_sgpr_dispatch_ptr 0
		.amdhsa_user_sgpr_queue_ptr 0
		.amdhsa_user_sgpr_kernarg_segment_ptr 1
		.amdhsa_user_sgpr_dispatch_id 0
		.amdhsa_user_sgpr_kernarg_preload_length 0
		.amdhsa_user_sgpr_kernarg_preload_offset 0
		.amdhsa_user_sgpr_private_segment_size 0
		.amdhsa_wavefront_size32 1
		.amdhsa_uses_dynamic_stack 0
		.amdhsa_enable_private_segment 0
		.amdhsa_system_sgpr_workgroup_id_x 1
		.amdhsa_system_sgpr_workgroup_id_y 0
		.amdhsa_system_sgpr_workgroup_id_z 1
		.amdhsa_system_sgpr_workgroup_info 0
		.amdhsa_system_vgpr_workitem_id 1
		.amdhsa_next_free_vgpr 26
		.amdhsa_next_free_sgpr 23
		.amdhsa_named_barrier_count 0
		.amdhsa_reserve_vcc 1
		.amdhsa_float_round_mode_32 0
		.amdhsa_float_round_mode_16_64 0
		.amdhsa_float_denorm_mode_32 3
		.amdhsa_float_denorm_mode_16_64 3
		.amdhsa_fp16_overflow 0
		.amdhsa_memory_ordered 1
		.amdhsa_forward_progress 1
		.amdhsa_inst_pref_size 24
		.amdhsa_round_robin_scheduling 0
		.amdhsa_exception_fp_ieee_invalid_op 0
		.amdhsa_exception_fp_denorm_src 0
		.amdhsa_exception_fp_ieee_div_zero 0
		.amdhsa_exception_fp_ieee_overflow 0
		.amdhsa_exception_fp_ieee_underflow 0
		.amdhsa_exception_fp_ieee_inexact 0
		.amdhsa_exception_int_div_zero 0
	.end_amdhsa_kernel
	.section	.text._ZN9rocsolver6v33100L17syevj_diag_kernelIffPfEEviT1_iilT0_PT_Pi,"axG",@progbits,_ZN9rocsolver6v33100L17syevj_diag_kernelIffPfEEviT1_iilT0_PT_Pi,comdat
.Lfunc_end6:
	.size	_ZN9rocsolver6v33100L17syevj_diag_kernelIffPfEEviT1_iilT0_PT_Pi, .Lfunc_end6-_ZN9rocsolver6v33100L17syevj_diag_kernelIffPfEEviT1_iilT0_PT_Pi
                                        ; -- End function
	.set _ZN9rocsolver6v33100L17syevj_diag_kernelIffPfEEviT1_iilT0_PT_Pi.num_vgpr, 26
	.set _ZN9rocsolver6v33100L17syevj_diag_kernelIffPfEEviT1_iilT0_PT_Pi.num_agpr, 0
	.set _ZN9rocsolver6v33100L17syevj_diag_kernelIffPfEEviT1_iilT0_PT_Pi.numbered_sgpr, 23
	.set _ZN9rocsolver6v33100L17syevj_diag_kernelIffPfEEviT1_iilT0_PT_Pi.num_named_barrier, 0
	.set _ZN9rocsolver6v33100L17syevj_diag_kernelIffPfEEviT1_iilT0_PT_Pi.private_seg_size, 0
	.set _ZN9rocsolver6v33100L17syevj_diag_kernelIffPfEEviT1_iilT0_PT_Pi.uses_vcc, 1
	.set _ZN9rocsolver6v33100L17syevj_diag_kernelIffPfEEviT1_iilT0_PT_Pi.uses_flat_scratch, 0
	.set _ZN9rocsolver6v33100L17syevj_diag_kernelIffPfEEviT1_iilT0_PT_Pi.has_dyn_sized_stack, 0
	.set _ZN9rocsolver6v33100L17syevj_diag_kernelIffPfEEviT1_iilT0_PT_Pi.has_recursion, 0
	.set _ZN9rocsolver6v33100L17syevj_diag_kernelIffPfEEviT1_iilT0_PT_Pi.has_indirect_call, 0
	.section	.AMDGPU.csdata,"",@progbits
; Kernel info:
; codeLenInByte = 2984
; TotalNumSgprs: 25
; NumVgprs: 26
; ScratchSize: 0
; MemoryBound: 0
; FloatMode: 240
; IeeeMode: 1
; LDSByteSize: 0 bytes/workgroup (compile time only)
; SGPRBlocks: 0
; VGPRBlocks: 1
; NumSGPRsForWavesPerEU: 25
; NumVGPRsForWavesPerEU: 26
; NamedBarCnt: 0
; Occupancy: 16
; WaveLimiterHint : 0
; COMPUTE_PGM_RSRC2:SCRATCH_EN: 0
; COMPUTE_PGM_RSRC2:USER_SGPR: 2
; COMPUTE_PGM_RSRC2:TRAP_HANDLER: 0
; COMPUTE_PGM_RSRC2:TGID_X_EN: 1
; COMPUTE_PGM_RSRC2:TGID_Y_EN: 0
; COMPUTE_PGM_RSRC2:TGID_Z_EN: 1
; COMPUTE_PGM_RSRC2:TIDIG_COMP_CNT: 1
	.section	.text._ZN9rocsolver6v33100L21syevj_diag_rotate_orgILb0EffPfEEvbiT2_iilPT0_Pi,"axG",@progbits,_ZN9rocsolver6v33100L21syevj_diag_rotate_orgILb0EffPfEEvbiT2_iilPT0_Pi,comdat
	.globl	_ZN9rocsolver6v33100L21syevj_diag_rotate_orgILb0EffPfEEvbiT2_iilPT0_Pi ; -- Begin function _ZN9rocsolver6v33100L21syevj_diag_rotate_orgILb0EffPfEEvbiT2_iilPT0_Pi
	.p2align	8
	.type	_ZN9rocsolver6v33100L21syevj_diag_rotate_orgILb0EffPfEEvbiT2_iilPT0_Pi,@function
_ZN9rocsolver6v33100L21syevj_diag_rotate_orgILb0EffPfEEvbiT2_iilPT0_Pi: ; @_ZN9rocsolver6v33100L21syevj_diag_rotate_orgILb0EffPfEEvbiT2_iilPT0_Pi
; %bb.0:
	s_clause 0x1
	s_load_b64 s[2:3], s[0:1], 0x0
	s_load_b64 s[4:5], s[0:1], 0x28
	s_wait_kmcnt 0x0
	s_bitcmp1_b32 s2, 0
	s_getreg_b32 s2, hwreg(HW_REG_IB_STS2, 6, 4)
	s_cselect_b32 s6, -1, 0
	s_bfe_u32 s8, ttmp6, 0x40014
	s_bfe_u32 s11, ttmp6, 0x40010
	;; [unrolled: 1-line block ×3, first 2 shown]
	s_lshr_b32 s7, ttmp7, 16
	s_and_b32 s10, ttmp7, 0xffff
	s_add_co_i32 s8, s8, 1
	s_add_co_i32 s11, s11, 1
	;; [unrolled: 1-line block ×3, first 2 shown]
	s_bfe_u32 s9, ttmp6, 0x40008
	s_bfe_u32 s12, ttmp6, 0x40004
	s_and_b32 s13, ttmp6, 15
	s_mul_i32 s8, s7, s8
	s_mul_i32 s11, s10, s11
	s_mul_i32 s14, ttmp9, s14
	s_add_co_i32 s9, s9, s8
	s_add_co_i32 s8, s12, s11
	;; [unrolled: 1-line block ×3, first 2 shown]
	s_cmp_eq_u32 s2, 0
	s_cselect_b32 s12, s7, s9
	s_cselect_b32 s16, ttmp9, s13
	s_load_b32 s2, s[4:5], s12 offset:0x4 scale_offset
	s_cselect_b32 s15, s10, s8
	s_mov_b32 s13, 0
	s_wait_kmcnt 0x0
	s_cmp_lg_u32 s2, 0
	s_cselect_b32 s2, -1, 0
	s_cmp_eq_u32 s16, s15
	s_cselect_b32 s4, -1, 0
	s_delay_alu instid0(SALU_CYCLE_1) | instskip(NEXT) | instid1(SALU_CYCLE_1)
	s_and_b32 s4, s4, s6
	s_or_b32 s2, s4, s2
	s_delay_alu instid0(SALU_CYCLE_1)
	s_and_b32 vcc_lo, exec_lo, s2
	s_cbranch_vccnz .LBB7_7
; %bb.1:
	s_load_b32 s2, s[0:1], 0x3c
	v_bfe_u32 v1, v0, 10, 10
	v_and_b32_e32 v0, 0x3ff, v0
	s_mov_b32 s4, exec_lo
	s_wait_kmcnt 0x0
	s_and_b32 s17, s2, 0xffff
	s_delay_alu instid0(SALU_CYCLE_1) | instskip(SKIP_1) | instid1(SALU_CYCLE_1)
	v_mad_u32 v4, s15, s17, v1
	s_mul_i32 s2, s16, s17
	v_add_nc_u32_e32 v5, s2, v0
	s_delay_alu instid0(VALU_DEP_1) | instskip(NEXT) | instid1(VALU_DEP_1)
	v_max_i32_e32 v2, v5, v4
	v_cmpx_gt_i32_e64 s3, v2
	s_cbranch_execz .LBB7_7
; %bb.2:
	s_load_b256 s[4:11], s[0:1], 0x8
	s_sub_co_i32 s2, s3, s2
	s_delay_alu instid0(SALU_CYCLE_1)
	s_min_i32 s14, s2, s17
	s_wait_kmcnt 0x0
	s_mul_u64 s[2:3], s[8:9], s[12:13]
	s_ashr_i32 s9, s6, 31
	s_lshl_b64 s[2:3], s[2:3], 2
	s_mov_b32 s8, s6
	s_add_nc_u64 s[2:3], s[4:5], s[2:3]
	s_lshl_b64 s[4:5], s[8:9], 2
	s_cmp_lt_i32 s14, 1
	s_add_nc_u64 s[2:3], s[2:3], s[4:5]
	s_cbranch_scc1 .LBB7_5
; %bb.3:
	s_add_nc_u64 s[0:1], s[0:1], 48
	v_lshlrev_b32_e32 v0, 2, v0
	s_load_b32 s0, s[0:1], 0x0
	s_wait_kmcnt 0x0
	s_mul_i32 s0, s0, s12
	s_delay_alu instid0(SALU_CYCLE_1)
	s_add_co_i32 s0, s0, s16
	s_mul_i32 s16, s16, s7
	s_mul_i32 s0, s0, s17
	s_add_co_i32 s15, s15, s16
	s_mul_i32 s0, s0, s17
	v_mad_u32 v6, s15, s17, v1
	s_ashr_i32 s1, s0, 31
	v_mov_b32_e32 v1, 0
	s_lshl_b64 s[0:1], s[0:1], 2
	s_delay_alu instid0(SALU_CYCLE_1)
	s_add_nc_u64 s[0:1], s[10:11], s[0:1]
	s_delay_alu instid0(VALU_DEP_1) | instid1(SALU_CYCLE_1)
	v_add_nc_u64_e32 v[2:3], s[0:1], v[0:1]
	s_mov_b32 s1, 0
	s_lshl_b32 s0, s17, 2
.LBB7_4:                                ; =>This Inner Loop Header: Depth=1
	global_load_b32 v0, v[2:3], off
	global_load_b32 v7, v6, s[2:3] scale_offset
	s_wait_xcnt 0x1
	v_add_nc_u64_e32 v[2:3], s[0:1], v[2:3]
	s_wait_xcnt 0x0
	v_add_nc_u32_e32 v6, s7, v6
	s_add_co_i32 s14, s14, -1
	s_delay_alu instid0(SALU_CYCLE_1)
	s_cmp_lg_u32 s14, 0
	s_wait_loadcnt 0x0
	v_fmac_f32_e32 v1, v0, v7
	s_cbranch_scc1 .LBB7_4
	s_branch .LBB7_6
.LBB7_5:
	v_mov_b32_e32 v1, 0
.LBB7_6:
	v_mad_u32 v0, v5, s7, v4
	s_barrier_signal -1
	s_barrier_wait -1
	global_store_b32 v0, v1, s[2:3] scale_offset
.LBB7_7:
	s_endpgm
	.section	.rodata,"a",@progbits
	.p2align	6, 0x0
	.amdhsa_kernel _ZN9rocsolver6v33100L21syevj_diag_rotate_orgILb0EffPfEEvbiT2_iilPT0_Pi
		.amdhsa_group_segment_fixed_size 0
		.amdhsa_private_segment_fixed_size 0
		.amdhsa_kernarg_size 304
		.amdhsa_user_sgpr_count 2
		.amdhsa_user_sgpr_dispatch_ptr 0
		.amdhsa_user_sgpr_queue_ptr 0
		.amdhsa_user_sgpr_kernarg_segment_ptr 1
		.amdhsa_user_sgpr_dispatch_id 0
		.amdhsa_user_sgpr_kernarg_preload_length 0
		.amdhsa_user_sgpr_kernarg_preload_offset 0
		.amdhsa_user_sgpr_private_segment_size 0
		.amdhsa_wavefront_size32 1
		.amdhsa_uses_dynamic_stack 0
		.amdhsa_enable_private_segment 0
		.amdhsa_system_sgpr_workgroup_id_x 1
		.amdhsa_system_sgpr_workgroup_id_y 1
		.amdhsa_system_sgpr_workgroup_id_z 1
		.amdhsa_system_sgpr_workgroup_info 0
		.amdhsa_system_vgpr_workitem_id 1
		.amdhsa_next_free_vgpr 8
		.amdhsa_next_free_sgpr 18
		.amdhsa_named_barrier_count 0
		.amdhsa_reserve_vcc 1
		.amdhsa_float_round_mode_32 0
		.amdhsa_float_round_mode_16_64 0
		.amdhsa_float_denorm_mode_32 3
		.amdhsa_float_denorm_mode_16_64 3
		.amdhsa_fp16_overflow 0
		.amdhsa_memory_ordered 1
		.amdhsa_forward_progress 1
		.amdhsa_inst_pref_size 5
		.amdhsa_round_robin_scheduling 0
		.amdhsa_exception_fp_ieee_invalid_op 0
		.amdhsa_exception_fp_denorm_src 0
		.amdhsa_exception_fp_ieee_div_zero 0
		.amdhsa_exception_fp_ieee_overflow 0
		.amdhsa_exception_fp_ieee_underflow 0
		.amdhsa_exception_fp_ieee_inexact 0
		.amdhsa_exception_int_div_zero 0
	.end_amdhsa_kernel
	.section	.text._ZN9rocsolver6v33100L21syevj_diag_rotate_orgILb0EffPfEEvbiT2_iilPT0_Pi,"axG",@progbits,_ZN9rocsolver6v33100L21syevj_diag_rotate_orgILb0EffPfEEvbiT2_iilPT0_Pi,comdat
.Lfunc_end7:
	.size	_ZN9rocsolver6v33100L21syevj_diag_rotate_orgILb0EffPfEEvbiT2_iilPT0_Pi, .Lfunc_end7-_ZN9rocsolver6v33100L21syevj_diag_rotate_orgILb0EffPfEEvbiT2_iilPT0_Pi
                                        ; -- End function
	.set _ZN9rocsolver6v33100L21syevj_diag_rotate_orgILb0EffPfEEvbiT2_iilPT0_Pi.num_vgpr, 8
	.set _ZN9rocsolver6v33100L21syevj_diag_rotate_orgILb0EffPfEEvbiT2_iilPT0_Pi.num_agpr, 0
	.set _ZN9rocsolver6v33100L21syevj_diag_rotate_orgILb0EffPfEEvbiT2_iilPT0_Pi.numbered_sgpr, 18
	.set _ZN9rocsolver6v33100L21syevj_diag_rotate_orgILb0EffPfEEvbiT2_iilPT0_Pi.num_named_barrier, 0
	.set _ZN9rocsolver6v33100L21syevj_diag_rotate_orgILb0EffPfEEvbiT2_iilPT0_Pi.private_seg_size, 0
	.set _ZN9rocsolver6v33100L21syevj_diag_rotate_orgILb0EffPfEEvbiT2_iilPT0_Pi.uses_vcc, 1
	.set _ZN9rocsolver6v33100L21syevj_diag_rotate_orgILb0EffPfEEvbiT2_iilPT0_Pi.uses_flat_scratch, 0
	.set _ZN9rocsolver6v33100L21syevj_diag_rotate_orgILb0EffPfEEvbiT2_iilPT0_Pi.has_dyn_sized_stack, 0
	.set _ZN9rocsolver6v33100L21syevj_diag_rotate_orgILb0EffPfEEvbiT2_iilPT0_Pi.has_recursion, 0
	.set _ZN9rocsolver6v33100L21syevj_diag_rotate_orgILb0EffPfEEvbiT2_iilPT0_Pi.has_indirect_call, 0
	.section	.AMDGPU.csdata,"",@progbits
; Kernel info:
; codeLenInByte = 536
; TotalNumSgprs: 20
; NumVgprs: 8
; ScratchSize: 0
; MemoryBound: 0
; FloatMode: 240
; IeeeMode: 1
; LDSByteSize: 0 bytes/workgroup (compile time only)
; SGPRBlocks: 0
; VGPRBlocks: 0
; NumSGPRsForWavesPerEU: 20
; NumVGPRsForWavesPerEU: 8
; NamedBarCnt: 0
; Occupancy: 16
; WaveLimiterHint : 0
; COMPUTE_PGM_RSRC2:SCRATCH_EN: 0
; COMPUTE_PGM_RSRC2:USER_SGPR: 2
; COMPUTE_PGM_RSRC2:TRAP_HANDLER: 0
; COMPUTE_PGM_RSRC2:TGID_X_EN: 1
; COMPUTE_PGM_RSRC2:TGID_Y_EN: 1
; COMPUTE_PGM_RSRC2:TGID_Z_EN: 1
; COMPUTE_PGM_RSRC2:TIDIG_COMP_CNT: 1
	.section	.text._ZN9rocsolver6v33100L21syevj_diag_rotate_orgILb1EffPfEEvbiT2_iilPT0_Pi,"axG",@progbits,_ZN9rocsolver6v33100L21syevj_diag_rotate_orgILb1EffPfEEvbiT2_iilPT0_Pi,comdat
	.globl	_ZN9rocsolver6v33100L21syevj_diag_rotate_orgILb1EffPfEEvbiT2_iilPT0_Pi ; -- Begin function _ZN9rocsolver6v33100L21syevj_diag_rotate_orgILb1EffPfEEvbiT2_iilPT0_Pi
	.p2align	8
	.type	_ZN9rocsolver6v33100L21syevj_diag_rotate_orgILb1EffPfEEvbiT2_iilPT0_Pi,@function
_ZN9rocsolver6v33100L21syevj_diag_rotate_orgILb1EffPfEEvbiT2_iilPT0_Pi: ; @_ZN9rocsolver6v33100L21syevj_diag_rotate_orgILb1EffPfEEvbiT2_iilPT0_Pi
; %bb.0:
	s_clause 0x1
	s_load_b64 s[2:3], s[0:1], 0x0
	s_load_b64 s[4:5], s[0:1], 0x28
	s_wait_kmcnt 0x0
	s_bitcmp1_b32 s2, 0
	s_getreg_b32 s2, hwreg(HW_REG_IB_STS2, 6, 4)
	s_cselect_b32 s6, -1, 0
	s_bfe_u32 s8, ttmp6, 0x40014
	s_bfe_u32 s11, ttmp6, 0x40010
	;; [unrolled: 1-line block ×3, first 2 shown]
	s_lshr_b32 s7, ttmp7, 16
	s_and_b32 s10, ttmp7, 0xffff
	s_add_co_i32 s8, s8, 1
	s_add_co_i32 s11, s11, 1
	;; [unrolled: 1-line block ×3, first 2 shown]
	s_bfe_u32 s9, ttmp6, 0x40008
	s_bfe_u32 s12, ttmp6, 0x40004
	s_and_b32 s13, ttmp6, 15
	s_mul_i32 s8, s7, s8
	s_mul_i32 s11, s10, s11
	s_mul_i32 s14, ttmp9, s14
	s_add_co_i32 s9, s9, s8
	s_add_co_i32 s8, s12, s11
	;; [unrolled: 1-line block ×3, first 2 shown]
	s_cmp_eq_u32 s2, 0
	s_cselect_b32 s12, s7, s9
	s_cselect_b32 s15, ttmp9, s13
	s_load_b32 s4, s[4:5], s12 offset:0x4 scale_offset
	s_cselect_b32 s2, s10, s8
	s_mov_b32 s13, 0
	s_wait_kmcnt 0x0
	s_cmp_lg_u32 s4, 0
	s_cselect_b32 s4, -1, 0
	s_cmp_eq_u32 s15, s2
	s_cselect_b32 s5, -1, 0
	s_delay_alu instid0(SALU_CYCLE_1) | instskip(NEXT) | instid1(SALU_CYCLE_1)
	s_and_b32 s5, s5, s6
	s_or_b32 s4, s5, s4
	s_delay_alu instid0(SALU_CYCLE_1)
	s_and_b32 vcc_lo, exec_lo, s4
	s_cbranch_vccnz .LBB8_7
; %bb.1:
	s_load_b32 s4, s[0:1], 0x3c
	v_bfe_u32 v1, v0, 10, 10
	v_and_b32_e32 v0, 0x3ff, v0
	s_wait_kmcnt 0x0
	s_and_b32 s14, s4, 0xffff
	s_delay_alu instid0(VALU_DEP_2) | instid1(SALU_CYCLE_1)
	v_mad_u32 v1, s2, s14, v1
	s_mul_i32 s16, s15, s14
	s_mov_b32 s2, exec_lo
	v_add_nc_u32_e32 v4, s16, v0
	s_delay_alu instid0(VALU_DEP_1) | instskip(NEXT) | instid1(VALU_DEP_1)
	v_max_i32_e32 v2, v4, v1
	v_cmpx_gt_i32_e64 s3, v2
	s_cbranch_execz .LBB8_7
; %bb.2:
	s_load_b256 s[4:11], s[0:1], 0x8
	s_sub_co_i32 s2, s3, s16
	s_wait_kmcnt 0x0
	v_mul_lo_u32 v5, v1, s7
	s_min_i32 s7, s2, s14
	s_mul_u64 s[2:3], s[8:9], s[12:13]
	s_ashr_i32 s9, s6, 31
	s_lshl_b64 s[2:3], s[2:3], 2
	s_mov_b32 s8, s6
	s_add_nc_u64 s[2:3], s[4:5], s[2:3]
	s_lshl_b64 s[4:5], s[8:9], 2
	s_cmp_lt_i32 s7, 1
	s_add_nc_u64 s[2:3], s[2:3], s[4:5]
	s_cbranch_scc1 .LBB8_5
; %bb.3:
	s_add_nc_u64 s[0:1], s[0:1], 48
	v_dual_mov_b32 v1, 0 :: v_dual_lshlrev_b32 v0, 2, v0
	s_load_b32 s0, s[0:1], 0x0
	s_wait_kmcnt 0x0
	s_mul_i32 s0, s0, s12
	s_delay_alu instid0(SALU_CYCLE_1) | instskip(NEXT) | instid1(SALU_CYCLE_1)
	s_add_co_i32 s0, s0, s15
	s_mul_i32 s0, s0, s14
	s_delay_alu instid0(SALU_CYCLE_1) | instskip(NEXT) | instid1(SALU_CYCLE_1)
	s_mul_i32 s0, s0, s14
	s_ashr_i32 s1, s0, 31
	s_delay_alu instid0(SALU_CYCLE_1) | instskip(NEXT) | instid1(SALU_CYCLE_1)
	s_lshl_b64 s[0:1], s[0:1], 2
	s_add_nc_u64 s[0:1], s[10:11], s[0:1]
	s_delay_alu instid0(SALU_CYCLE_1)
	v_add_nc_u64_e32 v[2:3], s[0:1], v[0:1]
	v_add_nc_u32_e32 v0, s16, v5
	s_mov_b32 s1, 0
	s_lshl_b32 s0, s14, 2
.LBB8_4:                                ; =>This Inner Loop Header: Depth=1
	global_load_b32 v6, v[2:3], off
	global_load_b32 v7, v0, s[2:3] scale_offset
	s_wait_xcnt 0x1
	v_add_nc_u64_e32 v[2:3], s[0:1], v[2:3]
	s_wait_xcnt 0x0
	v_add_nc_u32_e32 v0, 1, v0
	s_add_co_i32 s7, s7, -1
	s_delay_alu instid0(SALU_CYCLE_1)
	s_cmp_lg_u32 s7, 0
	s_wait_loadcnt 0x0
	v_fmac_f32_e32 v1, v6, v7
	s_cbranch_scc1 .LBB8_4
	s_branch .LBB8_6
.LBB8_5:
	v_mov_b32_e32 v1, 0
.LBB8_6:
	v_add_nc_u32_e32 v0, v5, v4
	s_barrier_signal -1
	s_barrier_wait -1
	global_store_b32 v0, v1, s[2:3] scale_offset
.LBB8_7:
	s_endpgm
	.section	.rodata,"a",@progbits
	.p2align	6, 0x0
	.amdhsa_kernel _ZN9rocsolver6v33100L21syevj_diag_rotate_orgILb1EffPfEEvbiT2_iilPT0_Pi
		.amdhsa_group_segment_fixed_size 0
		.amdhsa_private_segment_fixed_size 0
		.amdhsa_kernarg_size 304
		.amdhsa_user_sgpr_count 2
		.amdhsa_user_sgpr_dispatch_ptr 0
		.amdhsa_user_sgpr_queue_ptr 0
		.amdhsa_user_sgpr_kernarg_segment_ptr 1
		.amdhsa_user_sgpr_dispatch_id 0
		.amdhsa_user_sgpr_kernarg_preload_length 0
		.amdhsa_user_sgpr_kernarg_preload_offset 0
		.amdhsa_user_sgpr_private_segment_size 0
		.amdhsa_wavefront_size32 1
		.amdhsa_uses_dynamic_stack 0
		.amdhsa_enable_private_segment 0
		.amdhsa_system_sgpr_workgroup_id_x 1
		.amdhsa_system_sgpr_workgroup_id_y 1
		.amdhsa_system_sgpr_workgroup_id_z 1
		.amdhsa_system_sgpr_workgroup_info 0
		.amdhsa_system_vgpr_workitem_id 1
		.amdhsa_next_free_vgpr 8
		.amdhsa_next_free_sgpr 17
		.amdhsa_named_barrier_count 0
		.amdhsa_reserve_vcc 1
		.amdhsa_float_round_mode_32 0
		.amdhsa_float_round_mode_16_64 0
		.amdhsa_float_denorm_mode_32 3
		.amdhsa_float_denorm_mode_16_64 3
		.amdhsa_fp16_overflow 0
		.amdhsa_memory_ordered 1
		.amdhsa_forward_progress 1
		.amdhsa_inst_pref_size 5
		.amdhsa_round_robin_scheduling 0
		.amdhsa_exception_fp_ieee_invalid_op 0
		.amdhsa_exception_fp_denorm_src 0
		.amdhsa_exception_fp_ieee_div_zero 0
		.amdhsa_exception_fp_ieee_overflow 0
		.amdhsa_exception_fp_ieee_underflow 0
		.amdhsa_exception_fp_ieee_inexact 0
		.amdhsa_exception_int_div_zero 0
	.end_amdhsa_kernel
	.section	.text._ZN9rocsolver6v33100L21syevj_diag_rotate_orgILb1EffPfEEvbiT2_iilPT0_Pi,"axG",@progbits,_ZN9rocsolver6v33100L21syevj_diag_rotate_orgILb1EffPfEEvbiT2_iilPT0_Pi,comdat
.Lfunc_end8:
	.size	_ZN9rocsolver6v33100L21syevj_diag_rotate_orgILb1EffPfEEvbiT2_iilPT0_Pi, .Lfunc_end8-_ZN9rocsolver6v33100L21syevj_diag_rotate_orgILb1EffPfEEvbiT2_iilPT0_Pi
                                        ; -- End function
	.set _ZN9rocsolver6v33100L21syevj_diag_rotate_orgILb1EffPfEEvbiT2_iilPT0_Pi.num_vgpr, 8
	.set _ZN9rocsolver6v33100L21syevj_diag_rotate_orgILb1EffPfEEvbiT2_iilPT0_Pi.num_agpr, 0
	.set _ZN9rocsolver6v33100L21syevj_diag_rotate_orgILb1EffPfEEvbiT2_iilPT0_Pi.numbered_sgpr, 17
	.set _ZN9rocsolver6v33100L21syevj_diag_rotate_orgILb1EffPfEEvbiT2_iilPT0_Pi.num_named_barrier, 0
	.set _ZN9rocsolver6v33100L21syevj_diag_rotate_orgILb1EffPfEEvbiT2_iilPT0_Pi.private_seg_size, 0
	.set _ZN9rocsolver6v33100L21syevj_diag_rotate_orgILb1EffPfEEvbiT2_iilPT0_Pi.uses_vcc, 1
	.set _ZN9rocsolver6v33100L21syevj_diag_rotate_orgILb1EffPfEEvbiT2_iilPT0_Pi.uses_flat_scratch, 0
	.set _ZN9rocsolver6v33100L21syevj_diag_rotate_orgILb1EffPfEEvbiT2_iilPT0_Pi.has_dyn_sized_stack, 0
	.set _ZN9rocsolver6v33100L21syevj_diag_rotate_orgILb1EffPfEEvbiT2_iilPT0_Pi.has_recursion, 0
	.set _ZN9rocsolver6v33100L21syevj_diag_rotate_orgILb1EffPfEEvbiT2_iilPT0_Pi.has_indirect_call, 0
	.section	.AMDGPU.csdata,"",@progbits
; Kernel info:
; codeLenInByte = 528
; TotalNumSgprs: 19
; NumVgprs: 8
; ScratchSize: 0
; MemoryBound: 0
; FloatMode: 240
; IeeeMode: 1
; LDSByteSize: 0 bytes/workgroup (compile time only)
; SGPRBlocks: 0
; VGPRBlocks: 0
; NumSGPRsForWavesPerEU: 19
; NumVGPRsForWavesPerEU: 8
; NamedBarCnt: 0
; Occupancy: 16
; WaveLimiterHint : 0
; COMPUTE_PGM_RSRC2:SCRATCH_EN: 0
; COMPUTE_PGM_RSRC2:USER_SGPR: 2
; COMPUTE_PGM_RSRC2:TRAP_HANDLER: 0
; COMPUTE_PGM_RSRC2:TGID_X_EN: 1
; COMPUTE_PGM_RSRC2:TGID_Y_EN: 1
; COMPUTE_PGM_RSRC2:TGID_Z_EN: 1
; COMPUTE_PGM_RSRC2:TIDIG_COMP_CNT: 1
	.text
	.p2align	2                               ; -- Begin function __ockl_fprintf_append_string_n
	.type	__ockl_fprintf_append_string_n,@function
__ockl_fprintf_append_string_n:         ; @__ockl_fprintf_append_string_n
; %bb.0:
	s_wait_loadcnt_dscnt 0x0
	s_wait_kmcnt 0x0
	v_or_b32_e32 v2, 2, v0
	v_cmp_eq_u32_e32 vcc_lo, 0, v6
	v_mbcnt_lo_u32_b32 v30, -1, 0
	s_get_pc_i64 s[0:1]
	s_add_nc_u64 s[0:1], s[0:1], .str.3@rel64+4
	s_mov_b32 s6, 0
	s_cmp_lg_u64 s[0:1], 0
	v_cndmask_b32_e32 v3, v2, v0, vcc_lo
	s_cbranch_scc0 .LBB9_113
; %bb.1:
	s_load_b64 s[2:3], s[8:9], 0x50
	s_delay_alu instid0(VALU_DEP_1) | instskip(SKIP_3) | instid1(VALU_DEP_4)
	v_dual_mov_b32 v7, 0 :: v_dual_bitop2_b32 v0, -3, v3 bitop3:0x40
	v_mov_b64_e32 v[8:9], 0x100000002
	v_mov_b64_e32 v[32:33], s[0:1]
	v_and_b32_e32 v2, 2, v3
	v_mov_b64_e32 v[10:11], v[0:1]
	s_mov_b32 s7, 0
	s_branch .LBB9_3
.LBB9_2:                                ;   in Loop: Header=BB9_3 Depth=1
	s_or_b32 exec_lo, exec_lo, s10
	v_sub_nc_u64_e32 v[4:5], v[4:5], v[34:35]
	v_add_nc_u64_e32 v[32:33], v[32:33], v[34:35]
	s_delay_alu instid0(VALU_DEP_2) | instskip(SKIP_1) | instid1(SALU_CYCLE_1)
	v_cmp_eq_u64_e32 vcc_lo, 0, v[4:5]
	s_or_b32 s7, vcc_lo, s7
	s_and_not1_b32 exec_lo, exec_lo, s7
	s_cbranch_execz .LBB9_85
.LBB9_3:                                ; =>This Loop Header: Depth=1
                                        ;     Child Loop BB9_6 Depth 2
                                        ;     Child Loop BB9_14 Depth 2
	;; [unrolled: 1-line block ×11, first 2 shown]
	v_min_u64 v[34:35], v[4:5], 56
	s_delay_alu instid0(VALU_DEP_3)
	v_add_nc_u64_e32 v[16:17], 8, v[32:33]
	s_mov_b32 s0, exec_lo
	v_cmpx_gt_u64_e32 8, v[4:5]
	s_xor_b32 s4, exec_lo, s0
	s_cbranch_execz .LBB9_9
; %bb.4:                                ;   in Loop: Header=BB9_3 Depth=1
	s_wait_loadcnt 0x0
	v_mov_b64_e32 v[12:13], 0
	s_mov_b32 s5, exec_lo
	v_cmpx_ne_u64_e32 0, v[4:5]
	s_cbranch_execz .LBB9_8
; %bb.5:                                ;   in Loop: Header=BB9_3 Depth=1
	v_mov_b64_e32 v[12:13], 0
	v_mov_b64_e32 v[14:15], v[32:33]
	v_lshlrev_b32_e32 v0, 3, v34
	s_mov_b64 s[0:1], 0
	s_mov_b32 s10, 0
.LBB9_6:                                ;   Parent Loop BB9_3 Depth=1
                                        ; =>  This Inner Loop Header: Depth=2
	global_load_u8 v6, v[14:15], off
	v_mov_b32_e32 v17, s6
	s_wait_xcnt 0x0
	v_add_nc_u64_e32 v[14:15], 1, v[14:15]
	s_wait_loadcnt 0x0
	v_and_b32_e32 v16, 0xffff, v6
	s_delay_alu instid0(VALU_DEP_1) | instskip(SKIP_1) | instid1(SALU_CYCLE_1)
	v_lshlrev_b64_e32 v[16:17], s0, v[16:17]
	s_add_nc_u64 s[0:1], s[0:1], 8
	v_cmp_eq_u32_e32 vcc_lo, s0, v0
	s_delay_alu instid0(VALU_DEP_2) | instskip(NEXT) | instid1(VALU_DEP_3)
	v_or_b32_e32 v13, v17, v13
	v_or_b32_e32 v12, v16, v12
	s_or_b32 s10, vcc_lo, s10
	s_delay_alu instid0(SALU_CYCLE_1)
	s_and_not1_b32 exec_lo, exec_lo, s10
	s_cbranch_execnz .LBB9_6
; %bb.7:                                ;   in Loop: Header=BB9_3 Depth=1
	s_or_b32 exec_lo, exec_lo, s10
.LBB9_8:                                ;   in Loop: Header=BB9_3 Depth=1
	s_delay_alu instid0(SALU_CYCLE_1)
	s_or_b32 exec_lo, exec_lo, s5
	v_mov_b64_e32 v[16:17], v[32:33]
.LBB9_9:                                ;   in Loop: Header=BB9_3 Depth=1
	s_or_saveexec_b32 s0, s4
	v_mov_b32_e32 v0, 0
	s_xor_b32 exec_lo, exec_lo, s0
	s_cbranch_execz .LBB9_11
; %bb.10:                               ;   in Loop: Header=BB9_3 Depth=1
	s_wait_loadcnt 0x0
	global_load_b64 v[12:13], v[32:33], off
	v_add_nc_u32_e32 v0, -8, v34
.LBB9_11:                               ;   in Loop: Header=BB9_3 Depth=1
	s_wait_xcnt 0x0
	s_or_b32 exec_lo, exec_lo, s0
	v_add_nc_u64_e32 v[18:19], 8, v[16:17]
                                        ; implicit-def: $vgpr14_vgpr15
	s_mov_b32 s0, exec_lo
	v_cmpx_gt_u32_e32 8, v0
	s_xor_b32 s10, exec_lo, s0
	s_cbranch_execz .LBB9_17
; %bb.12:                               ;   in Loop: Header=BB9_3 Depth=1
	v_mov_b64_e32 v[14:15], 0
	s_mov_b32 s11, exec_lo
	v_cmpx_ne_u32_e32 0, v0
	s_cbranch_execz .LBB9_16
; %bb.13:                               ;   in Loop: Header=BB9_3 Depth=1
	v_mov_b64_e32 v[14:15], 0
	s_mov_b64 s[0:1], 0
	s_mov_b32 s12, 0
	s_mov_b64 s[4:5], 0
.LBB9_14:                               ;   Parent Loop BB9_3 Depth=1
                                        ; =>  This Inner Loop Header: Depth=2
	s_delay_alu instid0(SALU_CYCLE_1) | instskip(SKIP_1) | instid1(SALU_CYCLE_1)
	v_add_nc_u64_e32 v[18:19], s[4:5], v[16:17]
	s_add_nc_u64 s[4:5], s[4:5], 1
	v_cmp_eq_u32_e32 vcc_lo, s4, v0
	global_load_u8 v6, v[18:19], off
	s_wait_xcnt 0x0
	v_mov_b32_e32 v19, s6
	s_or_b32 s12, vcc_lo, s12
	s_wait_loadcnt 0x0
	v_and_b32_e32 v18, 0xffff, v6
	s_delay_alu instid0(VALU_DEP_1) | instskip(SKIP_1) | instid1(VALU_DEP_1)
	v_lshlrev_b64_e32 v[18:19], s0, v[18:19]
	s_add_nc_u64 s[0:1], s[0:1], 8
	v_or_b32_e32 v15, v19, v15
	s_delay_alu instid0(VALU_DEP_2)
	v_or_b32_e32 v14, v18, v14
	s_and_not1_b32 exec_lo, exec_lo, s12
	s_cbranch_execnz .LBB9_14
; %bb.15:                               ;   in Loop: Header=BB9_3 Depth=1
	s_or_b32 exec_lo, exec_lo, s12
.LBB9_16:                               ;   in Loop: Header=BB9_3 Depth=1
	s_delay_alu instid0(SALU_CYCLE_1)
	s_or_b32 exec_lo, exec_lo, s11
	v_mov_b64_e32 v[18:19], v[16:17]
                                        ; implicit-def: $vgpr0
.LBB9_17:                               ;   in Loop: Header=BB9_3 Depth=1
	s_or_saveexec_b32 s0, s10
	v_mov_b32_e32 v6, 0
	s_xor_b32 exec_lo, exec_lo, s0
	s_cbranch_execz .LBB9_19
; %bb.18:                               ;   in Loop: Header=BB9_3 Depth=1
	global_load_b64 v[14:15], v[16:17], off
	v_add_nc_u32_e32 v6, -8, v0
.LBB9_19:                               ;   in Loop: Header=BB9_3 Depth=1
	s_wait_xcnt 0x0
	s_or_b32 exec_lo, exec_lo, s0
	v_add_nc_u64_e32 v[20:21], 8, v[18:19]
	s_mov_b32 s0, exec_lo
	v_cmpx_gt_u32_e32 8, v6
	s_xor_b32 s10, exec_lo, s0
	s_cbranch_execz .LBB9_25
; %bb.20:                               ;   in Loop: Header=BB9_3 Depth=1
	v_mov_b64_e32 v[16:17], 0
	s_mov_b32 s11, exec_lo
	v_cmpx_ne_u32_e32 0, v6
	s_cbranch_execz .LBB9_24
; %bb.21:                               ;   in Loop: Header=BB9_3 Depth=1
	v_mov_b64_e32 v[16:17], 0
	s_mov_b64 s[0:1], 0
	s_mov_b32 s12, 0
	s_mov_b64 s[4:5], 0
.LBB9_22:                               ;   Parent Loop BB9_3 Depth=1
                                        ; =>  This Inner Loop Header: Depth=2
	s_delay_alu instid0(SALU_CYCLE_1) | instskip(SKIP_1) | instid1(SALU_CYCLE_1)
	v_add_nc_u64_e32 v[20:21], s[4:5], v[18:19]
	s_add_nc_u64 s[4:5], s[4:5], 1
	v_cmp_eq_u32_e32 vcc_lo, s4, v6
	global_load_u8 v0, v[20:21], off
	s_wait_xcnt 0x0
	v_mov_b32_e32 v21, s6
	s_or_b32 s12, vcc_lo, s12
	s_wait_loadcnt 0x0
	v_and_b32_e32 v20, 0xffff, v0
	s_delay_alu instid0(VALU_DEP_1) | instskip(SKIP_1) | instid1(VALU_DEP_1)
	v_lshlrev_b64_e32 v[20:21], s0, v[20:21]
	s_add_nc_u64 s[0:1], s[0:1], 8
	v_or_b32_e32 v17, v21, v17
	s_delay_alu instid0(VALU_DEP_2)
	v_or_b32_e32 v16, v20, v16
	s_and_not1_b32 exec_lo, exec_lo, s12
	s_cbranch_execnz .LBB9_22
; %bb.23:                               ;   in Loop: Header=BB9_3 Depth=1
	s_or_b32 exec_lo, exec_lo, s12
.LBB9_24:                               ;   in Loop: Header=BB9_3 Depth=1
	s_delay_alu instid0(SALU_CYCLE_1)
	s_or_b32 exec_lo, exec_lo, s11
	v_mov_b64_e32 v[20:21], v[18:19]
                                        ; implicit-def: $vgpr6
.LBB9_25:                               ;   in Loop: Header=BB9_3 Depth=1
	s_or_saveexec_b32 s0, s10
	v_mov_b32_e32 v0, 0
	s_xor_b32 exec_lo, exec_lo, s0
	s_cbranch_execz .LBB9_27
; %bb.26:                               ;   in Loop: Header=BB9_3 Depth=1
	global_load_b64 v[16:17], v[18:19], off
	v_add_nc_u32_e32 v0, -8, v6
.LBB9_27:                               ;   in Loop: Header=BB9_3 Depth=1
	s_wait_xcnt 0x0
	s_or_b32 exec_lo, exec_lo, s0
	v_add_nc_u64_e32 v[22:23], 8, v[20:21]
                                        ; implicit-def: $vgpr18_vgpr19
	s_mov_b32 s0, exec_lo
	v_cmpx_gt_u32_e32 8, v0
	s_xor_b32 s10, exec_lo, s0
	s_cbranch_execz .LBB9_33
; %bb.28:                               ;   in Loop: Header=BB9_3 Depth=1
	v_mov_b64_e32 v[18:19], 0
	s_mov_b32 s11, exec_lo
	v_cmpx_ne_u32_e32 0, v0
	s_cbranch_execz .LBB9_32
; %bb.29:                               ;   in Loop: Header=BB9_3 Depth=1
	v_mov_b64_e32 v[18:19], 0
	s_mov_b64 s[0:1], 0
	s_mov_b32 s12, 0
	s_mov_b64 s[4:5], 0
.LBB9_30:                               ;   Parent Loop BB9_3 Depth=1
                                        ; =>  This Inner Loop Header: Depth=2
	s_delay_alu instid0(SALU_CYCLE_1) | instskip(SKIP_1) | instid1(SALU_CYCLE_1)
	v_add_nc_u64_e32 v[22:23], s[4:5], v[20:21]
	s_add_nc_u64 s[4:5], s[4:5], 1
	v_cmp_eq_u32_e32 vcc_lo, s4, v0
	global_load_u8 v6, v[22:23], off
	s_wait_xcnt 0x0
	v_mov_b32_e32 v23, s6
	s_or_b32 s12, vcc_lo, s12
	s_wait_loadcnt 0x0
	v_and_b32_e32 v22, 0xffff, v6
	s_delay_alu instid0(VALU_DEP_1) | instskip(SKIP_1) | instid1(VALU_DEP_1)
	v_lshlrev_b64_e32 v[22:23], s0, v[22:23]
	s_add_nc_u64 s[0:1], s[0:1], 8
	v_or_b32_e32 v19, v23, v19
	s_delay_alu instid0(VALU_DEP_2)
	v_or_b32_e32 v18, v22, v18
	s_and_not1_b32 exec_lo, exec_lo, s12
	s_cbranch_execnz .LBB9_30
; %bb.31:                               ;   in Loop: Header=BB9_3 Depth=1
	s_or_b32 exec_lo, exec_lo, s12
.LBB9_32:                               ;   in Loop: Header=BB9_3 Depth=1
	s_delay_alu instid0(SALU_CYCLE_1)
	s_or_b32 exec_lo, exec_lo, s11
	v_mov_b64_e32 v[22:23], v[20:21]
                                        ; implicit-def: $vgpr0
.LBB9_33:                               ;   in Loop: Header=BB9_3 Depth=1
	s_or_saveexec_b32 s0, s10
	v_mov_b32_e32 v6, 0
	s_xor_b32 exec_lo, exec_lo, s0
	s_cbranch_execz .LBB9_35
; %bb.34:                               ;   in Loop: Header=BB9_3 Depth=1
	global_load_b64 v[18:19], v[20:21], off
	v_add_nc_u32_e32 v6, -8, v0
.LBB9_35:                               ;   in Loop: Header=BB9_3 Depth=1
	s_wait_xcnt 0x0
	s_or_b32 exec_lo, exec_lo, s0
	v_add_nc_u64_e32 v[24:25], 8, v[22:23]
	s_mov_b32 s0, exec_lo
	v_cmpx_gt_u32_e32 8, v6
	s_xor_b32 s10, exec_lo, s0
	s_cbranch_execz .LBB9_41
; %bb.36:                               ;   in Loop: Header=BB9_3 Depth=1
	v_mov_b64_e32 v[20:21], 0
	s_mov_b32 s11, exec_lo
	v_cmpx_ne_u32_e32 0, v6
	s_cbranch_execz .LBB9_40
; %bb.37:                               ;   in Loop: Header=BB9_3 Depth=1
	v_mov_b64_e32 v[20:21], 0
	s_mov_b64 s[0:1], 0
	s_mov_b32 s12, 0
	s_mov_b64 s[4:5], 0
.LBB9_38:                               ;   Parent Loop BB9_3 Depth=1
                                        ; =>  This Inner Loop Header: Depth=2
	s_delay_alu instid0(SALU_CYCLE_1) | instskip(SKIP_1) | instid1(SALU_CYCLE_1)
	v_add_nc_u64_e32 v[24:25], s[4:5], v[22:23]
	s_add_nc_u64 s[4:5], s[4:5], 1
	v_cmp_eq_u32_e32 vcc_lo, s4, v6
	global_load_u8 v0, v[24:25], off
	s_wait_xcnt 0x0
	v_mov_b32_e32 v25, s6
	s_or_b32 s12, vcc_lo, s12
	s_wait_loadcnt 0x0
	v_and_b32_e32 v24, 0xffff, v0
	s_delay_alu instid0(VALU_DEP_1) | instskip(SKIP_1) | instid1(VALU_DEP_1)
	v_lshlrev_b64_e32 v[24:25], s0, v[24:25]
	s_add_nc_u64 s[0:1], s[0:1], 8
	v_or_b32_e32 v21, v25, v21
	s_delay_alu instid0(VALU_DEP_2)
	v_or_b32_e32 v20, v24, v20
	s_and_not1_b32 exec_lo, exec_lo, s12
	s_cbranch_execnz .LBB9_38
; %bb.39:                               ;   in Loop: Header=BB9_3 Depth=1
	s_or_b32 exec_lo, exec_lo, s12
.LBB9_40:                               ;   in Loop: Header=BB9_3 Depth=1
	s_delay_alu instid0(SALU_CYCLE_1)
	s_or_b32 exec_lo, exec_lo, s11
	v_mov_b64_e32 v[24:25], v[22:23]
                                        ; implicit-def: $vgpr6
.LBB9_41:                               ;   in Loop: Header=BB9_3 Depth=1
	s_or_saveexec_b32 s0, s10
	v_mov_b32_e32 v0, 0
	s_xor_b32 exec_lo, exec_lo, s0
	s_cbranch_execz .LBB9_43
; %bb.42:                               ;   in Loop: Header=BB9_3 Depth=1
	global_load_b64 v[20:21], v[22:23], off
	v_add_nc_u32_e32 v0, -8, v6
.LBB9_43:                               ;   in Loop: Header=BB9_3 Depth=1
	s_wait_xcnt 0x0
	s_or_b32 exec_lo, exec_lo, s0
	v_add_nc_u64_e32 v[26:27], 8, v[24:25]
                                        ; implicit-def: $vgpr22_vgpr23
	s_mov_b32 s0, exec_lo
	v_cmpx_gt_u32_e32 8, v0
	s_xor_b32 s10, exec_lo, s0
	s_cbranch_execz .LBB9_49
; %bb.44:                               ;   in Loop: Header=BB9_3 Depth=1
	v_mov_b64_e32 v[22:23], 0
	s_mov_b32 s11, exec_lo
	v_cmpx_ne_u32_e32 0, v0
	s_cbranch_execz .LBB9_48
; %bb.45:                               ;   in Loop: Header=BB9_3 Depth=1
	v_mov_b64_e32 v[22:23], 0
	s_mov_b64 s[0:1], 0
	s_mov_b32 s12, 0
	s_mov_b64 s[4:5], 0
.LBB9_46:                               ;   Parent Loop BB9_3 Depth=1
                                        ; =>  This Inner Loop Header: Depth=2
	s_delay_alu instid0(SALU_CYCLE_1) | instskip(SKIP_1) | instid1(SALU_CYCLE_1)
	v_add_nc_u64_e32 v[26:27], s[4:5], v[24:25]
	s_add_nc_u64 s[4:5], s[4:5], 1
	v_cmp_eq_u32_e32 vcc_lo, s4, v0
	global_load_u8 v6, v[26:27], off
	s_wait_xcnt 0x0
	v_mov_b32_e32 v27, s6
	s_or_b32 s12, vcc_lo, s12
	s_wait_loadcnt 0x0
	v_and_b32_e32 v26, 0xffff, v6
	s_delay_alu instid0(VALU_DEP_1) | instskip(SKIP_1) | instid1(VALU_DEP_1)
	v_lshlrev_b64_e32 v[26:27], s0, v[26:27]
	s_add_nc_u64 s[0:1], s[0:1], 8
	v_or_b32_e32 v23, v27, v23
	s_delay_alu instid0(VALU_DEP_2)
	v_or_b32_e32 v22, v26, v22
	s_and_not1_b32 exec_lo, exec_lo, s12
	s_cbranch_execnz .LBB9_46
; %bb.47:                               ;   in Loop: Header=BB9_3 Depth=1
	s_or_b32 exec_lo, exec_lo, s12
.LBB9_48:                               ;   in Loop: Header=BB9_3 Depth=1
	s_delay_alu instid0(SALU_CYCLE_1)
	s_or_b32 exec_lo, exec_lo, s11
	v_mov_b64_e32 v[26:27], v[24:25]
                                        ; implicit-def: $vgpr0
.LBB9_49:                               ;   in Loop: Header=BB9_3 Depth=1
	s_or_saveexec_b32 s0, s10
	v_mov_b32_e32 v6, 0
	s_xor_b32 exec_lo, exec_lo, s0
	s_cbranch_execz .LBB9_51
; %bb.50:                               ;   in Loop: Header=BB9_3 Depth=1
	global_load_b64 v[22:23], v[24:25], off
	v_add_nc_u32_e32 v6, -8, v0
.LBB9_51:                               ;   in Loop: Header=BB9_3 Depth=1
	s_wait_xcnt 0x0
	s_or_b32 exec_lo, exec_lo, s0
	s_delay_alu instid0(SALU_CYCLE_1) | instskip(NEXT) | instid1(VALU_DEP_1)
	s_mov_b32 s0, exec_lo
	v_cmpx_gt_u32_e32 8, v6
	s_xor_b32 s4, exec_lo, s0
	s_cbranch_execz .LBB9_57
; %bb.52:                               ;   in Loop: Header=BB9_3 Depth=1
	v_mov_b64_e32 v[24:25], 0
	s_mov_b32 s5, exec_lo
	v_cmpx_ne_u32_e32 0, v6
	s_cbranch_execz .LBB9_56
; %bb.53:                               ;   in Loop: Header=BB9_3 Depth=1
	v_mov_b64_e32 v[24:25], 0
	s_mov_b64 s[0:1], 0
	s_mov_b32 s10, 0
.LBB9_54:                               ;   Parent Loop BB9_3 Depth=1
                                        ; =>  This Inner Loop Header: Depth=2
	global_load_u8 v0, v[26:27], off
	v_dual_mov_b32 v29, s6 :: v_dual_add_nc_u32 v6, -1, v6
	s_wait_xcnt 0x0
	v_add_nc_u64_e32 v[26:27], 1, v[26:27]
	s_delay_alu instid0(VALU_DEP_2) | instskip(SKIP_3) | instid1(VALU_DEP_1)
	v_cmp_eq_u32_e32 vcc_lo, 0, v6
	s_or_b32 s10, vcc_lo, s10
	s_wait_loadcnt 0x0
	v_and_b32_e32 v28, 0xffff, v0
	v_lshlrev_b64_e32 v[28:29], s0, v[28:29]
	s_add_nc_u64 s[0:1], s[0:1], 8
	s_delay_alu instid0(VALU_DEP_1) | instskip(NEXT) | instid1(VALU_DEP_2)
	v_or_b32_e32 v25, v29, v25
	v_or_b32_e32 v24, v28, v24
	s_and_not1_b32 exec_lo, exec_lo, s10
	s_cbranch_execnz .LBB9_54
; %bb.55:                               ;   in Loop: Header=BB9_3 Depth=1
	s_or_b32 exec_lo, exec_lo, s10
.LBB9_56:                               ;   in Loop: Header=BB9_3 Depth=1
	s_delay_alu instid0(SALU_CYCLE_1)
	s_or_b32 exec_lo, exec_lo, s5
                                        ; implicit-def: $vgpr26_vgpr27
.LBB9_57:                               ;   in Loop: Header=BB9_3 Depth=1
	s_and_not1_saveexec_b32 s0, s4
	s_cbranch_execz .LBB9_59
; %bb.58:                               ;   in Loop: Header=BB9_3 Depth=1
	global_load_b64 v[24:25], v[26:27], off
.LBB9_59:                               ;   in Loop: Header=BB9_3 Depth=1
	s_wait_xcnt 0x0
	s_or_b32 exec_lo, exec_lo, s0
	v_readfirstlane_b32 s0, v30
	v_mov_b64_e32 v[36:37], 0
	s_delay_alu instid0(VALU_DEP_2)
	v_cmp_eq_u32_e64 s0, s0, v30
	s_and_saveexec_b32 s1, s0
	s_cbranch_execz .LBB9_65
; %bb.60:                               ;   in Loop: Header=BB9_3 Depth=1
	s_wait_kmcnt 0x0
	global_load_b64 v[28:29], v7, s[2:3] offset:24 scope:SCOPE_SYS
	s_wait_loadcnt 0x0
	global_inv scope:SCOPE_SYS
	s_clause 0x1
	global_load_b64 v[26:27], v7, s[2:3] offset:40
	global_load_b64 v[36:37], v7, s[2:3]
	s_mov_b32 s4, exec_lo
	s_wait_loadcnt 0x1
	v_and_b32_e32 v26, v26, v28
	v_and_b32_e32 v27, v27, v29
	s_delay_alu instid0(VALU_DEP_1) | instskip(SKIP_1) | instid1(VALU_DEP_1)
	v_mul_u64_e32 v[26:27], 24, v[26:27]
	s_wait_loadcnt 0x0
	v_add_nc_u64_e32 v[26:27], v[36:37], v[26:27]
	global_load_b64 v[26:27], v[26:27], off scope:SCOPE_SYS
	s_wait_xcnt 0x0
	s_wait_loadcnt 0x0
	global_atomic_cmpswap_b64 v[36:37], v7, v[26:29], s[2:3] offset:24 th:TH_ATOMIC_RETURN scope:SCOPE_SYS
	s_wait_loadcnt 0x0
	global_inv scope:SCOPE_SYS
	s_wait_xcnt 0x0
	v_cmpx_ne_u64_e64 v[36:37], v[28:29]
	s_cbranch_execz .LBB9_64
; %bb.61:                               ;   in Loop: Header=BB9_3 Depth=1
	s_mov_b32 s5, 0
.LBB9_62:                               ;   Parent Loop BB9_3 Depth=1
                                        ; =>  This Inner Loop Header: Depth=2
	s_sleep 1
	s_clause 0x1
	global_load_b64 v[26:27], v7, s[2:3] offset:40
	global_load_b64 v[38:39], v7, s[2:3]
	v_mov_b64_e32 v[28:29], v[36:37]
	s_wait_loadcnt 0x1
	s_delay_alu instid0(VALU_DEP_1) | instskip(SKIP_1) | instid1(VALU_DEP_1)
	v_and_b32_e32 v0, v26, v28
	s_wait_loadcnt 0x0
	v_mad_nc_u64_u32 v[36:37], v0, 24, v[38:39]
	s_delay_alu instid0(VALU_DEP_3) | instskip(NEXT) | instid1(VALU_DEP_1)
	v_and_b32_e32 v0, v27, v29
	v_mad_u32 v37, v0, 24, v37
	global_load_b64 v[26:27], v[36:37], off scope:SCOPE_SYS
	s_wait_xcnt 0x0
	s_wait_loadcnt 0x0
	global_atomic_cmpswap_b64 v[36:37], v7, v[26:29], s[2:3] offset:24 th:TH_ATOMIC_RETURN scope:SCOPE_SYS
	s_wait_loadcnt 0x0
	global_inv scope:SCOPE_SYS
	v_cmp_eq_u64_e32 vcc_lo, v[36:37], v[28:29]
	s_or_b32 s5, vcc_lo, s5
	s_wait_xcnt 0x0
	s_and_not1_b32 exec_lo, exec_lo, s5
	s_cbranch_execnz .LBB9_62
; %bb.63:                               ;   in Loop: Header=BB9_3 Depth=1
	s_or_b32 exec_lo, exec_lo, s5
.LBB9_64:                               ;   in Loop: Header=BB9_3 Depth=1
	s_delay_alu instid0(SALU_CYCLE_1)
	s_or_b32 exec_lo, exec_lo, s4
.LBB9_65:                               ;   in Loop: Header=BB9_3 Depth=1
	s_delay_alu instid0(SALU_CYCLE_1)
	s_or_b32 exec_lo, exec_lo, s1
	s_wait_kmcnt 0x0
	s_clause 0x1
	global_load_b64 v[38:39], v7, s[2:3] offset:40
	global_load_b128 v[26:29], v7, s[2:3]
	v_readfirstlane_b32 s4, v36
	v_readfirstlane_b32 s5, v37
	s_mov_b32 s1, exec_lo
	s_wait_loadcnt 0x1
	v_and_b32_e32 v38, s4, v38
	v_and_b32_e32 v39, s5, v39
	s_delay_alu instid0(VALU_DEP_1) | instskip(SKIP_1) | instid1(VALU_DEP_1)
	v_mul_u64_e32 v[36:37], 24, v[38:39]
	s_wait_loadcnt 0x0
	v_add_nc_u64_e32 v[36:37], v[26:27], v[36:37]
	s_wait_xcnt 0x0
	s_and_saveexec_b32 s10, s0
	s_cbranch_execz .LBB9_67
; %bb.66:                               ;   in Loop: Header=BB9_3 Depth=1
	v_mov_b32_e32 v6, s1
	global_store_b128 v[36:37], v[6:9], off offset:8
.LBB9_67:                               ;   in Loop: Header=BB9_3 Depth=1
	s_wait_xcnt 0x0
	s_or_b32 exec_lo, exec_lo, s10
	v_cmp_gt_u64_e32 vcc_lo, 57, v[4:5]
	v_lshlrev_b64_e32 v[38:39], 12, v[38:39]
	v_and_b32_e32 v6, 0xffffff1f, v10
	v_lshl_add_u32 v10, v34, 2, 28
	v_cndmask_b32_e32 v0, 0, v2, vcc_lo
	s_delay_alu instid0(VALU_DEP_4) | instskip(NEXT) | instid1(VALU_DEP_2)
	v_add_nc_u64_e32 v[28:29], v[28:29], v[38:39]
	v_dual_lshlrev_b32 v6, 6, v30 :: v_dual_bitop2_b32 v0, v6, v0 bitop3:0x54
	s_delay_alu instid0(VALU_DEP_2) | instskip(NEXT) | instid1(VALU_DEP_3)
	v_readfirstlane_b32 s10, v28
	v_readfirstlane_b32 s11, v29
	s_delay_alu instid0(VALU_DEP_3)
	v_and_or_b32 v10, 0x1e0, v10, v0
	s_clause 0x3
	global_store_b128 v6, v[10:13], s[10:11]
	global_store_b128 v6, v[14:17], s[10:11] offset:16
	global_store_b128 v6, v[18:21], s[10:11] offset:32
	;; [unrolled: 1-line block ×3, first 2 shown]
	s_wait_xcnt 0x0
	s_and_saveexec_b32 s1, s0
	s_cbranch_execz .LBB9_75
; %bb.68:                               ;   in Loop: Header=BB9_3 Depth=1
	s_clause 0x1
	global_load_b64 v[18:19], v7, s[2:3] offset:32 scope:SCOPE_SYS
	global_load_b64 v[10:11], v7, s[2:3] offset:40
	s_mov_b32 s10, exec_lo
	v_dual_mov_b32 v16, s4 :: v_dual_mov_b32 v17, s5
	s_wait_loadcnt 0x0
	v_and_b32_e32 v11, s5, v11
	v_and_b32_e32 v10, s4, v10
	s_delay_alu instid0(VALU_DEP_1) | instskip(NEXT) | instid1(VALU_DEP_1)
	v_mul_u64_e32 v[10:11], 24, v[10:11]
	v_add_nc_u64_e32 v[14:15], v[26:27], v[10:11]
	global_store_b64 v[14:15], v[18:19], off
	global_wb scope:SCOPE_SYS
	s_wait_storecnt 0x0
	s_wait_xcnt 0x0
	global_atomic_cmpswap_b64 v[12:13], v7, v[16:19], s[2:3] offset:32 th:TH_ATOMIC_RETURN scope:SCOPE_SYS
	s_wait_loadcnt 0x0
	v_cmpx_ne_u64_e64 v[12:13], v[18:19]
	s_cbranch_execz .LBB9_71
; %bb.69:                               ;   in Loop: Header=BB9_3 Depth=1
	s_mov_b32 s11, 0
.LBB9_70:                               ;   Parent Loop BB9_3 Depth=1
                                        ; =>  This Inner Loop Header: Depth=2
	v_dual_mov_b32 v10, s4 :: v_dual_mov_b32 v11, s5
	s_sleep 1
	global_store_b64 v[14:15], v[12:13], off
	global_wb scope:SCOPE_SYS
	s_wait_storecnt 0x0
	s_wait_xcnt 0x0
	global_atomic_cmpswap_b64 v[10:11], v7, v[10:13], s[2:3] offset:32 th:TH_ATOMIC_RETURN scope:SCOPE_SYS
	s_wait_loadcnt 0x0
	v_cmp_eq_u64_e32 vcc_lo, v[10:11], v[12:13]
	v_mov_b64_e32 v[12:13], v[10:11]
	s_or_b32 s11, vcc_lo, s11
	s_delay_alu instid0(SALU_CYCLE_1)
	s_and_not1_b32 exec_lo, exec_lo, s11
	s_cbranch_execnz .LBB9_70
.LBB9_71:                               ;   in Loop: Header=BB9_3 Depth=1
	s_or_b32 exec_lo, exec_lo, s10
	global_load_b64 v[10:11], v7, s[2:3] offset:16
	s_mov_b32 s11, exec_lo
	s_mov_b32 s10, exec_lo
	v_mbcnt_lo_u32_b32 v0, s11, 0
	s_wait_xcnt 0x0
	s_delay_alu instid0(VALU_DEP_1)
	v_cmpx_eq_u32_e32 0, v0
	s_cbranch_execz .LBB9_73
; %bb.72:                               ;   in Loop: Header=BB9_3 Depth=1
	s_bcnt1_i32_b32 s11, s11
	s_delay_alu instid0(SALU_CYCLE_1)
	v_dual_mov_b32 v13, v7 :: v_dual_mov_b32 v12, s11
	global_wb scope:SCOPE_SYS
	s_wait_loadcnt 0x0
	s_wait_storecnt 0x0
	global_atomic_add_u64 v[10:11], v[12:13], off offset:8 scope:SCOPE_SYS
.LBB9_73:                               ;   in Loop: Header=BB9_3 Depth=1
	s_wait_xcnt 0x0
	s_or_b32 exec_lo, exec_lo, s10
	s_wait_loadcnt 0x0
	global_load_b64 v[12:13], v[10:11], off offset:16
	s_wait_loadcnt 0x0
	v_cmp_eq_u64_e32 vcc_lo, 0, v[12:13]
	s_cbranch_vccnz .LBB9_75
; %bb.74:                               ;   in Loop: Header=BB9_3 Depth=1
	global_load_b32 v10, v[10:11], off offset:24
	s_wait_xcnt 0x0
	v_mov_b32_e32 v11, v7
	s_wait_loadcnt 0x0
	v_readfirstlane_b32 s10, v10
	global_wb scope:SCOPE_SYS
	s_wait_storecnt 0x0
	global_store_b64 v[12:13], v[10:11], off scope:SCOPE_SYS
	s_and_b32 m0, s10, 0xffffff
	s_sendmsg sendmsg(MSG_INTERRUPT)
.LBB9_75:                               ;   in Loop: Header=BB9_3 Depth=1
	s_wait_xcnt 0x0
	s_or_b32 exec_lo, exec_lo, s1
	v_add_nc_u64_e32 v[10:11], v[28:29], v[6:7]
	s_branch .LBB9_79
.LBB9_76:                               ;   in Loop: Header=BB9_79 Depth=2
	s_wait_xcnt 0x0
	s_or_b32 exec_lo, exec_lo, s1
	s_delay_alu instid0(VALU_DEP_1)
	v_readfirstlane_b32 s1, v0
	s_cmp_eq_u32 s1, 0
	s_cbranch_scc1 .LBB9_78
; %bb.77:                               ;   in Loop: Header=BB9_79 Depth=2
	s_sleep 1
	s_cbranch_execnz .LBB9_79
	s_branch .LBB9_81
.LBB9_78:                               ;   in Loop: Header=BB9_3 Depth=1
	s_branch .LBB9_81
.LBB9_79:                               ;   Parent Loop BB9_3 Depth=1
                                        ; =>  This Inner Loop Header: Depth=2
	v_mov_b32_e32 v0, 1
	s_and_saveexec_b32 s1, s0
	s_cbranch_execz .LBB9_76
; %bb.80:                               ;   in Loop: Header=BB9_79 Depth=2
	global_load_b32 v0, v[36:37], off offset:20 scope:SCOPE_SYS
	s_wait_loadcnt 0x0
	global_inv scope:SCOPE_SYS
	v_and_b32_e32 v0, 1, v0
	s_branch .LBB9_76
.LBB9_81:                               ;   in Loop: Header=BB9_3 Depth=1
	global_load_b128 v[10:13], v[10:11], off
	s_wait_xcnt 0x0
	s_and_saveexec_b32 s10, s0
	s_cbranch_execz .LBB9_2
; %bb.82:                               ;   in Loop: Header=BB9_3 Depth=1
	s_wait_loadcnt 0x0
	s_clause 0x2
	global_load_b64 v[12:13], v7, s[2:3] offset:40
	global_load_b64 v[20:21], v7, s[2:3] offset:24 scope:SCOPE_SYS
	global_load_b64 v[14:15], v7, s[2:3]
	s_wait_loadcnt 0x2
	v_readfirstlane_b32 s12, v12
	v_readfirstlane_b32 s13, v13
	s_add_nc_u64 s[0:1], s[12:13], 1
	s_delay_alu instid0(SALU_CYCLE_1) | instskip(NEXT) | instid1(SALU_CYCLE_1)
	s_add_nc_u64 s[4:5], s[0:1], s[4:5]
	s_cmp_eq_u64 s[4:5], 0
	s_cselect_b32 s1, s1, s5
	s_cselect_b32 s0, s0, s4
	s_delay_alu instid0(SALU_CYCLE_1) | instskip(SKIP_1) | instid1(SALU_CYCLE_1)
	v_dual_mov_b32 v19, s1 :: v_dual_mov_b32 v18, s0
	s_and_b64 s[4:5], s[0:1], s[12:13]
	s_mul_u64 s[4:5], s[4:5], 24
	s_wait_loadcnt 0x0
	v_add_nc_u64_e32 v[16:17], s[4:5], v[14:15]
	global_store_b64 v[16:17], v[20:21], off
	global_wb scope:SCOPE_SYS
	s_wait_storecnt 0x0
	s_wait_xcnt 0x0
	global_atomic_cmpswap_b64 v[14:15], v7, v[18:21], s[2:3] offset:24 th:TH_ATOMIC_RETURN scope:SCOPE_SYS
	s_wait_loadcnt 0x0
	v_cmp_ne_u64_e32 vcc_lo, v[14:15], v[20:21]
	s_and_b32 exec_lo, exec_lo, vcc_lo
	s_cbranch_execz .LBB9_2
; %bb.83:                               ;   in Loop: Header=BB9_3 Depth=1
	s_mov_b32 s4, 0
.LBB9_84:                               ;   Parent Loop BB9_3 Depth=1
                                        ; =>  This Inner Loop Header: Depth=2
	v_dual_mov_b32 v12, s0 :: v_dual_mov_b32 v13, s1
	s_sleep 1
	global_store_b64 v[16:17], v[14:15], off
	global_wb scope:SCOPE_SYS
	s_wait_storecnt 0x0
	s_wait_xcnt 0x0
	global_atomic_cmpswap_b64 v[12:13], v7, v[12:15], s[2:3] offset:24 th:TH_ATOMIC_RETURN scope:SCOPE_SYS
	s_wait_loadcnt 0x0
	v_cmp_eq_u64_e32 vcc_lo, v[12:13], v[14:15]
	v_mov_b64_e32 v[14:15], v[12:13]
	s_or_b32 s4, vcc_lo, s4
	s_delay_alu instid0(SALU_CYCLE_1)
	s_and_not1_b32 exec_lo, exec_lo, s4
	s_cbranch_execnz .LBB9_84
	s_branch .LBB9_2
.LBB9_85:
	s_or_b32 exec_lo, exec_lo, s7
	s_branch .LBB9_114
.LBB9_86:
	s_load_b64 s[2:3], s[8:9], 0x50
	v_readfirstlane_b32 s0, v30
	v_mov_b64_e32 v[8:9], 0
	s_delay_alu instid0(VALU_DEP_2)
	v_cmp_eq_u32_e64 s0, s0, v30
	s_and_saveexec_b32 s1, s0
	s_cbranch_execz .LBB9_92
; %bb.87:
	v_mov_b32_e32 v0, 0
	s_mov_b32 s4, exec_lo
	s_wait_kmcnt 0x0
	global_load_b64 v[6:7], v0, s[2:3] offset:24 scope:SCOPE_SYS
	s_wait_loadcnt 0x0
	global_inv scope:SCOPE_SYS
	s_clause 0x1
	global_load_b64 v[4:5], v0, s[2:3] offset:40
	global_load_b64 v[8:9], v0, s[2:3]
	s_wait_loadcnt 0x1
	v_and_b32_e32 v4, v4, v6
	v_and_b32_e32 v5, v5, v7
	s_delay_alu instid0(VALU_DEP_1) | instskip(SKIP_1) | instid1(VALU_DEP_1)
	v_mul_u64_e32 v[4:5], 24, v[4:5]
	s_wait_loadcnt 0x0
	v_add_nc_u64_e32 v[4:5], v[8:9], v[4:5]
	global_load_b64 v[4:5], v[4:5], off scope:SCOPE_SYS
	s_wait_xcnt 0x0
	s_wait_loadcnt 0x0
	global_atomic_cmpswap_b64 v[8:9], v0, v[4:7], s[2:3] offset:24 th:TH_ATOMIC_RETURN scope:SCOPE_SYS
	s_wait_loadcnt 0x0
	global_inv scope:SCOPE_SYS
	s_wait_xcnt 0x0
	v_cmpx_ne_u64_e64 v[8:9], v[6:7]
	s_cbranch_execz .LBB9_91
; %bb.88:
	s_mov_b32 s5, 0
.LBB9_89:                               ; =>This Inner Loop Header: Depth=1
	s_sleep 1
	s_clause 0x1
	global_load_b64 v[4:5], v0, s[2:3] offset:40
	global_load_b64 v[10:11], v0, s[2:3]
	v_mov_b64_e32 v[6:7], v[8:9]
	s_wait_loadcnt 0x1
	s_delay_alu instid0(VALU_DEP_1) | instskip(SKIP_1) | instid1(VALU_DEP_1)
	v_and_b32_e32 v2, v4, v6
	s_wait_loadcnt 0x0
	v_mad_nc_u64_u32 v[8:9], v2, 24, v[10:11]
	s_delay_alu instid0(VALU_DEP_3) | instskip(NEXT) | instid1(VALU_DEP_1)
	v_and_b32_e32 v2, v5, v7
	v_mad_u32 v9, v2, 24, v9
	global_load_b64 v[4:5], v[8:9], off scope:SCOPE_SYS
	s_wait_xcnt 0x0
	s_wait_loadcnt 0x0
	global_atomic_cmpswap_b64 v[8:9], v0, v[4:7], s[2:3] offset:24 th:TH_ATOMIC_RETURN scope:SCOPE_SYS
	s_wait_loadcnt 0x0
	global_inv scope:SCOPE_SYS
	v_cmp_eq_u64_e32 vcc_lo, v[8:9], v[6:7]
	s_or_b32 s5, vcc_lo, s5
	s_wait_xcnt 0x0
	s_and_not1_b32 exec_lo, exec_lo, s5
	s_cbranch_execnz .LBB9_89
; %bb.90:
	s_or_b32 exec_lo, exec_lo, s5
.LBB9_91:
	s_delay_alu instid0(SALU_CYCLE_1)
	s_or_b32 exec_lo, exec_lo, s4
.LBB9_92:
	s_delay_alu instid0(SALU_CYCLE_1)
	s_or_b32 exec_lo, exec_lo, s1
	v_readfirstlane_b32 s4, v8
	v_mov_b32_e32 v2, 0
	v_readfirstlane_b32 s5, v9
	s_mov_b32 s1, exec_lo
	s_wait_loadcnt 0x0
	s_wait_kmcnt 0x0
	s_clause 0x1
	global_load_b64 v[10:11], v2, s[2:3] offset:40
	global_load_b128 v[4:7], v2, s[2:3]
	s_wait_loadcnt 0x1
	v_and_b32_e32 v10, s4, v10
	v_and_b32_e32 v11, s5, v11
	s_delay_alu instid0(VALU_DEP_1) | instskip(SKIP_1) | instid1(VALU_DEP_1)
	v_mul_u64_e32 v[8:9], 24, v[10:11]
	s_wait_loadcnt 0x0
	v_add_nc_u64_e32 v[8:9], v[4:5], v[8:9]
	s_wait_xcnt 0x0
	s_and_saveexec_b32 s6, s0
	s_cbranch_execz .LBB9_94
; %bb.93:
	v_mov_b64_e32 v[14:15], 0x100000002
	v_dual_mov_b32 v12, s1 :: v_dual_mov_b32 v13, v2
	global_store_b128 v[8:9], v[12:15], off offset:8
.LBB9_94:
	s_wait_xcnt 0x0
	s_or_b32 exec_lo, exec_lo, s6
	v_lshlrev_b64_e32 v[10:11], 12, v[10:11]
	s_mov_b32 s8, 0
	v_and_or_b32 v0, 0xffffff1f, v3, 32
	s_mov_b32 s10, s8
	s_mov_b32 s11, s8
	s_mov_b32 s9, s8
	v_dual_mov_b32 v3, v2 :: v_dual_lshlrev_b32 v14, 6, v30
	v_add_nc_u64_e32 v[6:7], v[6:7], v[10:11]
	v_mov_b64_e32 v[12:13], s[10:11]
	v_mov_b64_e32 v[10:11], s[8:9]
	s_delay_alu instid0(VALU_DEP_3) | instskip(NEXT) | instid1(VALU_DEP_4)
	v_readfirstlane_b32 s6, v6
	v_readfirstlane_b32 s7, v7
	s_clause 0x3
	global_store_b128 v14, v[0:3], s[6:7]
	global_store_b128 v14, v[10:13], s[6:7] offset:16
	global_store_b128 v14, v[10:13], s[6:7] offset:32
	;; [unrolled: 1-line block ×3, first 2 shown]
	s_wait_xcnt 0x0
	s_and_saveexec_b32 s1, s0
	s_cbranch_execz .LBB9_102
; %bb.95:
	v_dual_mov_b32 v6, 0 :: v_dual_mov_b32 v11, s5
	s_mov_b32 s6, exec_lo
	s_clause 0x1
	global_load_b64 v[12:13], v6, s[2:3] offset:32 scope:SCOPE_SYS
	global_load_b64 v[0:1], v6, s[2:3] offset:40
	s_wait_loadcnt 0x0
	v_dual_mov_b32 v10, s4 :: v_dual_bitop2_b32 v1, s5, v1 bitop3:0x40
	v_and_b32_e32 v0, s4, v0
	s_delay_alu instid0(VALU_DEP_1) | instskip(NEXT) | instid1(VALU_DEP_1)
	v_mul_u64_e32 v[0:1], 24, v[0:1]
	v_add_nc_u64_e32 v[4:5], v[4:5], v[0:1]
	global_store_b64 v[4:5], v[12:13], off
	global_wb scope:SCOPE_SYS
	s_wait_storecnt 0x0
	s_wait_xcnt 0x0
	global_atomic_cmpswap_b64 v[2:3], v6, v[10:13], s[2:3] offset:32 th:TH_ATOMIC_RETURN scope:SCOPE_SYS
	s_wait_loadcnt 0x0
	v_cmpx_ne_u64_e64 v[2:3], v[12:13]
	s_cbranch_execz .LBB9_98
; %bb.96:
	s_mov_b32 s7, 0
.LBB9_97:                               ; =>This Inner Loop Header: Depth=1
	v_dual_mov_b32 v0, s4 :: v_dual_mov_b32 v1, s5
	s_sleep 1
	global_store_b64 v[4:5], v[2:3], off
	global_wb scope:SCOPE_SYS
	s_wait_storecnt 0x0
	s_wait_xcnt 0x0
	global_atomic_cmpswap_b64 v[0:1], v6, v[0:3], s[2:3] offset:32 th:TH_ATOMIC_RETURN scope:SCOPE_SYS
	s_wait_loadcnt 0x0
	v_cmp_eq_u64_e32 vcc_lo, v[0:1], v[2:3]
	v_mov_b64_e32 v[2:3], v[0:1]
	s_or_b32 s7, vcc_lo, s7
	s_delay_alu instid0(SALU_CYCLE_1)
	s_and_not1_b32 exec_lo, exec_lo, s7
	s_cbranch_execnz .LBB9_97
.LBB9_98:
	s_or_b32 exec_lo, exec_lo, s6
	v_mov_b32_e32 v3, 0
	s_mov_b32 s7, exec_lo
	s_mov_b32 s6, exec_lo
	v_mbcnt_lo_u32_b32 v2, s7, 0
	global_load_b64 v[0:1], v3, s[2:3] offset:16
	s_wait_xcnt 0x0
	v_cmpx_eq_u32_e32 0, v2
	s_cbranch_execz .LBB9_100
; %bb.99:
	s_bcnt1_i32_b32 s7, s7
	s_delay_alu instid0(SALU_CYCLE_1)
	v_mov_b32_e32 v2, s7
	global_wb scope:SCOPE_SYS
	s_wait_loadcnt 0x0
	s_wait_storecnt 0x0
	global_atomic_add_u64 v[0:1], v[2:3], off offset:8 scope:SCOPE_SYS
.LBB9_100:
	s_wait_xcnt 0x0
	s_or_b32 exec_lo, exec_lo, s6
	s_wait_loadcnt 0x0
	global_load_b64 v[2:3], v[0:1], off offset:16
	s_wait_loadcnt 0x0
	v_cmp_eq_u64_e32 vcc_lo, 0, v[2:3]
	s_cbranch_vccnz .LBB9_102
; %bb.101:
	global_load_b32 v0, v[0:1], off offset:24
	s_wait_xcnt 0x0
	v_mov_b32_e32 v1, 0
	s_wait_loadcnt 0x0
	v_readfirstlane_b32 s6, v0
	global_wb scope:SCOPE_SYS
	s_wait_storecnt 0x0
	global_store_b64 v[2:3], v[0:1], off scope:SCOPE_SYS
	s_and_b32 m0, s6, 0xffffff
	s_sendmsg sendmsg(MSG_INTERRUPT)
.LBB9_102:
	s_wait_xcnt 0x0
	s_or_b32 exec_lo, exec_lo, s1
	s_branch .LBB9_106
.LBB9_103:                              ;   in Loop: Header=BB9_106 Depth=1
	s_wait_xcnt 0x0
	s_or_b32 exec_lo, exec_lo, s1
	s_delay_alu instid0(VALU_DEP_1)
	v_readfirstlane_b32 s1, v0
	s_cmp_eq_u32 s1, 0
	s_cbranch_scc1 .LBB9_105
; %bb.104:                              ;   in Loop: Header=BB9_106 Depth=1
	s_sleep 1
	s_cbranch_execnz .LBB9_106
	s_branch .LBB9_108
.LBB9_105:
	s_branch .LBB9_108
.LBB9_106:                              ; =>This Inner Loop Header: Depth=1
	v_mov_b32_e32 v0, 1
	s_and_saveexec_b32 s1, s0
	s_cbranch_execz .LBB9_103
; %bb.107:                              ;   in Loop: Header=BB9_106 Depth=1
	global_load_b32 v0, v[8:9], off offset:20 scope:SCOPE_SYS
	s_wait_loadcnt 0x0
	global_inv scope:SCOPE_SYS
	v_and_b32_e32 v0, 1, v0
	s_branch .LBB9_103
.LBB9_108:
	s_and_saveexec_b32 s6, s0
	s_cbranch_execz .LBB9_112
; %bb.109:
	v_mov_b32_e32 v6, 0
	s_clause 0x2
	global_load_b64 v[0:1], v6, s[2:3] offset:40
	global_load_b64 v[10:11], v6, s[2:3] offset:24 scope:SCOPE_SYS
	global_load_b64 v[2:3], v6, s[2:3]
	s_wait_loadcnt 0x2
	v_readfirstlane_b32 s8, v0
	v_readfirstlane_b32 s9, v1
	s_add_nc_u64 s[0:1], s[8:9], 1
	s_delay_alu instid0(SALU_CYCLE_1) | instskip(NEXT) | instid1(SALU_CYCLE_1)
	s_add_nc_u64 s[4:5], s[0:1], s[4:5]
	s_cmp_eq_u64 s[4:5], 0
	s_cselect_b32 s1, s1, s5
	s_cselect_b32 s0, s0, s4
	v_mov_b32_e32 v9, s1
	s_and_b64 s[4:5], s[0:1], s[8:9]
	v_mov_b32_e32 v8, s0
	s_mul_u64 s[4:5], s[4:5], 24
	s_wait_loadcnt 0x0
	v_add_nc_u64_e32 v[4:5], s[4:5], v[2:3]
	global_store_b64 v[4:5], v[10:11], off
	global_wb scope:SCOPE_SYS
	s_wait_storecnt 0x0
	s_wait_xcnt 0x0
	global_atomic_cmpswap_b64 v[2:3], v6, v[8:11], s[2:3] offset:24 th:TH_ATOMIC_RETURN scope:SCOPE_SYS
	s_wait_loadcnt 0x0
	v_cmp_ne_u64_e32 vcc_lo, v[2:3], v[10:11]
	s_and_b32 exec_lo, exec_lo, vcc_lo
	s_cbranch_execz .LBB9_112
; %bb.110:
	s_mov_b32 s4, 0
.LBB9_111:                              ; =>This Inner Loop Header: Depth=1
	v_dual_mov_b32 v0, s0 :: v_dual_mov_b32 v1, s1
	s_sleep 1
	global_store_b64 v[4:5], v[2:3], off
	global_wb scope:SCOPE_SYS
	s_wait_storecnt 0x0
	s_wait_xcnt 0x0
	global_atomic_cmpswap_b64 v[0:1], v6, v[0:3], s[2:3] offset:24 th:TH_ATOMIC_RETURN scope:SCOPE_SYS
	s_wait_loadcnt 0x0
	v_cmp_eq_u64_e32 vcc_lo, v[0:1], v[2:3]
	v_mov_b64_e32 v[2:3], v[0:1]
	s_or_b32 s4, vcc_lo, s4
	s_delay_alu instid0(SALU_CYCLE_1)
	s_and_not1_b32 exec_lo, exec_lo, s4
	s_cbranch_execnz .LBB9_111
.LBB9_112:
	s_or_b32 exec_lo, exec_lo, s6
	s_wait_loadcnt 0x0
	s_wait_kmcnt 0x0
	s_set_pc_i64 s[30:31]
.LBB9_113:
	s_cbranch_execnz .LBB9_86
.LBB9_114:
	s_wait_loadcnt 0x0
	s_wait_kmcnt 0x0
	s_set_pc_i64 s[30:31]
.Lfunc_end9:
	.size	__ockl_fprintf_append_string_n, .Lfunc_end9-__ockl_fprintf_append_string_n
                                        ; -- End function
	.set .L__ockl_fprintf_append_string_n.num_vgpr, 40
	.set .L__ockl_fprintf_append_string_n.num_agpr, 0
	.set .L__ockl_fprintf_append_string_n.numbered_sgpr, 32
	.set .L__ockl_fprintf_append_string_n.num_named_barrier, 0
	.set .L__ockl_fprintf_append_string_n.private_seg_size, 0
	.set .L__ockl_fprintf_append_string_n.uses_vcc, 1
	.set .L__ockl_fprintf_append_string_n.uses_flat_scratch, 0
	.set .L__ockl_fprintf_append_string_n.has_dyn_sized_stack, 0
	.set .L__ockl_fprintf_append_string_n.has_recursion, 0
	.set .L__ockl_fprintf_append_string_n.has_indirect_call, 0
	.section	.AMDGPU.csdata,"",@progbits
; Function info:
; codeLenInByte = 4324
; TotalNumSgprs: 34
; NumVgprs: 40
; ScratchSize: 0
; MemoryBound: 0
	.text
	.p2align	2                               ; -- Begin function __assert_fail
	.type	__assert_fail,@function
__assert_fail:                          ; @__assert_fail
; %bb.0:
	s_wait_loadcnt_dscnt 0x0
	s_wait_kmcnt 0x0
	s_mov_b32 s20, s33
	s_mov_b32 s33, s32
	s_or_saveexec_b32 s0, -1
	scratch_store_b32 off, v40, s33 offset:48 ; 4-byte Folded Spill
	s_wait_xcnt 0x0
	s_mov_b32 exec_lo, s0
	v_writelane_b32 v40, s30, 0
	s_add_co_i32 s32, s32, 64
	v_writelane_b32 v40, s31, 1
	v_mov_b32_e32 v8, 0
	s_get_pc_i64 s[0:1]
	s_add_nc_u64 s[0:1], s[0:1], __const.__assert_fail.fmt@rel64+35
	v_dual_mov_b32 v5, v1 :: v_dual_mov_b32 v4, v0
	s_get_pc_i64 s[10:11]
	s_add_nc_u64 s[10:11], s[10:11], __const.__assert_fail.fmt@rel64+20
	global_load_b128 v[0:3], v8, s[0:1]
	s_wait_xcnt 0x0
	s_get_pc_i64 s[0:1]
	s_add_nc_u64 s[0:1], s[0:1], __const.__assert_fail.fmt@rel64+4
	s_clause 0x1
	s_load_b128 s[4:7], s[0:1], 0x0
	s_load_b128 s[12:15], s[10:11], 0x0
	s_load_b64 s[2:3], s[8:9], 0x50
	v_mbcnt_lo_u32_b32 v48, -1, 0
	v_mov_b64_e32 v[6:7], 0
	s_wait_xcnt 0x0
	s_delay_alu instid0(VALU_DEP_2) | instskip(NEXT) | instid1(VALU_DEP_1)
	v_readfirstlane_b32 s0, v48
	v_cmp_eq_u32_e64 s0, s0, v48
	s_wait_kmcnt 0x0
	v_mov_b64_e32 v[12:13], s[6:7]
	v_mov_b64_e32 v[10:11], s[4:5]
	;; [unrolled: 1-line block ×4, first 2 shown]
	s_clause 0x1
	scratch_store_b128 off, v[10:13], s33
	scratch_store_b128 off, v[14:17], s33 offset:16
	s_wait_loadcnt 0x0
	scratch_store_b128 off, v[0:3], s33 offset:31
	s_wait_xcnt 0x0
	s_and_saveexec_b32 s1, s0
	s_cbranch_execz .LBB10_6
; %bb.1:
	global_load_b64 v[2:3], v8, s[2:3] offset:24 scope:SCOPE_SYS
	s_wait_loadcnt 0x0
	global_inv scope:SCOPE_SYS
	s_clause 0x1
	global_load_b64 v[0:1], v8, s[2:3] offset:40
	global_load_b64 v[6:7], v8, s[2:3]
	s_mov_b32 s4, exec_lo
	s_wait_loadcnt 0x1
	v_and_b32_e32 v0, v0, v2
	v_and_b32_e32 v1, v1, v3
	s_delay_alu instid0(VALU_DEP_1) | instskip(SKIP_1) | instid1(VALU_DEP_1)
	v_mul_u64_e32 v[0:1], 24, v[0:1]
	s_wait_loadcnt 0x0
	v_add_nc_u64_e32 v[0:1], v[6:7], v[0:1]
	global_load_b64 v[0:1], v[0:1], off scope:SCOPE_SYS
	s_wait_xcnt 0x0
	s_wait_loadcnt 0x0
	global_atomic_cmpswap_b64 v[6:7], v8, v[0:3], s[2:3] offset:24 th:TH_ATOMIC_RETURN scope:SCOPE_SYS
	s_wait_loadcnt 0x0
	global_inv scope:SCOPE_SYS
	s_wait_xcnt 0x0
	v_cmpx_ne_u64_e64 v[6:7], v[2:3]
	s_cbranch_execz .LBB10_5
; %bb.2:
	v_mov_b32_e32 v0, 0
	s_mov_b32 s5, 0
.LBB10_3:                               ; =>This Inner Loop Header: Depth=1
	s_sleep 1
	s_clause 0x1
	global_load_b64 v[2:3], v0, s[2:3] offset:40
	global_load_b64 v[10:11], v0, s[2:3]
	v_mov_b64_e32 v[12:13], v[6:7]
	s_wait_loadcnt 0x1
	s_delay_alu instid0(VALU_DEP_1) | instskip(SKIP_1) | instid1(VALU_DEP_1)
	v_and_b32_e32 v1, v2, v12
	s_wait_loadcnt 0x0
	v_mad_nc_u64_u32 v[6:7], v1, 24, v[10:11]
	s_delay_alu instid0(VALU_DEP_3) | instskip(NEXT) | instid1(VALU_DEP_1)
	v_and_b32_e32 v1, v3, v13
	v_mad_u32 v7, v1, 24, v7
	global_load_b64 v[10:11], v[6:7], off scope:SCOPE_SYS
	s_wait_xcnt 0x0
	s_wait_loadcnt 0x0
	global_atomic_cmpswap_b64 v[6:7], v0, v[10:13], s[2:3] offset:24 th:TH_ATOMIC_RETURN scope:SCOPE_SYS
	s_wait_loadcnt 0x0
	global_inv scope:SCOPE_SYS
	v_cmp_eq_u64_e32 vcc_lo, v[6:7], v[12:13]
	s_or_b32 s5, vcc_lo, s5
	s_wait_xcnt 0x0
	s_and_not1_b32 exec_lo, exec_lo, s5
	s_cbranch_execnz .LBB10_3
; %bb.4:
	s_or_b32 exec_lo, exec_lo, s5
.LBB10_5:
	s_delay_alu instid0(SALU_CYCLE_1)
	s_or_b32 exec_lo, exec_lo, s4
.LBB10_6:
	s_delay_alu instid0(SALU_CYCLE_1)
	s_or_b32 exec_lo, exec_lo, s1
	s_clause 0x1
	global_load_b64 v[10:11], v8, s[2:3] offset:40
	global_load_b128 v[0:3], v8, s[2:3]
	v_readfirstlane_b32 s4, v6
	v_readfirstlane_b32 s5, v7
	s_mov_b32 s1, exec_lo
	s_wait_loadcnt 0x1
	s_wait_xcnt 0x0
	v_and_b32_e32 v8, s4, v10
	v_and_b32_e32 v9, s5, v11
	s_delay_alu instid0(VALU_DEP_1) | instskip(SKIP_1) | instid1(VALU_DEP_1)
	v_mul_u64_e32 v[6:7], 24, v[8:9]
	s_wait_loadcnt 0x0
	v_add_nc_u64_e32 v[6:7], v[0:1], v[6:7]
	s_and_saveexec_b32 s6, s0
	s_cbranch_execz .LBB10_8
; %bb.7:
	v_mov_b64_e32 v[12:13], 0x100000002
	v_dual_mov_b32 v10, s1 :: v_dual_mov_b32 v11, 0
	global_store_b128 v[6:7], v[10:13], off offset:8
.LBB10_8:
	s_wait_xcnt 0x0
	s_or_b32 exec_lo, exec_lo, s6
	v_lshlrev_b64_e32 v[8:9], 12, v[8:9]
	s_mov_b32 s12, 0
	v_dual_mov_b32 v31, 0 :: v_dual_lshlrev_b32 v30, 6, v48
	s_mov_b32 s14, s12
	s_mov_b32 s15, s12
	;; [unrolled: 1-line block ×3, first 2 shown]
	s_delay_alu instid0(VALU_DEP_2)
	v_add_nc_u64_e32 v[8:9], v[2:3], v[8:9]
	v_mov_b64_e32 v[16:17], s[14:15]
	v_mov_b64_e32 v[14:15], s[12:13]
	v_dual_mov_b32 v10, 33 :: v_dual_mov_b32 v12, 1
	v_dual_mov_b32 v11, v31 :: v_dual_mov_b32 v13, v31
	v_readfirstlane_b32 s6, v8
	v_readfirstlane_b32 s7, v9
	s_clause 0x3
	global_store_b128 v30, v[10:13], s[6:7]
	global_store_b128 v30, v[14:17], s[6:7] offset:16
	global_store_b128 v30, v[14:17], s[6:7] offset:32
	;; [unrolled: 1-line block ×3, first 2 shown]
	s_wait_xcnt 0x0
	s_and_saveexec_b32 s1, s0
	s_cbranch_execz .LBB10_16
; %bb.9:
	s_clause 0x1
	global_load_b64 v[14:15], v31, s[2:3] offset:32 scope:SCOPE_SYS
	global_load_b64 v[2:3], v31, s[2:3] offset:40
	s_mov_b32 s6, exec_lo
	v_dual_mov_b32 v12, s4 :: v_dual_mov_b32 v13, s5
	s_wait_loadcnt 0x0
	v_and_b32_e32 v3, s5, v3
	v_and_b32_e32 v2, s4, v2
	s_delay_alu instid0(VALU_DEP_1) | instskip(NEXT) | instid1(VALU_DEP_1)
	v_mul_u64_e32 v[2:3], 24, v[2:3]
	v_add_nc_u64_e32 v[10:11], v[0:1], v[2:3]
	global_store_b64 v[10:11], v[14:15], off
	global_wb scope:SCOPE_SYS
	s_wait_storecnt 0x0
	s_wait_xcnt 0x0
	global_atomic_cmpswap_b64 v[2:3], v31, v[12:15], s[2:3] offset:32 th:TH_ATOMIC_RETURN scope:SCOPE_SYS
	s_wait_loadcnt 0x0
	v_cmpx_ne_u64_e64 v[2:3], v[14:15]
	s_cbranch_execz .LBB10_12
; %bb.10:
	v_mov_b32_e32 v12, 0
	s_mov_b32 s7, 0
.LBB10_11:                              ; =>This Inner Loop Header: Depth=1
	v_dual_mov_b32 v0, s4 :: v_dual_mov_b32 v1, s5
	s_sleep 1
	global_store_b64 v[10:11], v[2:3], off
	global_wb scope:SCOPE_SYS
	s_wait_storecnt 0x0
	s_wait_xcnt 0x0
	global_atomic_cmpswap_b64 v[0:1], v12, v[0:3], s[2:3] offset:32 th:TH_ATOMIC_RETURN scope:SCOPE_SYS
	s_wait_loadcnt 0x0
	v_cmp_eq_u64_e32 vcc_lo, v[0:1], v[2:3]
	v_mov_b64_e32 v[2:3], v[0:1]
	s_or_b32 s7, vcc_lo, s7
	s_delay_alu instid0(SALU_CYCLE_1)
	s_and_not1_b32 exec_lo, exec_lo, s7
	s_cbranch_execnz .LBB10_11
.LBB10_12:
	s_or_b32 exec_lo, exec_lo, s6
	v_mov_b32_e32 v3, 0
	s_mov_b32 s7, exec_lo
	s_mov_b32 s6, exec_lo
	v_mbcnt_lo_u32_b32 v2, s7, 0
	global_load_b64 v[0:1], v3, s[2:3] offset:16
	s_wait_xcnt 0x0
	v_cmpx_eq_u32_e32 0, v2
	s_cbranch_execz .LBB10_14
; %bb.13:
	s_bcnt1_i32_b32 s7, s7
	s_delay_alu instid0(SALU_CYCLE_1)
	v_mov_b32_e32 v2, s7
	global_wb scope:SCOPE_SYS
	s_wait_loadcnt 0x0
	s_wait_storecnt 0x0
	global_atomic_add_u64 v[0:1], v[2:3], off offset:8 scope:SCOPE_SYS
.LBB10_14:
	s_wait_xcnt 0x0
	s_or_b32 exec_lo, exec_lo, s6
	s_wait_loadcnt 0x0
	global_load_b64 v[2:3], v[0:1], off offset:16
	s_wait_loadcnt 0x0
	v_cmp_eq_u64_e32 vcc_lo, 0, v[2:3]
	s_cbranch_vccnz .LBB10_16
; %bb.15:
	global_load_b32 v0, v[0:1], off offset:24
	s_wait_xcnt 0x0
	v_mov_b32_e32 v1, 0
	s_wait_loadcnt 0x0
	v_readfirstlane_b32 s6, v0
	global_wb scope:SCOPE_SYS
	s_wait_storecnt 0x0
	global_store_b64 v[2:3], v[0:1], off scope:SCOPE_SYS
	s_and_b32 m0, s6, 0xffffff
	s_sendmsg sendmsg(MSG_INTERRUPT)
.LBB10_16:
	s_wait_xcnt 0x0
	s_or_b32 exec_lo, exec_lo, s1
	v_add_nc_u64_e32 v[0:1], v[8:9], v[30:31]
	s_branch .LBB10_20
.LBB10_17:                              ;   in Loop: Header=BB10_20 Depth=1
	s_wait_xcnt 0x0
	s_or_b32 exec_lo, exec_lo, s1
	s_delay_alu instid0(VALU_DEP_1)
	v_readfirstlane_b32 s1, v2
	s_cmp_eq_u32 s1, 0
	s_cbranch_scc1 .LBB10_19
; %bb.18:                               ;   in Loop: Header=BB10_20 Depth=1
	s_sleep 1
	s_cbranch_execnz .LBB10_20
	s_branch .LBB10_22
.LBB10_19:
	s_branch .LBB10_22
.LBB10_20:                              ; =>This Inner Loop Header: Depth=1
	v_mov_b32_e32 v2, 1
	s_and_saveexec_b32 s1, s0
	s_cbranch_execz .LBB10_17
; %bb.21:                               ;   in Loop: Header=BB10_20 Depth=1
	global_load_b32 v2, v[6:7], off offset:20 scope:SCOPE_SYS
	s_wait_loadcnt 0x0
	global_inv scope:SCOPE_SYS
	v_and_b32_e32 v2, 1, v2
	s_branch .LBB10_17
.LBB10_22:
	global_load_b64 v[6:7], v[0:1], off
	s_wait_xcnt 0x0
	s_and_saveexec_b32 s6, s0
	s_cbranch_execz .LBB10_26
; %bb.23:
	v_mov_b32_e32 v10, 0
	s_clause 0x2
	global_load_b64 v[0:1], v10, s[2:3] offset:40
	global_load_b64 v[14:15], v10, s[2:3] offset:24 scope:SCOPE_SYS
	global_load_b64 v[2:3], v10, s[2:3]
	s_wait_loadcnt 0x2
	v_readfirstlane_b32 s10, v0
	v_readfirstlane_b32 s11, v1
	s_add_nc_u64 s[0:1], s[10:11], 1
	s_delay_alu instid0(SALU_CYCLE_1) | instskip(NEXT) | instid1(SALU_CYCLE_1)
	s_add_nc_u64 s[4:5], s[0:1], s[4:5]
	s_cmp_eq_u64 s[4:5], 0
	s_cselect_b32 s1, s1, s5
	s_cselect_b32 s0, s0, s4
	v_mov_b32_e32 v13, s1
	s_and_b64 s[4:5], s[0:1], s[10:11]
	v_mov_b32_e32 v12, s0
	s_mul_u64 s[4:5], s[4:5], 24
	s_wait_loadcnt 0x0
	v_add_nc_u64_e32 v[8:9], s[4:5], v[2:3]
	global_store_b64 v[8:9], v[14:15], off
	global_wb scope:SCOPE_SYS
	s_wait_storecnt 0x0
	s_wait_xcnt 0x0
	global_atomic_cmpswap_b64 v[2:3], v10, v[12:15], s[2:3] offset:24 th:TH_ATOMIC_RETURN scope:SCOPE_SYS
	s_wait_loadcnt 0x0
	v_cmp_ne_u64_e32 vcc_lo, v[2:3], v[14:15]
	s_and_b32 exec_lo, exec_lo, vcc_lo
	s_cbranch_execz .LBB10_26
; %bb.24:
	s_mov_b32 s4, 0
.LBB10_25:                              ; =>This Inner Loop Header: Depth=1
	v_dual_mov_b32 v0, s0 :: v_dual_mov_b32 v1, s1
	s_sleep 1
	global_store_b64 v[8:9], v[2:3], off
	global_wb scope:SCOPE_SYS
	s_wait_storecnt 0x0
	s_wait_xcnt 0x0
	global_atomic_cmpswap_b64 v[0:1], v10, v[0:3], s[2:3] offset:24 th:TH_ATOMIC_RETURN scope:SCOPE_SYS
	s_wait_loadcnt 0x0
	v_cmp_eq_u64_e32 vcc_lo, v[0:1], v[2:3]
	v_mov_b64_e32 v[2:3], v[0:1]
	s_or_b32 s4, vcc_lo, s4
	s_delay_alu instid0(SALU_CYCLE_1)
	s_and_not1_b32 exec_lo, exec_lo, s4
	s_cbranch_execnz .LBB10_25
.LBB10_26:
	s_or_b32 exec_lo, exec_lo, s6
	s_mov_b32 s1, s33
	s_mov_b32 s0, 0
.LBB10_27:                              ; =>This Inner Loop Header: Depth=1
	scratch_load_u8 v0, off, s1
	s_wait_xcnt 0x0
	s_add_co_i32 s1, s1, 1
	s_wait_loadcnt 0x0
	v_cmp_eq_u16_e32 vcc_lo, 0, v0
	v_mov_b32_e32 v0, s1
	s_or_b32 s0, vcc_lo, s0
	s_delay_alu instid0(SALU_CYCLE_1)
	s_and_not1_b32 exec_lo, exec_lo, s0
	s_cbranch_execnz .LBB10_27
; %bb.28:
	s_or_b32 exec_lo, exec_lo, s0
	s_cmp_lg_u32 s33, -1
	s_cbranch_scc0 .LBB10_113
; %bb.29:
	s_mov_b64 s[0:1], src_flat_scratch_base_lo
	v_mov_b64_e32 v[10:11], 0x100000002
	v_dual_add_nc_u32 v0, s0, v0 :: v_dual_bitop2_b32 v28, 2, v6 bitop3:0x40
	s_add_co_i32 s0, s33, s0
	v_dual_mov_b32 v31, 0 :: v_dual_mov_b32 v29, s33
	s_delay_alu instid0(VALU_DEP_2) | instskip(SKIP_3) | instid1(VALU_DEP_2)
	v_subrev_nc_u32_e32 v32, s0, v0
	v_dual_mov_b32 v1, v7 :: v_dual_bitop2_b32 v0, -3, v6 bitop3:0x40
	s_mov_b32 s7, 0
	s_mov_b32 s6, 0
	v_ashrrev_i32_e32 v33, 31, v32
	s_branch .LBB10_31
.LBB10_30:                              ;   in Loop: Header=BB10_31 Depth=1
	s_or_b32 exec_lo, exec_lo, s10
	v_sub_nc_u64_e32 v[32:33], v[32:33], v[34:35]
	v_add_nc_u32_e32 v29, v29, v34
	s_delay_alu instid0(VALU_DEP_2) | instskip(SKIP_1) | instid1(SALU_CYCLE_1)
	v_cmp_eq_u64_e32 vcc_lo, 0, v[32:33]
	s_or_b32 s6, vcc_lo, s6
	s_and_not1_b32 exec_lo, exec_lo, s6
	s_cbranch_execz .LBB10_192
.LBB10_31:                              ; =>This Loop Header: Depth=1
                                        ;     Child Loop BB10_34 Depth 2
                                        ;     Child Loop BB10_42 Depth 2
	;; [unrolled: 1-line block ×11, first 2 shown]
	s_delay_alu instid0(VALU_DEP_1)
	v_min_u64 v[34:35], v[32:33], 56
	v_add_nc_u32_e32 v9, 8, v29
	s_mov_b32 s0, exec_lo
	v_cmpx_gt_u64_e32 8, v[32:33]
	s_xor_b32 s4, exec_lo, s0
	s_cbranch_execz .LBB10_37
; %bb.32:                               ;   in Loop: Header=BB10_31 Depth=1
	v_mov_b64_e32 v[2:3], 0
	s_mov_b32 s5, exec_lo
	v_cmpx_ne_u64_e32 0, v[32:33]
	s_cbranch_execz .LBB10_36
; %bb.33:                               ;   in Loop: Header=BB10_31 Depth=1
	v_mov_b64_e32 v[2:3], 0
	v_dual_mov_b32 v9, v29 :: v_dual_lshlrev_b32 v8, 3, v34
	s_mov_b64 s[0:1], 0
	s_mov_b32 s10, 0
.LBB10_34:                              ;   Parent Loop BB10_31 Depth=1
                                        ; =>  This Inner Loop Header: Depth=2
	scratch_load_u8 v12, v9, off
	s_wait_xcnt 0x0
	v_dual_mov_b32 v13, s7 :: v_dual_add_nc_u32 v9, 1, v9
	s_wait_loadcnt 0x0
	v_and_b32_e32 v12, 0xffff, v12
	s_delay_alu instid0(VALU_DEP_1) | instskip(SKIP_1) | instid1(SALU_CYCLE_1)
	v_lshlrev_b64_e32 v[12:13], s0, v[12:13]
	s_add_nc_u64 s[0:1], s[0:1], 8
	v_cmp_eq_u32_e32 vcc_lo, s0, v8
	s_delay_alu instid0(VALU_DEP_2) | instskip(NEXT) | instid1(VALU_DEP_3)
	v_or_b32_e32 v3, v13, v3
	v_or_b32_e32 v2, v12, v2
	s_or_b32 s10, vcc_lo, s10
	s_delay_alu instid0(SALU_CYCLE_1)
	s_and_not1_b32 exec_lo, exec_lo, s10
	s_cbranch_execnz .LBB10_34
; %bb.35:                               ;   in Loop: Header=BB10_31 Depth=1
	s_or_b32 exec_lo, exec_lo, s10
.LBB10_36:                              ;   in Loop: Header=BB10_31 Depth=1
	s_delay_alu instid0(SALU_CYCLE_1)
	s_or_b32 exec_lo, exec_lo, s5
	v_mov_b32_e32 v9, v29
.LBB10_37:                              ;   in Loop: Header=BB10_31 Depth=1
	s_or_saveexec_b32 s0, s4
	v_mov_b32_e32 v14, 0
	s_xor_b32 exec_lo, exec_lo, s0
	s_cbranch_execz .LBB10_39
; %bb.38:                               ;   in Loop: Header=BB10_31 Depth=1
	scratch_load_b64 v[2:3], v29, off
	v_add_nc_u32_e32 v14, -8, v34
.LBB10_39:                              ;   in Loop: Header=BB10_31 Depth=1
	s_wait_xcnt 0x0
	s_or_b32 exec_lo, exec_lo, s0
	v_add_nc_u32_e32 v8, 8, v9
                                        ; implicit-def: $vgpr12_vgpr13
	s_mov_b32 s0, exec_lo
	v_cmpx_gt_u32_e32 8, v14
	s_xor_b32 s4, exec_lo, s0
	s_cbranch_execz .LBB10_45
; %bb.40:                               ;   in Loop: Header=BB10_31 Depth=1
	v_mov_b64_e32 v[12:13], 0
	s_mov_b32 s5, exec_lo
	v_cmpx_ne_u32_e32 0, v14
	s_cbranch_execz .LBB10_44
; %bb.41:                               ;   in Loop: Header=BB10_31 Depth=1
	v_mov_b64_e32 v[12:13], 0
	s_mov_b64 s[0:1], 0
	s_mov_b32 s10, 0
	s_mov_b32 s11, 0
.LBB10_42:                              ;   Parent Loop BB10_31 Depth=1
                                        ; =>  This Inner Loop Header: Depth=2
	scratch_load_u8 v8, v9, s11
	v_mov_b32_e32 v17, s7
	s_wait_xcnt 0x0
	s_add_co_i32 s11, s11, 1
	s_delay_alu instid0(SALU_CYCLE_1) | instskip(SKIP_3) | instid1(VALU_DEP_1)
	v_cmp_eq_u32_e32 vcc_lo, s11, v14
	s_or_b32 s10, vcc_lo, s10
	s_wait_loadcnt 0x0
	v_and_b32_e32 v16, 0xffff, v8
	v_lshlrev_b64_e32 v[16:17], s0, v[16:17]
	s_add_nc_u64 s[0:1], s[0:1], 8
	s_delay_alu instid0(VALU_DEP_1) | instskip(NEXT) | instid1(VALU_DEP_2)
	v_or_b32_e32 v13, v17, v13
	v_or_b32_e32 v12, v16, v12
	s_and_not1_b32 exec_lo, exec_lo, s10
	s_cbranch_execnz .LBB10_42
; %bb.43:                               ;   in Loop: Header=BB10_31 Depth=1
	s_or_b32 exec_lo, exec_lo, s10
.LBB10_44:                              ;   in Loop: Header=BB10_31 Depth=1
	s_delay_alu instid0(SALU_CYCLE_1)
	s_or_b32 exec_lo, exec_lo, s5
	v_mov_b32_e32 v8, v9
                                        ; implicit-def: $vgpr14
.LBB10_45:                              ;   in Loop: Header=BB10_31 Depth=1
	s_or_saveexec_b32 s0, s4
	v_mov_b32_e32 v16, 0
	s_xor_b32 exec_lo, exec_lo, s0
	s_cbranch_execz .LBB10_47
; %bb.46:                               ;   in Loop: Header=BB10_31 Depth=1
	scratch_load_b64 v[12:13], v9, off
	v_add_nc_u32_e32 v16, -8, v14
.LBB10_47:                              ;   in Loop: Header=BB10_31 Depth=1
	s_wait_xcnt 0x0
	s_or_b32 exec_lo, exec_lo, s0
	v_add_nc_u32_e32 v9, 8, v8
	s_mov_b32 s0, exec_lo
	v_cmpx_gt_u32_e32 8, v16
	s_xor_b32 s4, exec_lo, s0
	s_cbranch_execz .LBB10_53
; %bb.48:                               ;   in Loop: Header=BB10_31 Depth=1
	v_mov_b64_e32 v[14:15], 0
	s_mov_b32 s5, exec_lo
	v_cmpx_ne_u32_e32 0, v16
	s_cbranch_execz .LBB10_52
; %bb.49:                               ;   in Loop: Header=BB10_31 Depth=1
	v_mov_b64_e32 v[14:15], 0
	s_mov_b64 s[0:1], 0
	s_mov_b32 s10, 0
	s_mov_b32 s11, 0
.LBB10_50:                              ;   Parent Loop BB10_31 Depth=1
                                        ; =>  This Inner Loop Header: Depth=2
	scratch_load_u8 v9, v8, s11
	v_mov_b32_e32 v19, s7
	s_wait_xcnt 0x0
	s_add_co_i32 s11, s11, 1
	s_delay_alu instid0(SALU_CYCLE_1) | instskip(SKIP_3) | instid1(VALU_DEP_1)
	v_cmp_eq_u32_e32 vcc_lo, s11, v16
	s_or_b32 s10, vcc_lo, s10
	s_wait_loadcnt 0x0
	v_and_b32_e32 v18, 0xffff, v9
	v_lshlrev_b64_e32 v[18:19], s0, v[18:19]
	s_add_nc_u64 s[0:1], s[0:1], 8
	s_delay_alu instid0(VALU_DEP_1) | instskip(NEXT) | instid1(VALU_DEP_2)
	v_or_b32_e32 v15, v19, v15
	v_or_b32_e32 v14, v18, v14
	s_and_not1_b32 exec_lo, exec_lo, s10
	s_cbranch_execnz .LBB10_50
; %bb.51:                               ;   in Loop: Header=BB10_31 Depth=1
	s_or_b32 exec_lo, exec_lo, s10
.LBB10_52:                              ;   in Loop: Header=BB10_31 Depth=1
	s_delay_alu instid0(SALU_CYCLE_1)
	s_or_b32 exec_lo, exec_lo, s5
	v_mov_b32_e32 v9, v8
                                        ; implicit-def: $vgpr16
.LBB10_53:                              ;   in Loop: Header=BB10_31 Depth=1
	s_or_saveexec_b32 s0, s4
	v_mov_b32_e32 v18, 0
	s_xor_b32 exec_lo, exec_lo, s0
	s_cbranch_execz .LBB10_55
; %bb.54:                               ;   in Loop: Header=BB10_31 Depth=1
	scratch_load_b64 v[14:15], v8, off
	v_add_nc_u32_e32 v18, -8, v16
.LBB10_55:                              ;   in Loop: Header=BB10_31 Depth=1
	s_wait_xcnt 0x0
	s_or_b32 exec_lo, exec_lo, s0
	v_add_nc_u32_e32 v8, 8, v9
                                        ; implicit-def: $vgpr16_vgpr17
	s_mov_b32 s0, exec_lo
	v_cmpx_gt_u32_e32 8, v18
	s_xor_b32 s4, exec_lo, s0
	s_cbranch_execz .LBB10_61
; %bb.56:                               ;   in Loop: Header=BB10_31 Depth=1
	v_mov_b64_e32 v[16:17], 0
	s_mov_b32 s5, exec_lo
	v_cmpx_ne_u32_e32 0, v18
	s_cbranch_execz .LBB10_60
; %bb.57:                               ;   in Loop: Header=BB10_31 Depth=1
	v_mov_b64_e32 v[16:17], 0
	s_mov_b64 s[0:1], 0
	s_mov_b32 s10, 0
	s_mov_b32 s11, 0
.LBB10_58:                              ;   Parent Loop BB10_31 Depth=1
                                        ; =>  This Inner Loop Header: Depth=2
	scratch_load_u8 v8, v9, s11
	v_mov_b32_e32 v21, s7
	s_wait_xcnt 0x0
	s_add_co_i32 s11, s11, 1
	s_delay_alu instid0(SALU_CYCLE_1) | instskip(SKIP_3) | instid1(VALU_DEP_1)
	v_cmp_eq_u32_e32 vcc_lo, s11, v18
	s_or_b32 s10, vcc_lo, s10
	s_wait_loadcnt 0x0
	v_and_b32_e32 v20, 0xffff, v8
	v_lshlrev_b64_e32 v[20:21], s0, v[20:21]
	s_add_nc_u64 s[0:1], s[0:1], 8
	s_delay_alu instid0(VALU_DEP_1) | instskip(NEXT) | instid1(VALU_DEP_2)
	v_or_b32_e32 v17, v21, v17
	v_or_b32_e32 v16, v20, v16
	s_and_not1_b32 exec_lo, exec_lo, s10
	s_cbranch_execnz .LBB10_58
; %bb.59:                               ;   in Loop: Header=BB10_31 Depth=1
	s_or_b32 exec_lo, exec_lo, s10
.LBB10_60:                              ;   in Loop: Header=BB10_31 Depth=1
	s_delay_alu instid0(SALU_CYCLE_1)
	s_or_b32 exec_lo, exec_lo, s5
	v_mov_b32_e32 v8, v9
                                        ; implicit-def: $vgpr18
.LBB10_61:                              ;   in Loop: Header=BB10_31 Depth=1
	s_or_saveexec_b32 s0, s4
	v_mov_b32_e32 v20, 0
	s_xor_b32 exec_lo, exec_lo, s0
	s_cbranch_execz .LBB10_63
; %bb.62:                               ;   in Loop: Header=BB10_31 Depth=1
	scratch_load_b64 v[16:17], v9, off
	v_add_nc_u32_e32 v20, -8, v18
.LBB10_63:                              ;   in Loop: Header=BB10_31 Depth=1
	s_wait_xcnt 0x0
	s_or_b32 exec_lo, exec_lo, s0
	v_add_nc_u32_e32 v9, 8, v8
	s_mov_b32 s0, exec_lo
	v_cmpx_gt_u32_e32 8, v20
	s_xor_b32 s4, exec_lo, s0
	s_cbranch_execz .LBB10_69
; %bb.64:                               ;   in Loop: Header=BB10_31 Depth=1
	v_mov_b64_e32 v[18:19], 0
	s_mov_b32 s5, exec_lo
	v_cmpx_ne_u32_e32 0, v20
	s_cbranch_execz .LBB10_68
; %bb.65:                               ;   in Loop: Header=BB10_31 Depth=1
	v_mov_b64_e32 v[18:19], 0
	s_mov_b64 s[0:1], 0
	s_mov_b32 s10, 0
	s_mov_b32 s11, 0
.LBB10_66:                              ;   Parent Loop BB10_31 Depth=1
                                        ; =>  This Inner Loop Header: Depth=2
	scratch_load_u8 v9, v8, s11
	v_mov_b32_e32 v23, s7
	s_wait_xcnt 0x0
	s_add_co_i32 s11, s11, 1
	s_delay_alu instid0(SALU_CYCLE_1) | instskip(SKIP_3) | instid1(VALU_DEP_1)
	v_cmp_eq_u32_e32 vcc_lo, s11, v20
	s_or_b32 s10, vcc_lo, s10
	s_wait_loadcnt 0x0
	v_and_b32_e32 v22, 0xffff, v9
	v_lshlrev_b64_e32 v[22:23], s0, v[22:23]
	s_add_nc_u64 s[0:1], s[0:1], 8
	s_delay_alu instid0(VALU_DEP_1) | instskip(NEXT) | instid1(VALU_DEP_2)
	v_or_b32_e32 v19, v23, v19
	v_or_b32_e32 v18, v22, v18
	s_and_not1_b32 exec_lo, exec_lo, s10
	s_cbranch_execnz .LBB10_66
; %bb.67:                               ;   in Loop: Header=BB10_31 Depth=1
	s_or_b32 exec_lo, exec_lo, s10
.LBB10_68:                              ;   in Loop: Header=BB10_31 Depth=1
	s_delay_alu instid0(SALU_CYCLE_1)
	s_or_b32 exec_lo, exec_lo, s5
	v_mov_b32_e32 v9, v8
                                        ; implicit-def: $vgpr20
.LBB10_69:                              ;   in Loop: Header=BB10_31 Depth=1
	s_or_saveexec_b32 s0, s4
	v_mov_b32_e32 v22, 0
	s_xor_b32 exec_lo, exec_lo, s0
	s_cbranch_execz .LBB10_71
; %bb.70:                               ;   in Loop: Header=BB10_31 Depth=1
	scratch_load_b64 v[18:19], v8, off
	v_add_nc_u32_e32 v22, -8, v20
.LBB10_71:                              ;   in Loop: Header=BB10_31 Depth=1
	s_wait_xcnt 0x0
	s_or_b32 exec_lo, exec_lo, s0
	v_add_nc_u32_e32 v8, 8, v9
                                        ; implicit-def: $vgpr20_vgpr21
	s_mov_b32 s0, exec_lo
	v_cmpx_gt_u32_e32 8, v22
	s_xor_b32 s4, exec_lo, s0
	s_cbranch_execz .LBB10_77
; %bb.72:                               ;   in Loop: Header=BB10_31 Depth=1
	v_mov_b64_e32 v[20:21], 0
	s_mov_b32 s5, exec_lo
	v_cmpx_ne_u32_e32 0, v22
	s_cbranch_execz .LBB10_76
; %bb.73:                               ;   in Loop: Header=BB10_31 Depth=1
	v_mov_b64_e32 v[20:21], 0
	s_mov_b64 s[0:1], 0
	s_mov_b32 s10, 0
	s_mov_b32 s11, 0
.LBB10_74:                              ;   Parent Loop BB10_31 Depth=1
                                        ; =>  This Inner Loop Header: Depth=2
	scratch_load_u8 v8, v9, s11
	v_mov_b32_e32 v25, s7
	s_wait_xcnt 0x0
	s_add_co_i32 s11, s11, 1
	s_delay_alu instid0(SALU_CYCLE_1) | instskip(SKIP_3) | instid1(VALU_DEP_1)
	v_cmp_eq_u32_e32 vcc_lo, s11, v22
	s_or_b32 s10, vcc_lo, s10
	s_wait_loadcnt 0x0
	v_and_b32_e32 v24, 0xffff, v8
	v_lshlrev_b64_e32 v[24:25], s0, v[24:25]
	s_add_nc_u64 s[0:1], s[0:1], 8
	s_delay_alu instid0(VALU_DEP_1) | instskip(NEXT) | instid1(VALU_DEP_2)
	v_or_b32_e32 v21, v25, v21
	v_or_b32_e32 v20, v24, v20
	s_and_not1_b32 exec_lo, exec_lo, s10
	s_cbranch_execnz .LBB10_74
; %bb.75:                               ;   in Loop: Header=BB10_31 Depth=1
	s_or_b32 exec_lo, exec_lo, s10
.LBB10_76:                              ;   in Loop: Header=BB10_31 Depth=1
	s_delay_alu instid0(SALU_CYCLE_1)
	s_or_b32 exec_lo, exec_lo, s5
	v_mov_b32_e32 v8, v9
                                        ; implicit-def: $vgpr22
.LBB10_77:                              ;   in Loop: Header=BB10_31 Depth=1
	s_or_saveexec_b32 s0, s4
	v_mov_b32_e32 v24, 0
	s_xor_b32 exec_lo, exec_lo, s0
	s_cbranch_execz .LBB10_79
; %bb.78:                               ;   in Loop: Header=BB10_31 Depth=1
	scratch_load_b64 v[20:21], v9, off
	v_add_nc_u32_e32 v24, -8, v22
.LBB10_79:                              ;   in Loop: Header=BB10_31 Depth=1
	s_wait_xcnt 0x0
	s_or_b32 exec_lo, exec_lo, s0
	s_delay_alu instid0(SALU_CYCLE_1) | instskip(NEXT) | instid1(VALU_DEP_1)
	s_mov_b32 s0, exec_lo
	v_cmpx_gt_u32_e32 8, v24
	s_xor_b32 s4, exec_lo, s0
	s_cbranch_execz .LBB10_85
; %bb.80:                               ;   in Loop: Header=BB10_31 Depth=1
	v_mov_b64_e32 v[22:23], 0
	s_mov_b32 s5, exec_lo
	v_cmpx_ne_u32_e32 0, v24
	s_cbranch_execz .LBB10_84
; %bb.81:                               ;   in Loop: Header=BB10_31 Depth=1
	v_mov_b64_e32 v[22:23], 0
	s_mov_b64 s[0:1], 0
	s_mov_b32 s10, 0
.LBB10_82:                              ;   Parent Loop BB10_31 Depth=1
                                        ; =>  This Inner Loop Header: Depth=2
	scratch_load_u8 v9, v8, off
	v_dual_mov_b32 v27, s7 :: v_dual_add_nc_u32 v24, -1, v24
	s_delay_alu instid0(VALU_DEP_1) | instskip(SKIP_3) | instid1(VALU_DEP_1)
	v_cmp_eq_u32_e32 vcc_lo, 0, v24
	s_or_b32 s10, vcc_lo, s10
	s_wait_loadcnt 0x0
	v_and_b32_e32 v26, 0xffff, v9
	v_lshlrev_b64_e32 v[26:27], s0, v[26:27]
	s_wait_xcnt 0x0
	v_add_nc_u32_e32 v8, 1, v8
	s_add_nc_u64 s[0:1], s[0:1], 8
	s_delay_alu instid0(VALU_DEP_2) | instskip(NEXT) | instid1(VALU_DEP_3)
	v_or_b32_e32 v23, v27, v23
	v_or_b32_e32 v22, v26, v22
	s_and_not1_b32 exec_lo, exec_lo, s10
	s_cbranch_execnz .LBB10_82
; %bb.83:                               ;   in Loop: Header=BB10_31 Depth=1
	s_or_b32 exec_lo, exec_lo, s10
.LBB10_84:                              ;   in Loop: Header=BB10_31 Depth=1
	s_delay_alu instid0(SALU_CYCLE_1)
	s_or_b32 exec_lo, exec_lo, s5
                                        ; implicit-def: $vgpr8
.LBB10_85:                              ;   in Loop: Header=BB10_31 Depth=1
	s_and_not1_saveexec_b32 s0, s4
	s_cbranch_execz .LBB10_87
; %bb.86:                               ;   in Loop: Header=BB10_31 Depth=1
	scratch_load_b64 v[22:23], v8, off
.LBB10_87:                              ;   in Loop: Header=BB10_31 Depth=1
	s_wait_xcnt 0x0
	s_or_b32 exec_lo, exec_lo, s0
	v_readfirstlane_b32 s0, v48
	v_mov_b64_e32 v[8:9], 0
	s_delay_alu instid0(VALU_DEP_2)
	v_cmp_eq_u32_e64 s0, s0, v48
	s_and_saveexec_b32 s1, s0
	s_cbranch_execz .LBB10_93
; %bb.88:                               ;   in Loop: Header=BB10_31 Depth=1
	global_load_b64 v[26:27], v31, s[2:3] offset:24 scope:SCOPE_SYS
	s_wait_loadcnt 0x0
	global_inv scope:SCOPE_SYS
	s_clause 0x1
	global_load_b64 v[8:9], v31, s[2:3] offset:40
	global_load_b64 v[24:25], v31, s[2:3]
	s_mov_b32 s4, exec_lo
	s_wait_loadcnt 0x1
	v_and_b32_e32 v8, v8, v26
	v_and_b32_e32 v9, v9, v27
	s_delay_alu instid0(VALU_DEP_1) | instskip(SKIP_1) | instid1(VALU_DEP_1)
	v_mul_u64_e32 v[8:9], 24, v[8:9]
	s_wait_loadcnt 0x0
	v_add_nc_u64_e32 v[8:9], v[24:25], v[8:9]
	global_load_b64 v[24:25], v[8:9], off scope:SCOPE_SYS
	s_wait_xcnt 0x0
	s_wait_loadcnt 0x0
	global_atomic_cmpswap_b64 v[8:9], v31, v[24:27], s[2:3] offset:24 th:TH_ATOMIC_RETURN scope:SCOPE_SYS
	s_wait_loadcnt 0x0
	global_inv scope:SCOPE_SYS
	s_wait_xcnt 0x0
	v_cmpx_ne_u64_e64 v[8:9], v[26:27]
	s_cbranch_execz .LBB10_92
; %bb.89:                               ;   in Loop: Header=BB10_31 Depth=1
	s_mov_b32 s5, 0
.LBB10_90:                              ;   Parent Loop BB10_31 Depth=1
                                        ; =>  This Inner Loop Header: Depth=2
	s_sleep 1
	s_clause 0x1
	global_load_b64 v[24:25], v31, s[2:3] offset:40
	global_load_b64 v[36:37], v31, s[2:3]
	v_mov_b64_e32 v[26:27], v[8:9]
	s_wait_loadcnt 0x1
	s_delay_alu instid0(VALU_DEP_1) | instskip(NEXT) | instid1(VALU_DEP_2)
	v_and_b32_e32 v8, v24, v26
	v_and_b32_e32 v24, v25, v27
	s_wait_loadcnt 0x0
	s_delay_alu instid0(VALU_DEP_2) | instskip(NEXT) | instid1(VALU_DEP_1)
	v_mad_nc_u64_u32 v[8:9], v8, 24, v[36:37]
	v_mad_u32 v9, v24, 24, v9
	global_load_b64 v[24:25], v[8:9], off scope:SCOPE_SYS
	s_wait_xcnt 0x0
	s_wait_loadcnt 0x0
	global_atomic_cmpswap_b64 v[8:9], v31, v[24:27], s[2:3] offset:24 th:TH_ATOMIC_RETURN scope:SCOPE_SYS
	s_wait_loadcnt 0x0
	global_inv scope:SCOPE_SYS
	v_cmp_eq_u64_e32 vcc_lo, v[8:9], v[26:27]
	s_or_b32 s5, vcc_lo, s5
	s_wait_xcnt 0x0
	s_and_not1_b32 exec_lo, exec_lo, s5
	s_cbranch_execnz .LBB10_90
; %bb.91:                               ;   in Loop: Header=BB10_31 Depth=1
	s_or_b32 exec_lo, exec_lo, s5
.LBB10_92:                              ;   in Loop: Header=BB10_31 Depth=1
	s_delay_alu instid0(SALU_CYCLE_1)
	s_or_b32 exec_lo, exec_lo, s4
.LBB10_93:                              ;   in Loop: Header=BB10_31 Depth=1
	s_delay_alu instid0(SALU_CYCLE_1)
	s_or_b32 exec_lo, exec_lo, s1
	s_clause 0x1
	global_load_b64 v[36:37], v31, s[2:3] offset:40
	global_load_b128 v[24:27], v31, s[2:3]
	v_readfirstlane_b32 s4, v8
	v_readfirstlane_b32 s5, v9
	s_mov_b32 s1, exec_lo
	s_wait_loadcnt 0x1
	v_and_b32_e32 v38, s4, v36
	v_and_b32_e32 v39, s5, v37
	s_delay_alu instid0(VALU_DEP_1) | instskip(SKIP_1) | instid1(VALU_DEP_1)
	v_mul_u64_e32 v[8:9], 24, v[38:39]
	s_wait_loadcnt 0x0
	v_add_nc_u64_e32 v[36:37], v[24:25], v[8:9]
	s_wait_xcnt 0x0
	s_and_saveexec_b32 s10, s0
	s_cbranch_execz .LBB10_95
; %bb.94:                               ;   in Loop: Header=BB10_31 Depth=1
	v_dual_mov_b32 v8, s1 :: v_dual_mov_b32 v9, v31
	global_store_b128 v[36:37], v[8:11], off offset:8
.LBB10_95:                              ;   in Loop: Header=BB10_31 Depth=1
	s_wait_xcnt 0x0
	s_or_b32 exec_lo, exec_lo, s10
	v_cmp_gt_u64_e32 vcc_lo, 57, v[32:33]
	v_lshlrev_b64_e32 v[8:9], 12, v[38:39]
	v_and_b32_e32 v0, 0xffffff1f, v0
	v_lshl_add_u32 v39, v34, 2, 28
	v_cndmask_b32_e32 v38, 0, v28, vcc_lo
	s_delay_alu instid0(VALU_DEP_4) | instskip(NEXT) | instid1(VALU_DEP_2)
	v_add_nc_u64_e32 v[8:9], v[26:27], v[8:9]
	v_or_b32_e32 v0, v0, v38
	s_delay_alu instid0(VALU_DEP_2) | instskip(NEXT) | instid1(VALU_DEP_3)
	v_readfirstlane_b32 s10, v8
	v_readfirstlane_b32 s11, v9
	s_delay_alu instid0(VALU_DEP_3)
	v_and_or_b32 v0, 0x1e0, v39, v0
	s_clause 0x3
	global_store_b128 v30, v[0:3], s[10:11]
	global_store_b128 v30, v[12:15], s[10:11] offset:16
	global_store_b128 v30, v[16:19], s[10:11] offset:32
	;; [unrolled: 1-line block ×3, first 2 shown]
	s_wait_xcnt 0x0
	s_and_saveexec_b32 s1, s0
	s_cbranch_execz .LBB10_103
; %bb.96:                               ;   in Loop: Header=BB10_31 Depth=1
	s_clause 0x1
	global_load_b64 v[16:17], v31, s[2:3] offset:32 scope:SCOPE_SYS
	global_load_b64 v[0:1], v31, s[2:3] offset:40
	s_mov_b32 s10, exec_lo
	v_dual_mov_b32 v14, s4 :: v_dual_mov_b32 v15, s5
	s_wait_loadcnt 0x0
	v_and_b32_e32 v1, s5, v1
	v_and_b32_e32 v0, s4, v0
	s_delay_alu instid0(VALU_DEP_1) | instskip(NEXT) | instid1(VALU_DEP_1)
	v_mul_u64_e32 v[0:1], 24, v[0:1]
	v_add_nc_u64_e32 v[12:13], v[24:25], v[0:1]
	global_store_b64 v[12:13], v[16:17], off
	global_wb scope:SCOPE_SYS
	s_wait_storecnt 0x0
	s_wait_xcnt 0x0
	global_atomic_cmpswap_b64 v[2:3], v31, v[14:17], s[2:3] offset:32 th:TH_ATOMIC_RETURN scope:SCOPE_SYS
	s_wait_loadcnt 0x0
	v_cmpx_ne_u64_e64 v[2:3], v[16:17]
	s_cbranch_execz .LBB10_99
; %bb.97:                               ;   in Loop: Header=BB10_31 Depth=1
	s_mov_b32 s11, 0
.LBB10_98:                              ;   Parent Loop BB10_31 Depth=1
                                        ; =>  This Inner Loop Header: Depth=2
	v_dual_mov_b32 v0, s4 :: v_dual_mov_b32 v1, s5
	s_sleep 1
	global_store_b64 v[12:13], v[2:3], off
	global_wb scope:SCOPE_SYS
	s_wait_storecnt 0x0
	s_wait_xcnt 0x0
	global_atomic_cmpswap_b64 v[0:1], v31, v[0:3], s[2:3] offset:32 th:TH_ATOMIC_RETURN scope:SCOPE_SYS
	s_wait_loadcnt 0x0
	v_cmp_eq_u64_e32 vcc_lo, v[0:1], v[2:3]
	v_mov_b64_e32 v[2:3], v[0:1]
	s_or_b32 s11, vcc_lo, s11
	s_delay_alu instid0(SALU_CYCLE_1)
	s_and_not1_b32 exec_lo, exec_lo, s11
	s_cbranch_execnz .LBB10_98
.LBB10_99:                              ;   in Loop: Header=BB10_31 Depth=1
	s_or_b32 exec_lo, exec_lo, s10
	global_load_b64 v[0:1], v31, s[2:3] offset:16
	s_mov_b32 s11, exec_lo
	s_mov_b32 s10, exec_lo
	v_mbcnt_lo_u32_b32 v2, s11, 0
	s_wait_xcnt 0x0
	s_delay_alu instid0(VALU_DEP_1)
	v_cmpx_eq_u32_e32 0, v2
	s_cbranch_execz .LBB10_101
; %bb.100:                              ;   in Loop: Header=BB10_31 Depth=1
	s_bcnt1_i32_b32 s11, s11
	s_delay_alu instid0(SALU_CYCLE_1)
	v_dual_mov_b32 v3, v31 :: v_dual_mov_b32 v2, s11
	global_wb scope:SCOPE_SYS
	s_wait_loadcnt 0x0
	s_wait_storecnt 0x0
	global_atomic_add_u64 v[0:1], v[2:3], off offset:8 scope:SCOPE_SYS
.LBB10_101:                             ;   in Loop: Header=BB10_31 Depth=1
	s_wait_xcnt 0x0
	s_or_b32 exec_lo, exec_lo, s10
	s_wait_loadcnt 0x0
	global_load_b64 v[2:3], v[0:1], off offset:16
	s_wait_loadcnt 0x0
	v_cmp_eq_u64_e32 vcc_lo, 0, v[2:3]
	s_cbranch_vccnz .LBB10_103
; %bb.102:                              ;   in Loop: Header=BB10_31 Depth=1
	global_load_b32 v0, v[0:1], off offset:24
	s_wait_xcnt 0x0
	v_mov_b32_e32 v1, v31
	s_wait_loadcnt 0x0
	v_readfirstlane_b32 s10, v0
	global_wb scope:SCOPE_SYS
	s_wait_storecnt 0x0
	global_store_b64 v[2:3], v[0:1], off scope:SCOPE_SYS
	s_and_b32 m0, s10, 0xffffff
	s_sendmsg sendmsg(MSG_INTERRUPT)
.LBB10_103:                             ;   in Loop: Header=BB10_31 Depth=1
	s_wait_xcnt 0x0
	s_or_b32 exec_lo, exec_lo, s1
	v_add_nc_u64_e32 v[0:1], v[8:9], v[30:31]
	s_branch .LBB10_107
.LBB10_104:                             ;   in Loop: Header=BB10_107 Depth=2
	s_wait_xcnt 0x0
	s_or_b32 exec_lo, exec_lo, s1
	s_delay_alu instid0(VALU_DEP_1)
	v_readfirstlane_b32 s1, v2
	s_cmp_eq_u32 s1, 0
	s_cbranch_scc1 .LBB10_106
; %bb.105:                              ;   in Loop: Header=BB10_107 Depth=2
	s_sleep 1
	s_cbranch_execnz .LBB10_107
	s_branch .LBB10_109
.LBB10_106:                             ;   in Loop: Header=BB10_31 Depth=1
	s_branch .LBB10_109
.LBB10_107:                             ;   Parent Loop BB10_31 Depth=1
                                        ; =>  This Inner Loop Header: Depth=2
	v_mov_b32_e32 v2, 1
	s_and_saveexec_b32 s1, s0
	s_cbranch_execz .LBB10_104
; %bb.108:                              ;   in Loop: Header=BB10_107 Depth=2
	global_load_b32 v2, v[36:37], off offset:20 scope:SCOPE_SYS
	s_wait_loadcnt 0x0
	global_inv scope:SCOPE_SYS
	v_and_b32_e32 v2, 1, v2
	s_branch .LBB10_104
.LBB10_109:                             ;   in Loop: Header=BB10_31 Depth=1
	global_load_b64 v[0:1], v[0:1], off
	s_wait_xcnt 0x0
	s_and_saveexec_b32 s10, s0
	s_cbranch_execz .LBB10_30
; %bb.110:                              ;   in Loop: Header=BB10_31 Depth=1
	s_clause 0x2
	global_load_b64 v[2:3], v31, s[2:3] offset:40
	global_load_b64 v[16:17], v31, s[2:3] offset:24 scope:SCOPE_SYS
	global_load_b64 v[8:9], v31, s[2:3]
	s_wait_loadcnt 0x2
	v_readfirstlane_b32 s12, v2
	v_readfirstlane_b32 s13, v3
	s_add_nc_u64 s[0:1], s[12:13], 1
	s_delay_alu instid0(SALU_CYCLE_1) | instskip(NEXT) | instid1(SALU_CYCLE_1)
	s_add_nc_u64 s[4:5], s[0:1], s[4:5]
	s_cmp_eq_u64 s[4:5], 0
	s_cselect_b32 s1, s1, s5
	s_cselect_b32 s0, s0, s4
	s_delay_alu instid0(SALU_CYCLE_1) | instskip(SKIP_1) | instid1(SALU_CYCLE_1)
	v_dual_mov_b32 v15, s1 :: v_dual_mov_b32 v14, s0
	s_and_b64 s[4:5], s[0:1], s[12:13]
	s_mul_u64 s[4:5], s[4:5], 24
	s_wait_loadcnt 0x0
	v_add_nc_u64_e32 v[2:3], s[4:5], v[8:9]
	global_store_b64 v[2:3], v[16:17], off
	global_wb scope:SCOPE_SYS
	s_wait_storecnt 0x0
	s_wait_xcnt 0x0
	global_atomic_cmpswap_b64 v[14:15], v31, v[14:17], s[2:3] offset:24 th:TH_ATOMIC_RETURN scope:SCOPE_SYS
	s_wait_loadcnt 0x0
	v_cmp_ne_u64_e32 vcc_lo, v[14:15], v[16:17]
	s_and_b32 exec_lo, exec_lo, vcc_lo
	s_cbranch_execz .LBB10_30
; %bb.111:                              ;   in Loop: Header=BB10_31 Depth=1
	s_mov_b32 s4, 0
.LBB10_112:                             ;   Parent Loop BB10_31 Depth=1
                                        ; =>  This Inner Loop Header: Depth=2
	v_dual_mov_b32 v12, s0 :: v_dual_mov_b32 v13, s1
	s_sleep 1
	global_store_b64 v[2:3], v[14:15], off
	global_wb scope:SCOPE_SYS
	s_wait_storecnt 0x0
	s_wait_xcnt 0x0
	global_atomic_cmpswap_b64 v[8:9], v31, v[12:15], s[2:3] offset:24 th:TH_ATOMIC_RETURN scope:SCOPE_SYS
	s_wait_loadcnt 0x0
	v_cmp_eq_u64_e32 vcc_lo, v[8:9], v[14:15]
	v_mov_b64_e32 v[14:15], v[8:9]
	s_or_b32 s4, vcc_lo, s4
	s_delay_alu instid0(SALU_CYCLE_1)
	s_and_not1_b32 exec_lo, exec_lo, s4
	s_cbranch_execnz .LBB10_112
	s_branch .LBB10_30
.LBB10_113:
                                        ; implicit-def: $vgpr0_vgpr1
	s_cbranch_execnz .LBB10_193
.LBB10_114:
	s_get_pc_i64 s[4:5]
	s_add_nc_u64 s[4:5], s[4:5], .str.4@rel64+4
	s_delay_alu instid0(SALU_CYCLE_1)
	s_cmp_lg_u64 s[4:5], 0
	s_cbranch_scc0 .LBB10_221
.LBB10_115:
	v_mov_b64_e32 v[12:13], 0x100000002
	s_get_pc_i64 s[0:1]
	s_add_nc_u64 s[0:1], s[0:1], .str.4@rel64+97
	s_wait_loadcnt 0x0
	v_dual_mov_b32 v11, 0 :: v_dual_bitop2_b32 v2, 2, v0 bitop3:0x40
	v_dual_mov_b32 v7, v1 :: v_dual_bitop2_b32 v6, -3, v0 bitop3:0x40
	s_sub_co_i32 s6, s0, s4
	s_delay_alu instid0(SALU_CYCLE_1)
	s_ashr_i32 s7, s6, 31
	s_branch .LBB10_117
.LBB10_116:                             ;   in Loop: Header=BB10_117 Depth=1
	s_or_b32 exec_lo, exec_lo, s14
	s_sub_nc_u64 s[6:7], s[6:7], s[10:11]
	s_add_nc_u64 s[4:5], s[4:5], s[10:11]
	s_cmp_lg_u64 s[6:7], 0
	s_cbranch_scc0 .LBB10_215
.LBB10_117:                             ; =>This Loop Header: Depth=1
                                        ;     Child Loop BB10_120 Depth 2
                                        ;     Child Loop BB10_127 Depth 2
	;; [unrolled: 1-line block ×11, first 2 shown]
	v_min_u64 v[8:9], s[6:7], 56
	v_cmp_gt_u64_e64 s0, s[6:7], 7
	s_and_b32 vcc_lo, exec_lo, s0
	v_readfirstlane_b32 s10, v8
	v_readfirstlane_b32 s11, v9
	s_cbranch_vccnz .LBB10_122
; %bb.118:                              ;   in Loop: Header=BB10_117 Depth=1
	v_mov_b64_e32 v[8:9], 0
	s_cmp_eq_u64 s[6:7], 0
	s_cbranch_scc1 .LBB10_121
; %bb.119:                              ;   in Loop: Header=BB10_117 Depth=1
	s_mov_b64 s[0:1], 0
	s_mov_b64 s[12:13], 0
.LBB10_120:                             ;   Parent Loop BB10_117 Depth=1
                                        ; =>  This Inner Loop Header: Depth=2
	s_wait_xcnt 0x0
	s_add_nc_u64 s[14:15], s[4:5], s[12:13]
	s_add_nc_u64 s[12:13], s[12:13], 1
	global_load_u8 v3, v11, s[14:15]
	s_cmp_lg_u32 s10, s12
	s_wait_loadcnt 0x0
	v_and_b32_e32 v10, 0xffff, v3
	s_delay_alu instid0(VALU_DEP_1) | instskip(SKIP_1) | instid1(VALU_DEP_1)
	v_lshlrev_b64_e32 v[14:15], s0, v[10:11]
	s_add_nc_u64 s[0:1], s[0:1], 8
	v_or_b32_e32 v8, v14, v8
	s_delay_alu instid0(VALU_DEP_2)
	v_or_b32_e32 v9, v15, v9
	s_cbranch_scc1 .LBB10_120
.LBB10_121:                             ;   in Loop: Header=BB10_117 Depth=1
	s_mov_b64 s[12:13], s[4:5]
	s_mov_b32 s16, 0
	s_cbranch_execz .LBB10_123
	s_branch .LBB10_124
.LBB10_122:                             ;   in Loop: Header=BB10_117 Depth=1
	s_add_nc_u64 s[12:13], s[4:5], 8
	s_mov_b32 s16, 0
.LBB10_123:                             ;   in Loop: Header=BB10_117 Depth=1
	global_load_b64 v[8:9], v11, s[4:5]
	s_add_co_i32 s16, s10, -8
.LBB10_124:                             ;   in Loop: Header=BB10_117 Depth=1
	s_delay_alu instid0(SALU_CYCLE_1)
	s_cmp_gt_u32 s16, 7
	s_cbranch_scc1 .LBB10_129
; %bb.125:                              ;   in Loop: Header=BB10_117 Depth=1
	v_mov_b64_e32 v[14:15], 0
	s_cmp_eq_u32 s16, 0
	s_cbranch_scc1 .LBB10_128
; %bb.126:                              ;   in Loop: Header=BB10_117 Depth=1
	s_mov_b64 s[0:1], 0
	s_wait_xcnt 0x0
	s_mov_b64 s[14:15], 0
.LBB10_127:                             ;   Parent Loop BB10_117 Depth=1
                                        ; =>  This Inner Loop Header: Depth=2
	s_wait_xcnt 0x0
	s_add_nc_u64 s[18:19], s[12:13], s[14:15]
	s_add_nc_u64 s[14:15], s[14:15], 1
	global_load_u8 v3, v11, s[18:19]
	s_cmp_lg_u32 s16, s14
	s_wait_loadcnt 0x0
	v_and_b32_e32 v10, 0xffff, v3
	s_delay_alu instid0(VALU_DEP_1) | instskip(SKIP_1) | instid1(VALU_DEP_1)
	v_lshlrev_b64_e32 v[16:17], s0, v[10:11]
	s_add_nc_u64 s[0:1], s[0:1], 8
	v_or_b32_e32 v14, v16, v14
	s_delay_alu instid0(VALU_DEP_2)
	v_or_b32_e32 v15, v17, v15
	s_cbranch_scc1 .LBB10_127
.LBB10_128:                             ;   in Loop: Header=BB10_117 Depth=1
	s_wait_xcnt 0x0
	s_mov_b64 s[0:1], s[12:13]
	s_mov_b32 s17, 0
	s_cbranch_execz .LBB10_130
	s_branch .LBB10_131
.LBB10_129:                             ;   in Loop: Header=BB10_117 Depth=1
	s_add_nc_u64 s[0:1], s[12:13], 8
	s_wait_xcnt 0x0
                                        ; implicit-def: $vgpr14_vgpr15
	s_mov_b32 s17, 0
.LBB10_130:                             ;   in Loop: Header=BB10_117 Depth=1
	global_load_b64 v[14:15], v11, s[12:13]
	s_add_co_i32 s17, s16, -8
.LBB10_131:                             ;   in Loop: Header=BB10_117 Depth=1
	s_delay_alu instid0(SALU_CYCLE_1)
	s_cmp_gt_u32 s17, 7
	s_cbranch_scc1 .LBB10_136
; %bb.132:                              ;   in Loop: Header=BB10_117 Depth=1
	v_mov_b64_e32 v[16:17], 0
	s_cmp_eq_u32 s17, 0
	s_cbranch_scc1 .LBB10_135
; %bb.133:                              ;   in Loop: Header=BB10_117 Depth=1
	s_wait_xcnt 0x0
	s_mov_b64 s[12:13], 0
	s_mov_b64 s[14:15], 0
.LBB10_134:                             ;   Parent Loop BB10_117 Depth=1
                                        ; =>  This Inner Loop Header: Depth=2
	s_wait_xcnt 0x0
	s_add_nc_u64 s[18:19], s[0:1], s[14:15]
	s_add_nc_u64 s[14:15], s[14:15], 1
	global_load_u8 v3, v11, s[18:19]
	s_cmp_lg_u32 s17, s14
	s_wait_loadcnt 0x0
	v_and_b32_e32 v10, 0xffff, v3
	s_delay_alu instid0(VALU_DEP_1) | instskip(SKIP_1) | instid1(VALU_DEP_1)
	v_lshlrev_b64_e32 v[18:19], s12, v[10:11]
	s_add_nc_u64 s[12:13], s[12:13], 8
	v_or_b32_e32 v16, v18, v16
	s_delay_alu instid0(VALU_DEP_2)
	v_or_b32_e32 v17, v19, v17
	s_cbranch_scc1 .LBB10_134
.LBB10_135:                             ;   in Loop: Header=BB10_117 Depth=1
	s_wait_xcnt 0x0
	s_mov_b64 s[12:13], s[0:1]
	s_mov_b32 s16, 0
	s_cbranch_execz .LBB10_137
	s_branch .LBB10_138
.LBB10_136:                             ;   in Loop: Header=BB10_117 Depth=1
	s_wait_xcnt 0x0
	s_add_nc_u64 s[12:13], s[0:1], 8
	s_mov_b32 s16, 0
.LBB10_137:                             ;   in Loop: Header=BB10_117 Depth=1
	global_load_b64 v[16:17], v11, s[0:1]
	s_add_co_i32 s16, s17, -8
.LBB10_138:                             ;   in Loop: Header=BB10_117 Depth=1
	s_delay_alu instid0(SALU_CYCLE_1)
	s_cmp_gt_u32 s16, 7
	s_cbranch_scc1 .LBB10_143
; %bb.139:                              ;   in Loop: Header=BB10_117 Depth=1
	v_mov_b64_e32 v[18:19], 0
	s_cmp_eq_u32 s16, 0
	s_cbranch_scc1 .LBB10_142
; %bb.140:                              ;   in Loop: Header=BB10_117 Depth=1
	s_wait_xcnt 0x0
	s_mov_b64 s[0:1], 0
	s_mov_b64 s[14:15], 0
.LBB10_141:                             ;   Parent Loop BB10_117 Depth=1
                                        ; =>  This Inner Loop Header: Depth=2
	s_wait_xcnt 0x0
	s_add_nc_u64 s[18:19], s[12:13], s[14:15]
	s_add_nc_u64 s[14:15], s[14:15], 1
	global_load_u8 v3, v11, s[18:19]
	s_cmp_lg_u32 s16, s14
	s_wait_loadcnt 0x0
	v_and_b32_e32 v10, 0xffff, v3
	s_delay_alu instid0(VALU_DEP_1) | instskip(SKIP_1) | instid1(VALU_DEP_1)
	v_lshlrev_b64_e32 v[20:21], s0, v[10:11]
	s_add_nc_u64 s[0:1], s[0:1], 8
	v_or_b32_e32 v18, v20, v18
	s_delay_alu instid0(VALU_DEP_2)
	v_or_b32_e32 v19, v21, v19
	s_cbranch_scc1 .LBB10_141
.LBB10_142:                             ;   in Loop: Header=BB10_117 Depth=1
	s_wait_xcnt 0x0
	s_mov_b64 s[0:1], s[12:13]
	s_mov_b32 s17, 0
	s_cbranch_execz .LBB10_144
	s_branch .LBB10_145
.LBB10_143:                             ;   in Loop: Header=BB10_117 Depth=1
	s_wait_xcnt 0x0
	s_add_nc_u64 s[0:1], s[12:13], 8
                                        ; implicit-def: $vgpr18_vgpr19
	s_mov_b32 s17, 0
.LBB10_144:                             ;   in Loop: Header=BB10_117 Depth=1
	global_load_b64 v[18:19], v11, s[12:13]
	s_add_co_i32 s17, s16, -8
.LBB10_145:                             ;   in Loop: Header=BB10_117 Depth=1
	s_delay_alu instid0(SALU_CYCLE_1)
	s_cmp_gt_u32 s17, 7
	s_cbranch_scc1 .LBB10_150
; %bb.146:                              ;   in Loop: Header=BB10_117 Depth=1
	v_mov_b64_e32 v[20:21], 0
	s_cmp_eq_u32 s17, 0
	s_cbranch_scc1 .LBB10_149
; %bb.147:                              ;   in Loop: Header=BB10_117 Depth=1
	s_wait_xcnt 0x0
	s_mov_b64 s[12:13], 0
	s_mov_b64 s[14:15], 0
.LBB10_148:                             ;   Parent Loop BB10_117 Depth=1
                                        ; =>  This Inner Loop Header: Depth=2
	s_wait_xcnt 0x0
	s_add_nc_u64 s[18:19], s[0:1], s[14:15]
	s_add_nc_u64 s[14:15], s[14:15], 1
	global_load_u8 v3, v11, s[18:19]
	s_cmp_lg_u32 s17, s14
	s_wait_loadcnt 0x0
	v_and_b32_e32 v10, 0xffff, v3
	s_delay_alu instid0(VALU_DEP_1) | instskip(SKIP_1) | instid1(VALU_DEP_1)
	v_lshlrev_b64_e32 v[22:23], s12, v[10:11]
	s_add_nc_u64 s[12:13], s[12:13], 8
	v_or_b32_e32 v20, v22, v20
	s_delay_alu instid0(VALU_DEP_2)
	v_or_b32_e32 v21, v23, v21
	s_cbranch_scc1 .LBB10_148
.LBB10_149:                             ;   in Loop: Header=BB10_117 Depth=1
	s_wait_xcnt 0x0
	s_mov_b64 s[12:13], s[0:1]
	s_mov_b32 s16, 0
	s_cbranch_execz .LBB10_151
	s_branch .LBB10_152
.LBB10_150:                             ;   in Loop: Header=BB10_117 Depth=1
	s_wait_xcnt 0x0
	s_add_nc_u64 s[12:13], s[0:1], 8
	s_mov_b32 s16, 0
.LBB10_151:                             ;   in Loop: Header=BB10_117 Depth=1
	global_load_b64 v[20:21], v11, s[0:1]
	s_add_co_i32 s16, s17, -8
.LBB10_152:                             ;   in Loop: Header=BB10_117 Depth=1
	s_delay_alu instid0(SALU_CYCLE_1)
	s_cmp_gt_u32 s16, 7
	s_cbranch_scc1 .LBB10_157
; %bb.153:                              ;   in Loop: Header=BB10_117 Depth=1
	v_mov_b64_e32 v[22:23], 0
	s_cmp_eq_u32 s16, 0
	s_cbranch_scc1 .LBB10_156
; %bb.154:                              ;   in Loop: Header=BB10_117 Depth=1
	s_wait_xcnt 0x0
	s_mov_b64 s[0:1], 0
	s_mov_b64 s[14:15], 0
.LBB10_155:                             ;   Parent Loop BB10_117 Depth=1
                                        ; =>  This Inner Loop Header: Depth=2
	s_wait_xcnt 0x0
	s_add_nc_u64 s[18:19], s[12:13], s[14:15]
	s_add_nc_u64 s[14:15], s[14:15], 1
	global_load_u8 v3, v11, s[18:19]
	s_cmp_lg_u32 s16, s14
	s_wait_loadcnt 0x0
	v_and_b32_e32 v10, 0xffff, v3
	s_delay_alu instid0(VALU_DEP_1) | instskip(SKIP_1) | instid1(VALU_DEP_1)
	v_lshlrev_b64_e32 v[24:25], s0, v[10:11]
	s_add_nc_u64 s[0:1], s[0:1], 8
	v_or_b32_e32 v22, v24, v22
	s_delay_alu instid0(VALU_DEP_2)
	v_or_b32_e32 v23, v25, v23
	s_cbranch_scc1 .LBB10_155
.LBB10_156:                             ;   in Loop: Header=BB10_117 Depth=1
	s_wait_xcnt 0x0
	s_mov_b64 s[0:1], s[12:13]
	s_mov_b32 s17, 0
	s_cbranch_execz .LBB10_158
	s_branch .LBB10_159
.LBB10_157:                             ;   in Loop: Header=BB10_117 Depth=1
	s_wait_xcnt 0x0
	s_add_nc_u64 s[0:1], s[12:13], 8
                                        ; implicit-def: $vgpr22_vgpr23
	s_mov_b32 s17, 0
.LBB10_158:                             ;   in Loop: Header=BB10_117 Depth=1
	global_load_b64 v[22:23], v11, s[12:13]
	s_add_co_i32 s17, s16, -8
.LBB10_159:                             ;   in Loop: Header=BB10_117 Depth=1
	s_delay_alu instid0(SALU_CYCLE_1)
	s_cmp_gt_u32 s17, 7
	s_cbranch_scc1 .LBB10_164
; %bb.160:                              ;   in Loop: Header=BB10_117 Depth=1
	v_mov_b64_e32 v[24:25], 0
	s_cmp_eq_u32 s17, 0
	s_cbranch_scc1 .LBB10_163
; %bb.161:                              ;   in Loop: Header=BB10_117 Depth=1
	s_wait_xcnt 0x0
	s_mov_b64 s[12:13], 0
	s_mov_b64 s[14:15], s[0:1]
.LBB10_162:                             ;   Parent Loop BB10_117 Depth=1
                                        ; =>  This Inner Loop Header: Depth=2
	global_load_u8 v3, v11, s[14:15]
	s_add_co_i32 s17, s17, -1
	s_wait_xcnt 0x0
	s_add_nc_u64 s[14:15], s[14:15], 1
	s_cmp_lg_u32 s17, 0
	s_wait_loadcnt 0x0
	v_and_b32_e32 v10, 0xffff, v3
	s_delay_alu instid0(VALU_DEP_1) | instskip(SKIP_1) | instid1(VALU_DEP_1)
	v_lshlrev_b64_e32 v[26:27], s12, v[10:11]
	s_add_nc_u64 s[12:13], s[12:13], 8
	v_or_b32_e32 v24, v26, v24
	s_delay_alu instid0(VALU_DEP_2)
	v_or_b32_e32 v25, v27, v25
	s_cbranch_scc1 .LBB10_162
.LBB10_163:                             ;   in Loop: Header=BB10_117 Depth=1
	s_wait_xcnt 0x0
	s_cbranch_execz .LBB10_165
	s_branch .LBB10_166
.LBB10_164:                             ;   in Loop: Header=BB10_117 Depth=1
	s_wait_xcnt 0x0
.LBB10_165:                             ;   in Loop: Header=BB10_117 Depth=1
	global_load_b64 v[24:25], v11, s[0:1]
.LBB10_166:                             ;   in Loop: Header=BB10_117 Depth=1
	s_wait_xcnt 0x0
	v_readfirstlane_b32 s0, v48
	v_mov_b64_e32 v[32:33], 0
	s_delay_alu instid0(VALU_DEP_2)
	v_cmp_eq_u32_e64 s0, s0, v48
	s_and_saveexec_b32 s1, s0
	s_cbranch_execz .LBB10_172
; %bb.167:                              ;   in Loop: Header=BB10_117 Depth=1
	global_load_b64 v[28:29], v11, s[2:3] offset:24 scope:SCOPE_SYS
	s_wait_loadcnt 0x0
	global_inv scope:SCOPE_SYS
	s_clause 0x1
	global_load_b64 v[26:27], v11, s[2:3] offset:40
	global_load_b64 v[32:33], v11, s[2:3]
	s_mov_b32 s12, exec_lo
	s_wait_loadcnt 0x1
	v_and_b32_e32 v26, v26, v28
	v_and_b32_e32 v27, v27, v29
	s_delay_alu instid0(VALU_DEP_1) | instskip(SKIP_1) | instid1(VALU_DEP_1)
	v_mul_u64_e32 v[26:27], 24, v[26:27]
	s_wait_loadcnt 0x0
	v_add_nc_u64_e32 v[26:27], v[32:33], v[26:27]
	global_load_b64 v[26:27], v[26:27], off scope:SCOPE_SYS
	s_wait_xcnt 0x0
	s_wait_loadcnt 0x0
	global_atomic_cmpswap_b64 v[32:33], v11, v[26:29], s[2:3] offset:24 th:TH_ATOMIC_RETURN scope:SCOPE_SYS
	s_wait_loadcnt 0x0
	global_inv scope:SCOPE_SYS
	s_wait_xcnt 0x0
	v_cmpx_ne_u64_e64 v[32:33], v[28:29]
	s_cbranch_execz .LBB10_171
; %bb.168:                              ;   in Loop: Header=BB10_117 Depth=1
	s_mov_b32 s13, 0
.LBB10_169:                             ;   Parent Loop BB10_117 Depth=1
                                        ; =>  This Inner Loop Header: Depth=2
	s_sleep 1
	s_clause 0x1
	global_load_b64 v[26:27], v11, s[2:3] offset:40
	global_load_b64 v[34:35], v11, s[2:3]
	v_mov_b64_e32 v[28:29], v[32:33]
	s_wait_loadcnt 0x1
	s_delay_alu instid0(VALU_DEP_1) | instskip(SKIP_1) | instid1(VALU_DEP_1)
	v_and_b32_e32 v3, v26, v28
	s_wait_loadcnt 0x0
	v_mad_nc_u64_u32 v[32:33], v3, 24, v[34:35]
	s_delay_alu instid0(VALU_DEP_3) | instskip(NEXT) | instid1(VALU_DEP_1)
	v_and_b32_e32 v3, v27, v29
	v_mad_u32 v33, v3, 24, v33
	global_load_b64 v[26:27], v[32:33], off scope:SCOPE_SYS
	s_wait_xcnt 0x0
	s_wait_loadcnt 0x0
	global_atomic_cmpswap_b64 v[32:33], v11, v[26:29], s[2:3] offset:24 th:TH_ATOMIC_RETURN scope:SCOPE_SYS
	s_wait_loadcnt 0x0
	global_inv scope:SCOPE_SYS
	v_cmp_eq_u64_e32 vcc_lo, v[32:33], v[28:29]
	s_or_b32 s13, vcc_lo, s13
	s_wait_xcnt 0x0
	s_and_not1_b32 exec_lo, exec_lo, s13
	s_cbranch_execnz .LBB10_169
; %bb.170:                              ;   in Loop: Header=BB10_117 Depth=1
	s_or_b32 exec_lo, exec_lo, s13
.LBB10_171:                             ;   in Loop: Header=BB10_117 Depth=1
	s_delay_alu instid0(SALU_CYCLE_1)
	s_or_b32 exec_lo, exec_lo, s12
.LBB10_172:                             ;   in Loop: Header=BB10_117 Depth=1
	s_delay_alu instid0(SALU_CYCLE_1)
	s_or_b32 exec_lo, exec_lo, s1
	s_clause 0x1
	global_load_b64 v[34:35], v11, s[2:3] offset:40
	global_load_b128 v[26:29], v11, s[2:3]
	v_readfirstlane_b32 s12, v32
	v_readfirstlane_b32 s13, v33
	s_mov_b32 s1, exec_lo
	s_wait_loadcnt 0x1
	v_and_b32_e32 v34, s12, v34
	v_and_b32_e32 v35, s13, v35
	s_delay_alu instid0(VALU_DEP_1) | instskip(SKIP_1) | instid1(VALU_DEP_1)
	v_mul_u64_e32 v[32:33], 24, v[34:35]
	s_wait_loadcnt 0x0
	v_add_nc_u64_e32 v[32:33], v[26:27], v[32:33]
	s_wait_xcnt 0x0
	s_and_saveexec_b32 s14, s0
	s_cbranch_execz .LBB10_174
; %bb.173:                              ;   in Loop: Header=BB10_117 Depth=1
	v_mov_b32_e32 v10, s1
	global_store_b128 v[32:33], v[10:13], off offset:8
.LBB10_174:                             ;   in Loop: Header=BB10_117 Depth=1
	s_wait_xcnt 0x0
	s_or_b32 exec_lo, exec_lo, s14
	v_cmp_lt_u64_e64 vcc_lo, s[6:7], 57
	v_lshlrev_b64_e32 v[34:35], 12, v[34:35]
	v_and_b32_e32 v6, 0xffffff1f, v6
	s_lshl_b32 s1, s10, 2
	s_delay_alu instid0(SALU_CYCLE_1) | instskip(SKIP_1) | instid1(VALU_DEP_3)
	s_add_co_i32 s1, s1, 28
	v_cndmask_b32_e32 v3, 0, v2, vcc_lo
	v_add_nc_u64_e32 v[28:29], v[28:29], v[34:35]
	s_delay_alu instid0(VALU_DEP_2) | instskip(NEXT) | instid1(VALU_DEP_2)
	v_or_b32_e32 v3, v6, v3
	v_readfirstlane_b32 s14, v28
	s_delay_alu instid0(VALU_DEP_3) | instskip(NEXT) | instid1(VALU_DEP_3)
	v_readfirstlane_b32 s15, v29
	v_and_or_b32 v6, 0x1e0, s1, v3
	s_clause 0x3
	global_store_b128 v30, v[6:9], s[14:15]
	global_store_b128 v30, v[14:17], s[14:15] offset:16
	global_store_b128 v30, v[18:21], s[14:15] offset:32
	;; [unrolled: 1-line block ×3, first 2 shown]
	s_wait_xcnt 0x0
	s_and_saveexec_b32 s1, s0
	s_cbranch_execz .LBB10_182
; %bb.175:                              ;   in Loop: Header=BB10_117 Depth=1
	s_clause 0x1
	global_load_b64 v[18:19], v11, s[2:3] offset:32 scope:SCOPE_SYS
	global_load_b64 v[6:7], v11, s[2:3] offset:40
	s_mov_b32 s14, exec_lo
	v_dual_mov_b32 v16, s12 :: v_dual_mov_b32 v17, s13
	s_wait_loadcnt 0x0
	v_and_b32_e32 v7, s13, v7
	v_and_b32_e32 v6, s12, v6
	s_delay_alu instid0(VALU_DEP_1) | instskip(NEXT) | instid1(VALU_DEP_1)
	v_mul_u64_e32 v[6:7], 24, v[6:7]
	v_add_nc_u64_e32 v[14:15], v[26:27], v[6:7]
	global_store_b64 v[14:15], v[18:19], off
	global_wb scope:SCOPE_SYS
	s_wait_storecnt 0x0
	s_wait_xcnt 0x0
	global_atomic_cmpswap_b64 v[8:9], v11, v[16:19], s[2:3] offset:32 th:TH_ATOMIC_RETURN scope:SCOPE_SYS
	s_wait_loadcnt 0x0
	v_cmpx_ne_u64_e64 v[8:9], v[18:19]
	s_cbranch_execz .LBB10_178
; %bb.176:                              ;   in Loop: Header=BB10_117 Depth=1
	s_mov_b32 s15, 0
.LBB10_177:                             ;   Parent Loop BB10_117 Depth=1
                                        ; =>  This Inner Loop Header: Depth=2
	v_dual_mov_b32 v6, s12 :: v_dual_mov_b32 v7, s13
	s_sleep 1
	global_store_b64 v[14:15], v[8:9], off
	global_wb scope:SCOPE_SYS
	s_wait_storecnt 0x0
	s_wait_xcnt 0x0
	global_atomic_cmpswap_b64 v[6:7], v11, v[6:9], s[2:3] offset:32 th:TH_ATOMIC_RETURN scope:SCOPE_SYS
	s_wait_loadcnt 0x0
	v_cmp_eq_u64_e32 vcc_lo, v[6:7], v[8:9]
	v_mov_b64_e32 v[8:9], v[6:7]
	s_or_b32 s15, vcc_lo, s15
	s_delay_alu instid0(SALU_CYCLE_1)
	s_and_not1_b32 exec_lo, exec_lo, s15
	s_cbranch_execnz .LBB10_177
.LBB10_178:                             ;   in Loop: Header=BB10_117 Depth=1
	s_or_b32 exec_lo, exec_lo, s14
	global_load_b64 v[6:7], v11, s[2:3] offset:16
	s_mov_b32 s15, exec_lo
	s_mov_b32 s14, exec_lo
	v_mbcnt_lo_u32_b32 v3, s15, 0
	s_wait_xcnt 0x0
	s_delay_alu instid0(VALU_DEP_1)
	v_cmpx_eq_u32_e32 0, v3
	s_cbranch_execz .LBB10_180
; %bb.179:                              ;   in Loop: Header=BB10_117 Depth=1
	s_bcnt1_i32_b32 s15, s15
	s_delay_alu instid0(SALU_CYCLE_1)
	v_mov_b32_e32 v10, s15
	global_wb scope:SCOPE_SYS
	s_wait_loadcnt 0x0
	s_wait_storecnt 0x0
	global_atomic_add_u64 v[6:7], v[10:11], off offset:8 scope:SCOPE_SYS
.LBB10_180:                             ;   in Loop: Header=BB10_117 Depth=1
	s_wait_xcnt 0x0
	s_or_b32 exec_lo, exec_lo, s14
	s_wait_loadcnt 0x0
	global_load_b64 v[8:9], v[6:7], off offset:16
	s_wait_loadcnt 0x0
	v_cmp_eq_u64_e32 vcc_lo, 0, v[8:9]
	s_cbranch_vccnz .LBB10_182
; %bb.181:                              ;   in Loop: Header=BB10_117 Depth=1
	global_load_b32 v10, v[6:7], off offset:24
	s_wait_loadcnt 0x0
	v_readfirstlane_b32 s14, v10
	global_wb scope:SCOPE_SYS
	s_wait_storecnt 0x0
	s_wait_xcnt 0x0
	global_store_b64 v[8:9], v[10:11], off scope:SCOPE_SYS
	s_and_b32 m0, s14, 0xffffff
	s_sendmsg sendmsg(MSG_INTERRUPT)
.LBB10_182:                             ;   in Loop: Header=BB10_117 Depth=1
	s_wait_xcnt 0x0
	s_or_b32 exec_lo, exec_lo, s1
	v_mov_b32_e32 v31, v11
	s_delay_alu instid0(VALU_DEP_1)
	v_add_nc_u64_e32 v[6:7], v[28:29], v[30:31]
	s_branch .LBB10_186
.LBB10_183:                             ;   in Loop: Header=BB10_186 Depth=2
	s_wait_xcnt 0x0
	s_or_b32 exec_lo, exec_lo, s1
	s_delay_alu instid0(VALU_DEP_1)
	v_readfirstlane_b32 s1, v3
	s_cmp_eq_u32 s1, 0
	s_cbranch_scc1 .LBB10_185
; %bb.184:                              ;   in Loop: Header=BB10_186 Depth=2
	s_sleep 1
	s_cbranch_execnz .LBB10_186
	s_branch .LBB10_188
.LBB10_185:                             ;   in Loop: Header=BB10_117 Depth=1
	s_branch .LBB10_188
.LBB10_186:                             ;   Parent Loop BB10_117 Depth=1
                                        ; =>  This Inner Loop Header: Depth=2
	v_mov_b32_e32 v3, 1
	s_and_saveexec_b32 s1, s0
	s_cbranch_execz .LBB10_183
; %bb.187:                              ;   in Loop: Header=BB10_186 Depth=2
	global_load_b32 v3, v[32:33], off offset:20 scope:SCOPE_SYS
	s_wait_loadcnt 0x0
	global_inv scope:SCOPE_SYS
	v_and_b32_e32 v3, 1, v3
	s_branch .LBB10_183
.LBB10_188:                             ;   in Loop: Header=BB10_117 Depth=1
	global_load_b64 v[6:7], v[6:7], off
	s_wait_xcnt 0x0
	s_and_saveexec_b32 s14, s0
	s_cbranch_execz .LBB10_116
; %bb.189:                              ;   in Loop: Header=BB10_117 Depth=1
	s_clause 0x2
	global_load_b64 v[8:9], v11, s[2:3] offset:40
	global_load_b64 v[18:19], v11, s[2:3] offset:24 scope:SCOPE_SYS
	global_load_b64 v[14:15], v11, s[2:3]
	s_wait_loadcnt 0x2
	v_readfirstlane_b32 s16, v8
	v_readfirstlane_b32 s17, v9
	s_add_nc_u64 s[0:1], s[16:17], 1
	s_delay_alu instid0(SALU_CYCLE_1) | instskip(NEXT) | instid1(SALU_CYCLE_1)
	s_add_nc_u64 s[12:13], s[0:1], s[12:13]
	s_cmp_eq_u64 s[12:13], 0
	s_cselect_b32 s1, s1, s13
	s_cselect_b32 s0, s0, s12
	s_delay_alu instid0(SALU_CYCLE_1) | instskip(SKIP_1) | instid1(SALU_CYCLE_1)
	v_dual_mov_b32 v17, s1 :: v_dual_mov_b32 v16, s0
	s_and_b64 s[12:13], s[0:1], s[16:17]
	s_mul_u64 s[12:13], s[12:13], 24
	s_wait_loadcnt 0x0
	v_add_nc_u64_e32 v[8:9], s[12:13], v[14:15]
	global_store_b64 v[8:9], v[18:19], off
	global_wb scope:SCOPE_SYS
	s_wait_storecnt 0x0
	s_wait_xcnt 0x0
	global_atomic_cmpswap_b64 v[16:17], v11, v[16:19], s[2:3] offset:24 th:TH_ATOMIC_RETURN scope:SCOPE_SYS
	s_wait_loadcnt 0x0
	v_cmp_ne_u64_e32 vcc_lo, v[16:17], v[18:19]
	s_and_b32 exec_lo, exec_lo, vcc_lo
	s_cbranch_execz .LBB10_116
; %bb.190:                              ;   in Loop: Header=BB10_117 Depth=1
	s_mov_b32 s12, 0
.LBB10_191:                             ;   Parent Loop BB10_117 Depth=1
                                        ; =>  This Inner Loop Header: Depth=2
	v_dual_mov_b32 v14, s0 :: v_dual_mov_b32 v15, s1
	s_sleep 1
	global_store_b64 v[8:9], v[16:17], off
	global_wb scope:SCOPE_SYS
	s_wait_storecnt 0x0
	s_wait_xcnt 0x0
	global_atomic_cmpswap_b64 v[14:15], v11, v[14:17], s[2:3] offset:24 th:TH_ATOMIC_RETURN scope:SCOPE_SYS
	s_wait_loadcnt 0x0
	v_cmp_eq_u64_e32 vcc_lo, v[14:15], v[16:17]
	v_mov_b64_e32 v[16:17], v[14:15]
	s_or_b32 s12, vcc_lo, s12
	s_delay_alu instid0(SALU_CYCLE_1)
	s_and_not1_b32 exec_lo, exec_lo, s12
	s_cbranch_execnz .LBB10_191
	s_branch .LBB10_116
.LBB10_192:
	s_or_b32 exec_lo, exec_lo, s6
	s_branch .LBB10_114
.LBB10_193:
	v_readfirstlane_b32 s0, v48
	v_mov_b64_e32 v[8:9], 0
	s_delay_alu instid0(VALU_DEP_2)
	v_cmp_eq_u32_e64 s0, s0, v48
	s_and_saveexec_b32 s1, s0
	s_cbranch_execz .LBB10_199
; %bb.194:
	s_wait_loadcnt 0x0
	v_mov_b32_e32 v0, 0
	s_mov_b32 s4, exec_lo
	global_load_b64 v[10:11], v0, s[2:3] offset:24 scope:SCOPE_SYS
	s_wait_loadcnt 0x0
	global_inv scope:SCOPE_SYS
	s_clause 0x1
	global_load_b64 v[2:3], v0, s[2:3] offset:40
	global_load_b64 v[8:9], v0, s[2:3]
	s_wait_loadcnt 0x1
	v_and_b32_e32 v2, v2, v10
	v_and_b32_e32 v3, v3, v11
	s_delay_alu instid0(VALU_DEP_1) | instskip(SKIP_1) | instid1(VALU_DEP_1)
	v_mul_u64_e32 v[2:3], 24, v[2:3]
	s_wait_loadcnt 0x0
	v_add_nc_u64_e32 v[2:3], v[8:9], v[2:3]
	global_load_b64 v[8:9], v[2:3], off scope:SCOPE_SYS
	s_wait_xcnt 0x0
	s_wait_loadcnt 0x0
	global_atomic_cmpswap_b64 v[8:9], v0, v[8:11], s[2:3] offset:24 th:TH_ATOMIC_RETURN scope:SCOPE_SYS
	s_wait_loadcnt 0x0
	global_inv scope:SCOPE_SYS
	s_wait_xcnt 0x0
	v_cmpx_ne_u64_e64 v[8:9], v[10:11]
	s_cbranch_execz .LBB10_198
; %bb.195:
	s_mov_b32 s5, 0
.LBB10_196:                             ; =>This Inner Loop Header: Depth=1
	s_sleep 1
	s_clause 0x1
	global_load_b64 v[2:3], v0, s[2:3] offset:40
	global_load_b64 v[12:13], v0, s[2:3]
	v_mov_b64_e32 v[10:11], v[8:9]
	s_wait_loadcnt 0x1
	s_delay_alu instid0(VALU_DEP_1) | instskip(SKIP_1) | instid1(VALU_DEP_1)
	v_and_b32_e32 v1, v2, v10
	s_wait_loadcnt 0x0
	v_mad_nc_u64_u32 v[8:9], v1, 24, v[12:13]
	s_delay_alu instid0(VALU_DEP_3) | instskip(NEXT) | instid1(VALU_DEP_1)
	v_and_b32_e32 v1, v3, v11
	v_mad_u32 v9, v1, 24, v9
	global_load_b64 v[8:9], v[8:9], off scope:SCOPE_SYS
	s_wait_xcnt 0x0
	s_wait_loadcnt 0x0
	global_atomic_cmpswap_b64 v[8:9], v0, v[8:11], s[2:3] offset:24 th:TH_ATOMIC_RETURN scope:SCOPE_SYS
	s_wait_loadcnt 0x0
	global_inv scope:SCOPE_SYS
	v_cmp_eq_u64_e32 vcc_lo, v[8:9], v[10:11]
	s_or_b32 s5, vcc_lo, s5
	s_wait_xcnt 0x0
	s_and_not1_b32 exec_lo, exec_lo, s5
	s_cbranch_execnz .LBB10_196
; %bb.197:
	s_or_b32 exec_lo, exec_lo, s5
.LBB10_198:
	s_delay_alu instid0(SALU_CYCLE_1)
	s_or_b32 exec_lo, exec_lo, s4
.LBB10_199:
	s_delay_alu instid0(SALU_CYCLE_1)
	s_or_b32 exec_lo, exec_lo, s1
	v_readfirstlane_b32 s4, v8
	v_mov_b32_e32 v31, 0
	v_readfirstlane_b32 s5, v9
	s_mov_b32 s1, exec_lo
	global_load_b64 v[10:11], v31, s[2:3] offset:40
	s_wait_loadcnt 0x1
	global_load_b128 v[0:3], v31, s[2:3]
	s_wait_loadcnt 0x1
	v_and_b32_e32 v8, s4, v10
	v_and_b32_e32 v9, s5, v11
	s_delay_alu instid0(VALU_DEP_1) | instskip(SKIP_1) | instid1(VALU_DEP_1)
	v_mul_u64_e32 v[10:11], 24, v[8:9]
	s_wait_loadcnt 0x0
	v_add_nc_u64_e32 v[10:11], v[0:1], v[10:11]
	s_wait_xcnt 0x0
	s_and_saveexec_b32 s6, s0
	s_cbranch_execz .LBB10_201
; %bb.200:
	v_mov_b64_e32 v[14:15], 0x100000002
	v_dual_mov_b32 v12, s1 :: v_dual_mov_b32 v13, v31
	global_store_b128 v[10:11], v[12:15], off offset:8
.LBB10_201:
	s_wait_xcnt 0x0
	s_or_b32 exec_lo, exec_lo, s6
	v_lshlrev_b64_e32 v[8:9], 12, v[8:9]
	s_mov_b32 s12, 0
	v_and_or_b32 v6, 0xffffff1f, v6, 32
	s_mov_b32 s14, s12
	s_mov_b32 s15, s12
	;; [unrolled: 1-line block ×3, first 2 shown]
	v_mov_b64_e32 v[16:17], s[14:15]
	v_add_nc_u64_e32 v[12:13], v[2:3], v[8:9]
	v_mov_b64_e32 v[14:15], s[12:13]
	v_dual_mov_b32 v8, v31 :: v_dual_mov_b32 v9, v31
	s_delay_alu instid0(VALU_DEP_3) | instskip(NEXT) | instid1(VALU_DEP_4)
	v_readfirstlane_b32 s6, v12
	v_readfirstlane_b32 s7, v13
	s_clause 0x3
	global_store_b128 v30, v[6:9], s[6:7]
	global_store_b128 v30, v[14:17], s[6:7] offset:16
	global_store_b128 v30, v[14:17], s[6:7] offset:32
	;; [unrolled: 1-line block ×3, first 2 shown]
	s_wait_xcnt 0x0
	s_and_saveexec_b32 s1, s0
	s_cbranch_execz .LBB10_209
; %bb.202:
	v_dual_mov_b32 v8, 0 :: v_dual_mov_b32 v15, s5
	s_mov_b32 s6, exec_lo
	s_clause 0x1
	global_load_b64 v[16:17], v8, s[2:3] offset:32 scope:SCOPE_SYS
	global_load_b64 v[2:3], v8, s[2:3] offset:40
	s_wait_loadcnt 0x0
	v_dual_mov_b32 v14, s4 :: v_dual_bitop2_b32 v3, s5, v3 bitop3:0x40
	v_and_b32_e32 v2, s4, v2
	s_delay_alu instid0(VALU_DEP_1) | instskip(NEXT) | instid1(VALU_DEP_1)
	v_mul_u64_e32 v[2:3], 24, v[2:3]
	v_add_nc_u64_e32 v[6:7], v[0:1], v[2:3]
	global_store_b64 v[6:7], v[16:17], off
	global_wb scope:SCOPE_SYS
	s_wait_storecnt 0x0
	s_wait_xcnt 0x0
	global_atomic_cmpswap_b64 v[2:3], v8, v[14:17], s[2:3] offset:32 th:TH_ATOMIC_RETURN scope:SCOPE_SYS
	s_wait_loadcnt 0x0
	v_cmpx_ne_u64_e64 v[2:3], v[16:17]
	s_cbranch_execz .LBB10_205
; %bb.203:
	s_mov_b32 s7, 0
.LBB10_204:                             ; =>This Inner Loop Header: Depth=1
	v_dual_mov_b32 v0, s4 :: v_dual_mov_b32 v1, s5
	s_sleep 1
	global_store_b64 v[6:7], v[2:3], off
	global_wb scope:SCOPE_SYS
	s_wait_storecnt 0x0
	s_wait_xcnt 0x0
	global_atomic_cmpswap_b64 v[0:1], v8, v[0:3], s[2:3] offset:32 th:TH_ATOMIC_RETURN scope:SCOPE_SYS
	s_wait_loadcnt 0x0
	v_cmp_eq_u64_e32 vcc_lo, v[0:1], v[2:3]
	v_mov_b64_e32 v[2:3], v[0:1]
	s_or_b32 s7, vcc_lo, s7
	s_delay_alu instid0(SALU_CYCLE_1)
	s_and_not1_b32 exec_lo, exec_lo, s7
	s_cbranch_execnz .LBB10_204
.LBB10_205:
	s_or_b32 exec_lo, exec_lo, s6
	v_mov_b32_e32 v3, 0
	s_mov_b32 s7, exec_lo
	s_mov_b32 s6, exec_lo
	v_mbcnt_lo_u32_b32 v2, s7, 0
	global_load_b64 v[0:1], v3, s[2:3] offset:16
	s_wait_xcnt 0x0
	v_cmpx_eq_u32_e32 0, v2
	s_cbranch_execz .LBB10_207
; %bb.206:
	s_bcnt1_i32_b32 s7, s7
	s_delay_alu instid0(SALU_CYCLE_1)
	v_mov_b32_e32 v2, s7
	global_wb scope:SCOPE_SYS
	s_wait_loadcnt 0x0
	s_wait_storecnt 0x0
	global_atomic_add_u64 v[0:1], v[2:3], off offset:8 scope:SCOPE_SYS
.LBB10_207:
	s_wait_xcnt 0x0
	s_or_b32 exec_lo, exec_lo, s6
	s_wait_loadcnt 0x0
	global_load_b64 v[2:3], v[0:1], off offset:16
	s_wait_loadcnt 0x0
	v_cmp_eq_u64_e32 vcc_lo, 0, v[2:3]
	s_cbranch_vccnz .LBB10_209
; %bb.208:
	global_load_b32 v0, v[0:1], off offset:24
	s_wait_xcnt 0x0
	v_mov_b32_e32 v1, 0
	s_wait_loadcnt 0x0
	v_readfirstlane_b32 s6, v0
	global_wb scope:SCOPE_SYS
	s_wait_storecnt 0x0
	global_store_b64 v[2:3], v[0:1], off scope:SCOPE_SYS
	s_and_b32 m0, s6, 0xffffff
	s_sendmsg sendmsg(MSG_INTERRUPT)
.LBB10_209:
	s_wait_xcnt 0x0
	s_or_b32 exec_lo, exec_lo, s1
	v_add_nc_u64_e32 v[0:1], v[12:13], v[30:31]
	s_branch .LBB10_213
.LBB10_210:                             ;   in Loop: Header=BB10_213 Depth=1
	s_wait_xcnt 0x0
	s_or_b32 exec_lo, exec_lo, s1
	s_delay_alu instid0(VALU_DEP_1)
	v_readfirstlane_b32 s1, v2
	s_cmp_eq_u32 s1, 0
	s_cbranch_scc1 .LBB10_212
; %bb.211:                              ;   in Loop: Header=BB10_213 Depth=1
	s_sleep 1
	s_cbranch_execnz .LBB10_213
	s_branch .LBB10_216
.LBB10_212:
	s_branch .LBB10_216
.LBB10_213:                             ; =>This Inner Loop Header: Depth=1
	v_mov_b32_e32 v2, 1
	s_and_saveexec_b32 s1, s0
	s_cbranch_execz .LBB10_210
; %bb.214:                              ;   in Loop: Header=BB10_213 Depth=1
	global_load_b32 v2, v[10:11], off offset:20 scope:SCOPE_SYS
	s_wait_loadcnt 0x0
	global_inv scope:SCOPE_SYS
	v_and_b32_e32 v2, 1, v2
	s_branch .LBB10_210
.LBB10_215:
	s_branch .LBB10_249
.LBB10_216:
	global_load_b64 v[0:1], v[0:1], off
	s_wait_xcnt 0x0
	s_and_saveexec_b32 s6, s0
	s_cbranch_execz .LBB10_220
; %bb.217:
	v_mov_b32_e32 v10, 0
	s_clause 0x2
	global_load_b64 v[2:3], v10, s[2:3] offset:40
	global_load_b64 v[14:15], v10, s[2:3] offset:24 scope:SCOPE_SYS
	global_load_b64 v[6:7], v10, s[2:3]
	s_wait_loadcnt 0x2
	v_readfirstlane_b32 s10, v2
	v_readfirstlane_b32 s11, v3
	s_add_nc_u64 s[0:1], s[10:11], 1
	s_delay_alu instid0(SALU_CYCLE_1) | instskip(NEXT) | instid1(SALU_CYCLE_1)
	s_add_nc_u64 s[4:5], s[0:1], s[4:5]
	s_cmp_eq_u64 s[4:5], 0
	s_cselect_b32 s1, s1, s5
	s_cselect_b32 s0, s0, s4
	v_mov_b32_e32 v13, s1
	s_and_b64 s[4:5], s[0:1], s[10:11]
	v_mov_b32_e32 v12, s0
	s_mul_u64 s[4:5], s[4:5], 24
	s_wait_loadcnt 0x0
	v_add_nc_u64_e32 v[2:3], s[4:5], v[6:7]
	global_store_b64 v[2:3], v[14:15], off
	global_wb scope:SCOPE_SYS
	s_wait_storecnt 0x0
	s_wait_xcnt 0x0
	global_atomic_cmpswap_b64 v[8:9], v10, v[12:15], s[2:3] offset:24 th:TH_ATOMIC_RETURN scope:SCOPE_SYS
	s_wait_loadcnt 0x0
	v_cmp_ne_u64_e32 vcc_lo, v[8:9], v[14:15]
	s_and_b32 exec_lo, exec_lo, vcc_lo
	s_cbranch_execz .LBB10_220
; %bb.218:
	s_mov_b32 s4, 0
.LBB10_219:                             ; =>This Inner Loop Header: Depth=1
	v_dual_mov_b32 v6, s0 :: v_dual_mov_b32 v7, s1
	s_sleep 1
	global_store_b64 v[2:3], v[8:9], off
	global_wb scope:SCOPE_SYS
	s_wait_storecnt 0x0
	s_wait_xcnt 0x0
	global_atomic_cmpswap_b64 v[6:7], v10, v[6:9], s[2:3] offset:24 th:TH_ATOMIC_RETURN scope:SCOPE_SYS
	s_wait_loadcnt 0x0
	v_cmp_eq_u64_e32 vcc_lo, v[6:7], v[8:9]
	v_mov_b64_e32 v[8:9], v[6:7]
	s_or_b32 s4, vcc_lo, s4
	s_delay_alu instid0(SALU_CYCLE_1)
	s_and_not1_b32 exec_lo, exec_lo, s4
	s_cbranch_execnz .LBB10_219
.LBB10_220:
	s_or_b32 exec_lo, exec_lo, s6
	s_get_pc_i64 s[4:5]
	s_add_nc_u64 s[4:5], s[4:5], .str.4@rel64+4
	s_delay_alu instid0(SALU_CYCLE_1)
	s_cmp_lg_u64 s[4:5], 0
	s_cbranch_scc1 .LBB10_115
.LBB10_221:
                                        ; implicit-def: $vgpr6_vgpr7
	s_cbranch_execz .LBB10_249
; %bb.222:
	v_readfirstlane_b32 s0, v48
	v_mov_b64_e32 v[2:3], 0
	s_delay_alu instid0(VALU_DEP_2)
	v_cmp_eq_u32_e64 s0, s0, v48
	s_and_saveexec_b32 s1, s0
	s_cbranch_execz .LBB10_228
; %bb.223:
	s_wait_loadcnt 0x0
	v_mov_b32_e32 v6, 0
	s_mov_b32 s4, exec_lo
	global_load_b64 v[10:11], v6, s[2:3] offset:24 scope:SCOPE_SYS
	s_wait_loadcnt 0x0
	global_inv scope:SCOPE_SYS
	s_clause 0x1
	global_load_b64 v[2:3], v6, s[2:3] offset:40
	global_load_b64 v[8:9], v6, s[2:3]
	s_wait_loadcnt 0x1
	v_and_b32_e32 v2, v2, v10
	v_and_b32_e32 v3, v3, v11
	s_delay_alu instid0(VALU_DEP_1) | instskip(SKIP_1) | instid1(VALU_DEP_1)
	v_mul_u64_e32 v[2:3], 24, v[2:3]
	s_wait_loadcnt 0x0
	v_add_nc_u64_e32 v[2:3], v[8:9], v[2:3]
	global_load_b64 v[8:9], v[2:3], off scope:SCOPE_SYS
	s_wait_xcnt 0x0
	s_wait_loadcnt 0x0
	global_atomic_cmpswap_b64 v[2:3], v6, v[8:11], s[2:3] offset:24 th:TH_ATOMIC_RETURN scope:SCOPE_SYS
	s_wait_loadcnt 0x0
	global_inv scope:SCOPE_SYS
	s_wait_xcnt 0x0
	v_cmpx_ne_u64_e64 v[2:3], v[10:11]
	s_cbranch_execz .LBB10_227
; %bb.224:
	s_mov_b32 s5, 0
.LBB10_225:                             ; =>This Inner Loop Header: Depth=1
	s_sleep 1
	s_clause 0x1
	global_load_b64 v[8:9], v6, s[2:3] offset:40
	global_load_b64 v[12:13], v6, s[2:3]
	v_mov_b64_e32 v[10:11], v[2:3]
	s_wait_loadcnt 0x1
	s_delay_alu instid0(VALU_DEP_1) | instskip(NEXT) | instid1(VALU_DEP_2)
	v_and_b32_e32 v2, v8, v10
	v_and_b32_e32 v7, v9, v11
	s_wait_loadcnt 0x0
	s_delay_alu instid0(VALU_DEP_2) | instskip(NEXT) | instid1(VALU_DEP_1)
	v_mad_nc_u64_u32 v[2:3], v2, 24, v[12:13]
	v_mad_u32 v3, v7, 24, v3
	global_load_b64 v[8:9], v[2:3], off scope:SCOPE_SYS
	s_wait_xcnt 0x0
	s_wait_loadcnt 0x0
	global_atomic_cmpswap_b64 v[2:3], v6, v[8:11], s[2:3] offset:24 th:TH_ATOMIC_RETURN scope:SCOPE_SYS
	s_wait_loadcnt 0x0
	global_inv scope:SCOPE_SYS
	v_cmp_eq_u64_e32 vcc_lo, v[2:3], v[10:11]
	s_or_b32 s5, vcc_lo, s5
	s_wait_xcnt 0x0
	s_and_not1_b32 exec_lo, exec_lo, s5
	s_cbranch_execnz .LBB10_225
; %bb.226:
	s_or_b32 exec_lo, exec_lo, s5
.LBB10_227:
	s_delay_alu instid0(SALU_CYCLE_1)
	s_or_b32 exec_lo, exec_lo, s4
.LBB10_228:
	s_delay_alu instid0(SALU_CYCLE_1)
	s_or_b32 exec_lo, exec_lo, s1
	v_readfirstlane_b32 s4, v2
	v_mov_b32_e32 v31, 0
	v_readfirstlane_b32 s5, v3
	s_mov_b32 s1, exec_lo
	global_load_b64 v[10:11], v31, s[2:3] offset:40
	s_wait_loadcnt 0x1
	global_load_b128 v[6:9], v31, s[2:3]
	s_wait_loadcnt 0x1
	v_and_b32_e32 v2, s4, v10
	v_and_b32_e32 v3, s5, v11
	s_delay_alu instid0(VALU_DEP_1) | instskip(SKIP_1) | instid1(VALU_DEP_1)
	v_mul_u64_e32 v[10:11], 24, v[2:3]
	s_wait_loadcnt 0x0
	v_add_nc_u64_e32 v[10:11], v[6:7], v[10:11]
	s_wait_xcnt 0x0
	s_and_saveexec_b32 s6, s0
	s_cbranch_execz .LBB10_230
; %bb.229:
	v_mov_b64_e32 v[14:15], 0x100000002
	v_dual_mov_b32 v12, s1 :: v_dual_mov_b32 v13, v31
	global_store_b128 v[10:11], v[12:15], off offset:8
.LBB10_230:
	s_wait_xcnt 0x0
	s_or_b32 exec_lo, exec_lo, s6
	v_lshlrev_b64_e32 v[2:3], 12, v[2:3]
	s_mov_b32 s12, 0
	v_and_or_b32 v0, 0xffffff1f, v0, 32
	s_mov_b32 s13, s12
	s_mov_b32 s14, s12
	;; [unrolled: 1-line block ×3, first 2 shown]
	v_mov_b64_e32 v[12:13], s[12:13]
	v_add_nc_u64_e32 v[8:9], v[8:9], v[2:3]
	v_mov_b64_e32 v[14:15], s[14:15]
	v_dual_mov_b32 v2, v31 :: v_dual_mov_b32 v3, v31
	s_delay_alu instid0(VALU_DEP_3) | instskip(NEXT) | instid1(VALU_DEP_4)
	v_readfirstlane_b32 s6, v8
	v_readfirstlane_b32 s7, v9
	s_clause 0x3
	global_store_b128 v30, v[0:3], s[6:7]
	global_store_b128 v30, v[12:15], s[6:7] offset:16
	global_store_b128 v30, v[12:15], s[6:7] offset:32
	;; [unrolled: 1-line block ×3, first 2 shown]
	s_wait_xcnt 0x0
	s_and_saveexec_b32 s1, s0
	s_cbranch_execz .LBB10_238
; %bb.231:
	v_dual_mov_b32 v12, 0 :: v_dual_mov_b32 v15, s5
	s_mov_b32 s6, exec_lo
	s_clause 0x1
	global_load_b64 v[16:17], v12, s[2:3] offset:32 scope:SCOPE_SYS
	global_load_b64 v[0:1], v12, s[2:3] offset:40
	s_wait_loadcnt 0x0
	v_dual_mov_b32 v14, s4 :: v_dual_bitop2_b32 v1, s5, v1 bitop3:0x40
	v_and_b32_e32 v0, s4, v0
	s_delay_alu instid0(VALU_DEP_1) | instskip(NEXT) | instid1(VALU_DEP_1)
	v_mul_u64_e32 v[0:1], 24, v[0:1]
	v_add_nc_u64_e32 v[6:7], v[6:7], v[0:1]
	global_store_b64 v[6:7], v[16:17], off
	global_wb scope:SCOPE_SYS
	s_wait_storecnt 0x0
	s_wait_xcnt 0x0
	global_atomic_cmpswap_b64 v[2:3], v12, v[14:17], s[2:3] offset:32 th:TH_ATOMIC_RETURN scope:SCOPE_SYS
	s_wait_loadcnt 0x0
	v_cmpx_ne_u64_e64 v[2:3], v[16:17]
	s_cbranch_execz .LBB10_234
; %bb.232:
	s_mov_b32 s7, 0
.LBB10_233:                             ; =>This Inner Loop Header: Depth=1
	v_dual_mov_b32 v0, s4 :: v_dual_mov_b32 v1, s5
	s_sleep 1
	global_store_b64 v[6:7], v[2:3], off
	global_wb scope:SCOPE_SYS
	s_wait_storecnt 0x0
	s_wait_xcnt 0x0
	global_atomic_cmpswap_b64 v[0:1], v12, v[0:3], s[2:3] offset:32 th:TH_ATOMIC_RETURN scope:SCOPE_SYS
	s_wait_loadcnt 0x0
	v_cmp_eq_u64_e32 vcc_lo, v[0:1], v[2:3]
	v_mov_b64_e32 v[2:3], v[0:1]
	s_or_b32 s7, vcc_lo, s7
	s_delay_alu instid0(SALU_CYCLE_1)
	s_and_not1_b32 exec_lo, exec_lo, s7
	s_cbranch_execnz .LBB10_233
.LBB10_234:
	s_or_b32 exec_lo, exec_lo, s6
	v_mov_b32_e32 v3, 0
	s_mov_b32 s7, exec_lo
	s_mov_b32 s6, exec_lo
	v_mbcnt_lo_u32_b32 v2, s7, 0
	global_load_b64 v[0:1], v3, s[2:3] offset:16
	s_wait_xcnt 0x0
	v_cmpx_eq_u32_e32 0, v2
	s_cbranch_execz .LBB10_236
; %bb.235:
	s_bcnt1_i32_b32 s7, s7
	s_delay_alu instid0(SALU_CYCLE_1)
	v_mov_b32_e32 v2, s7
	global_wb scope:SCOPE_SYS
	s_wait_loadcnt 0x0
	s_wait_storecnt 0x0
	global_atomic_add_u64 v[0:1], v[2:3], off offset:8 scope:SCOPE_SYS
.LBB10_236:
	s_wait_xcnt 0x0
	s_or_b32 exec_lo, exec_lo, s6
	s_wait_loadcnt 0x0
	global_load_b64 v[2:3], v[0:1], off offset:16
	s_wait_loadcnt 0x0
	v_cmp_eq_u64_e32 vcc_lo, 0, v[2:3]
	s_cbranch_vccnz .LBB10_238
; %bb.237:
	global_load_b32 v0, v[0:1], off offset:24
	s_wait_xcnt 0x0
	v_mov_b32_e32 v1, 0
	s_wait_loadcnt 0x0
	v_readfirstlane_b32 s6, v0
	global_wb scope:SCOPE_SYS
	s_wait_storecnt 0x0
	global_store_b64 v[2:3], v[0:1], off scope:SCOPE_SYS
	s_and_b32 m0, s6, 0xffffff
	s_sendmsg sendmsg(MSG_INTERRUPT)
.LBB10_238:
	s_wait_xcnt 0x0
	s_or_b32 exec_lo, exec_lo, s1
	v_add_nc_u64_e32 v[0:1], v[8:9], v[30:31]
	s_branch .LBB10_242
.LBB10_239:                             ;   in Loop: Header=BB10_242 Depth=1
	s_wait_xcnt 0x0
	s_or_b32 exec_lo, exec_lo, s1
	s_delay_alu instid0(VALU_DEP_1)
	v_readfirstlane_b32 s1, v2
	s_cmp_eq_u32 s1, 0
	s_cbranch_scc1 .LBB10_241
; %bb.240:                              ;   in Loop: Header=BB10_242 Depth=1
	s_sleep 1
	s_cbranch_execnz .LBB10_242
	s_branch .LBB10_244
.LBB10_241:
	s_branch .LBB10_244
.LBB10_242:                             ; =>This Inner Loop Header: Depth=1
	v_mov_b32_e32 v2, 1
	s_and_saveexec_b32 s1, s0
	s_cbranch_execz .LBB10_239
; %bb.243:                              ;   in Loop: Header=BB10_242 Depth=1
	global_load_b32 v2, v[10:11], off offset:20 scope:SCOPE_SYS
	s_wait_loadcnt 0x0
	global_inv scope:SCOPE_SYS
	v_and_b32_e32 v2, 1, v2
	s_branch .LBB10_239
.LBB10_244:
	global_load_b64 v[6:7], v[0:1], off
	s_wait_xcnt 0x0
	s_and_saveexec_b32 s6, s0
	s_cbranch_execz .LBB10_248
; %bb.245:
	v_mov_b32_e32 v10, 0
	s_clause 0x2
	global_load_b64 v[0:1], v10, s[2:3] offset:40
	global_load_b64 v[14:15], v10, s[2:3] offset:24 scope:SCOPE_SYS
	global_load_b64 v[2:3], v10, s[2:3]
	s_wait_loadcnt 0x2
	v_readfirstlane_b32 s10, v0
	v_readfirstlane_b32 s11, v1
	s_add_nc_u64 s[0:1], s[10:11], 1
	s_delay_alu instid0(SALU_CYCLE_1) | instskip(NEXT) | instid1(SALU_CYCLE_1)
	s_add_nc_u64 s[4:5], s[0:1], s[4:5]
	s_cmp_eq_u64 s[4:5], 0
	s_cselect_b32 s1, s1, s5
	s_cselect_b32 s0, s0, s4
	v_mov_b32_e32 v13, s1
	s_and_b64 s[4:5], s[0:1], s[10:11]
	v_mov_b32_e32 v12, s0
	s_mul_u64 s[4:5], s[4:5], 24
	s_wait_loadcnt 0x0
	v_add_nc_u64_e32 v[8:9], s[4:5], v[2:3]
	global_store_b64 v[8:9], v[14:15], off
	global_wb scope:SCOPE_SYS
	s_wait_storecnt 0x0
	s_wait_xcnt 0x0
	global_atomic_cmpswap_b64 v[2:3], v10, v[12:15], s[2:3] offset:24 th:TH_ATOMIC_RETURN scope:SCOPE_SYS
	s_wait_loadcnt 0x0
	v_cmp_ne_u64_e32 vcc_lo, v[2:3], v[14:15]
	s_and_b32 exec_lo, exec_lo, vcc_lo
	s_cbranch_execz .LBB10_248
; %bb.246:
	s_mov_b32 s4, 0
.LBB10_247:                             ; =>This Inner Loop Header: Depth=1
	v_dual_mov_b32 v0, s0 :: v_dual_mov_b32 v1, s1
	s_sleep 1
	global_store_b64 v[8:9], v[2:3], off
	global_wb scope:SCOPE_SYS
	s_wait_storecnt 0x0
	s_wait_xcnt 0x0
	global_atomic_cmpswap_b64 v[0:1], v10, v[0:3], s[2:3] offset:24 th:TH_ATOMIC_RETURN scope:SCOPE_SYS
	s_wait_loadcnt 0x0
	v_cmp_eq_u64_e32 vcc_lo, v[0:1], v[2:3]
	v_mov_b64_e32 v[2:3], v[0:1]
	s_or_b32 s4, vcc_lo, s4
	s_delay_alu instid0(SALU_CYCLE_1)
	s_and_not1_b32 exec_lo, exec_lo, s4
	s_cbranch_execnz .LBB10_247
.LBB10_248:
	s_or_b32 exec_lo, exec_lo, s6
.LBB10_249:
	v_readfirstlane_b32 s0, v48
	v_mov_b64_e32 v[8:9], 0
	s_delay_alu instid0(VALU_DEP_2)
	v_cmp_eq_u32_e64 s0, s0, v48
	s_and_saveexec_b32 s1, s0
	s_cbranch_execz .LBB10_255
; %bb.250:
	s_wait_loadcnt 0x0
	v_mov_b32_e32 v0, 0
	s_mov_b32 s4, exec_lo
	global_load_b64 v[10:11], v0, s[2:3] offset:24 scope:SCOPE_SYS
	s_wait_loadcnt 0x0
	global_inv scope:SCOPE_SYS
	s_clause 0x1
	global_load_b64 v[2:3], v0, s[2:3] offset:40
	global_load_b64 v[8:9], v0, s[2:3]
	s_wait_loadcnt 0x1
	v_and_b32_e32 v2, v2, v10
	v_and_b32_e32 v3, v3, v11
	s_delay_alu instid0(VALU_DEP_1) | instskip(SKIP_1) | instid1(VALU_DEP_1)
	v_mul_u64_e32 v[2:3], 24, v[2:3]
	s_wait_loadcnt 0x0
	v_add_nc_u64_e32 v[2:3], v[8:9], v[2:3]
	global_load_b64 v[8:9], v[2:3], off scope:SCOPE_SYS
	s_wait_xcnt 0x0
	s_wait_loadcnt 0x0
	global_atomic_cmpswap_b64 v[8:9], v0, v[8:11], s[2:3] offset:24 th:TH_ATOMIC_RETURN scope:SCOPE_SYS
	s_wait_loadcnt 0x0
	global_inv scope:SCOPE_SYS
	s_wait_xcnt 0x0
	v_cmpx_ne_u64_e64 v[8:9], v[10:11]
	s_cbranch_execz .LBB10_254
; %bb.251:
	s_mov_b32 s5, 0
.LBB10_252:                             ; =>This Inner Loop Header: Depth=1
	s_sleep 1
	s_clause 0x1
	global_load_b64 v[2:3], v0, s[2:3] offset:40
	global_load_b64 v[12:13], v0, s[2:3]
	v_mov_b64_e32 v[10:11], v[8:9]
	s_wait_loadcnt 0x1
	s_delay_alu instid0(VALU_DEP_1) | instskip(SKIP_1) | instid1(VALU_DEP_1)
	v_and_b32_e32 v1, v2, v10
	s_wait_loadcnt 0x0
	v_mad_nc_u64_u32 v[8:9], v1, 24, v[12:13]
	s_delay_alu instid0(VALU_DEP_3) | instskip(NEXT) | instid1(VALU_DEP_1)
	v_and_b32_e32 v1, v3, v11
	v_mad_u32 v9, v1, 24, v9
	global_load_b64 v[8:9], v[8:9], off scope:SCOPE_SYS
	s_wait_xcnt 0x0
	s_wait_loadcnt 0x0
	global_atomic_cmpswap_b64 v[8:9], v0, v[8:11], s[2:3] offset:24 th:TH_ATOMIC_RETURN scope:SCOPE_SYS
	s_wait_loadcnt 0x0
	global_inv scope:SCOPE_SYS
	v_cmp_eq_u64_e32 vcc_lo, v[8:9], v[10:11]
	s_or_b32 s5, vcc_lo, s5
	s_wait_xcnt 0x0
	s_and_not1_b32 exec_lo, exec_lo, s5
	s_cbranch_execnz .LBB10_252
; %bb.253:
	s_or_b32 exec_lo, exec_lo, s5
.LBB10_254:
	s_delay_alu instid0(SALU_CYCLE_1)
	s_or_b32 exec_lo, exec_lo, s4
.LBB10_255:
	s_delay_alu instid0(SALU_CYCLE_1)
	s_or_b32 exec_lo, exec_lo, s1
	v_readfirstlane_b32 s4, v8
	v_mov_b32_e32 v31, 0
	v_readfirstlane_b32 s5, v9
	s_mov_b32 s1, exec_lo
	global_load_b64 v[10:11], v31, s[2:3] offset:40
	s_wait_loadcnt 0x1
	global_load_b128 v[0:3], v31, s[2:3]
	s_wait_loadcnt 0x1
	v_and_b32_e32 v8, s4, v10
	v_and_b32_e32 v9, s5, v11
	s_delay_alu instid0(VALU_DEP_1) | instskip(SKIP_1) | instid1(VALU_DEP_1)
	v_mul_u64_e32 v[10:11], 24, v[8:9]
	s_wait_loadcnt 0x0
	v_add_nc_u64_e32 v[10:11], v[0:1], v[10:11]
	s_wait_xcnt 0x0
	s_and_saveexec_b32 s6, s0
	s_cbranch_execz .LBB10_257
; %bb.256:
	v_mov_b64_e32 v[14:15], 0x100000002
	v_dual_mov_b32 v12, s1 :: v_dual_mov_b32 v13, v31
	global_store_b128 v[10:11], v[12:15], off offset:8
.LBB10_257:
	s_wait_xcnt 0x0
	s_or_b32 exec_lo, exec_lo, s6
	v_lshlrev_b64_e32 v[8:9], 12, v[8:9]
	s_mov_b32 s12, 0
	v_and_or_b32 v6, 0xffffff1f, v6, 32
	s_mov_b32 s14, s12
	s_mov_b32 s15, s12
	s_mov_b32 s13, s12
	v_mov_b64_e32 v[16:17], s[14:15]
	v_add_nc_u64_e32 v[12:13], v[2:3], v[8:9]
	v_mov_b64_e32 v[14:15], s[12:13]
	v_dual_mov_b32 v8, 0x385 :: v_dual_mov_b32 v9, v31
	s_delay_alu instid0(VALU_DEP_3) | instskip(NEXT) | instid1(VALU_DEP_4)
	v_readfirstlane_b32 s6, v12
	v_readfirstlane_b32 s7, v13
	s_clause 0x3
	global_store_b128 v30, v[6:9], s[6:7]
	global_store_b128 v30, v[14:17], s[6:7] offset:16
	global_store_b128 v30, v[14:17], s[6:7] offset:32
	;; [unrolled: 1-line block ×3, first 2 shown]
	s_wait_xcnt 0x0
	s_and_saveexec_b32 s1, s0
	s_cbranch_execz .LBB10_265
; %bb.258:
	v_dual_mov_b32 v8, 0 :: v_dual_mov_b32 v15, s5
	s_mov_b32 s6, exec_lo
	s_clause 0x1
	global_load_b64 v[16:17], v8, s[2:3] offset:32 scope:SCOPE_SYS
	global_load_b64 v[2:3], v8, s[2:3] offset:40
	s_wait_loadcnt 0x0
	v_dual_mov_b32 v14, s4 :: v_dual_bitop2_b32 v3, s5, v3 bitop3:0x40
	v_and_b32_e32 v2, s4, v2
	s_delay_alu instid0(VALU_DEP_1) | instskip(NEXT) | instid1(VALU_DEP_1)
	v_mul_u64_e32 v[2:3], 24, v[2:3]
	v_add_nc_u64_e32 v[6:7], v[0:1], v[2:3]
	global_store_b64 v[6:7], v[16:17], off
	global_wb scope:SCOPE_SYS
	s_wait_storecnt 0x0
	s_wait_xcnt 0x0
	global_atomic_cmpswap_b64 v[2:3], v8, v[14:17], s[2:3] offset:32 th:TH_ATOMIC_RETURN scope:SCOPE_SYS
	s_wait_loadcnt 0x0
	v_cmpx_ne_u64_e64 v[2:3], v[16:17]
	s_cbranch_execz .LBB10_261
; %bb.259:
	s_mov_b32 s7, 0
.LBB10_260:                             ; =>This Inner Loop Header: Depth=1
	v_dual_mov_b32 v0, s4 :: v_dual_mov_b32 v1, s5
	s_sleep 1
	global_store_b64 v[6:7], v[2:3], off
	global_wb scope:SCOPE_SYS
	s_wait_storecnt 0x0
	s_wait_xcnt 0x0
	global_atomic_cmpswap_b64 v[0:1], v8, v[0:3], s[2:3] offset:32 th:TH_ATOMIC_RETURN scope:SCOPE_SYS
	s_wait_loadcnt 0x0
	v_cmp_eq_u64_e32 vcc_lo, v[0:1], v[2:3]
	v_mov_b64_e32 v[2:3], v[0:1]
	s_or_b32 s7, vcc_lo, s7
	s_delay_alu instid0(SALU_CYCLE_1)
	s_and_not1_b32 exec_lo, exec_lo, s7
	s_cbranch_execnz .LBB10_260
.LBB10_261:
	s_or_b32 exec_lo, exec_lo, s6
	v_mov_b32_e32 v3, 0
	s_mov_b32 s7, exec_lo
	s_mov_b32 s6, exec_lo
	v_mbcnt_lo_u32_b32 v2, s7, 0
	global_load_b64 v[0:1], v3, s[2:3] offset:16
	s_wait_xcnt 0x0
	v_cmpx_eq_u32_e32 0, v2
	s_cbranch_execz .LBB10_263
; %bb.262:
	s_bcnt1_i32_b32 s7, s7
	s_delay_alu instid0(SALU_CYCLE_1)
	v_mov_b32_e32 v2, s7
	global_wb scope:SCOPE_SYS
	s_wait_loadcnt 0x0
	s_wait_storecnt 0x0
	global_atomic_add_u64 v[0:1], v[2:3], off offset:8 scope:SCOPE_SYS
.LBB10_263:
	s_wait_xcnt 0x0
	s_or_b32 exec_lo, exec_lo, s6
	s_wait_loadcnt 0x0
	global_load_b64 v[2:3], v[0:1], off offset:16
	s_wait_loadcnt 0x0
	v_cmp_eq_u64_e32 vcc_lo, 0, v[2:3]
	s_cbranch_vccnz .LBB10_265
; %bb.264:
	global_load_b32 v0, v[0:1], off offset:24
	s_wait_xcnt 0x0
	v_mov_b32_e32 v1, 0
	s_wait_loadcnt 0x0
	v_readfirstlane_b32 s6, v0
	global_wb scope:SCOPE_SYS
	s_wait_storecnt 0x0
	global_store_b64 v[2:3], v[0:1], off scope:SCOPE_SYS
	s_and_b32 m0, s6, 0xffffff
	s_sendmsg sendmsg(MSG_INTERRUPT)
.LBB10_265:
	s_wait_xcnt 0x0
	s_or_b32 exec_lo, exec_lo, s1
	v_add_nc_u64_e32 v[0:1], v[12:13], v[30:31]
	s_branch .LBB10_269
.LBB10_266:                             ;   in Loop: Header=BB10_269 Depth=1
	s_wait_xcnt 0x0
	s_or_b32 exec_lo, exec_lo, s1
	s_delay_alu instid0(VALU_DEP_1)
	v_readfirstlane_b32 s1, v2
	s_cmp_eq_u32 s1, 0
	s_cbranch_scc1 .LBB10_268
; %bb.267:                              ;   in Loop: Header=BB10_269 Depth=1
	s_sleep 1
	s_cbranch_execnz .LBB10_269
	s_branch .LBB10_271
.LBB10_268:
	s_branch .LBB10_271
.LBB10_269:                             ; =>This Inner Loop Header: Depth=1
	v_mov_b32_e32 v2, 1
	s_and_saveexec_b32 s1, s0
	s_cbranch_execz .LBB10_266
; %bb.270:                              ;   in Loop: Header=BB10_269 Depth=1
	global_load_b32 v2, v[10:11], off offset:20 scope:SCOPE_SYS
	s_wait_loadcnt 0x0
	global_inv scope:SCOPE_SYS
	v_and_b32_e32 v2, 1, v2
	s_branch .LBB10_266
.LBB10_271:
	global_load_b64 v[0:1], v[0:1], off
	s_wait_xcnt 0x0
	s_and_saveexec_b32 s6, s0
	s_cbranch_execz .LBB10_275
; %bb.272:
	v_mov_b32_e32 v10, 0
	s_clause 0x2
	global_load_b64 v[2:3], v10, s[2:3] offset:40
	global_load_b64 v[14:15], v10, s[2:3] offset:24 scope:SCOPE_SYS
	global_load_b64 v[6:7], v10, s[2:3]
	s_wait_loadcnt 0x2
	v_readfirstlane_b32 s10, v2
	v_readfirstlane_b32 s11, v3
	s_add_nc_u64 s[0:1], s[10:11], 1
	s_delay_alu instid0(SALU_CYCLE_1) | instskip(NEXT) | instid1(SALU_CYCLE_1)
	s_add_nc_u64 s[4:5], s[0:1], s[4:5]
	s_cmp_eq_u64 s[4:5], 0
	s_cselect_b32 s1, s1, s5
	s_cselect_b32 s0, s0, s4
	v_mov_b32_e32 v13, s1
	s_and_b64 s[4:5], s[0:1], s[10:11]
	v_mov_b32_e32 v12, s0
	s_mul_u64 s[4:5], s[4:5], 24
	s_wait_loadcnt 0x0
	v_add_nc_u64_e32 v[2:3], s[4:5], v[6:7]
	global_store_b64 v[2:3], v[14:15], off
	global_wb scope:SCOPE_SYS
	s_wait_storecnt 0x0
	s_wait_xcnt 0x0
	global_atomic_cmpswap_b64 v[8:9], v10, v[12:15], s[2:3] offset:24 th:TH_ATOMIC_RETURN scope:SCOPE_SYS
	s_wait_loadcnt 0x0
	v_cmp_ne_u64_e32 vcc_lo, v[8:9], v[14:15]
	s_and_b32 exec_lo, exec_lo, vcc_lo
	s_cbranch_execz .LBB10_275
; %bb.273:
	s_mov_b32 s4, 0
.LBB10_274:                             ; =>This Inner Loop Header: Depth=1
	v_dual_mov_b32 v6, s0 :: v_dual_mov_b32 v7, s1
	s_sleep 1
	global_store_b64 v[2:3], v[8:9], off
	global_wb scope:SCOPE_SYS
	s_wait_storecnt 0x0
	s_wait_xcnt 0x0
	global_atomic_cmpswap_b64 v[6:7], v10, v[6:9], s[2:3] offset:24 th:TH_ATOMIC_RETURN scope:SCOPE_SYS
	s_wait_loadcnt 0x0
	v_cmp_eq_u64_e32 vcc_lo, v[6:7], v[8:9]
	v_mov_b64_e32 v[8:9], v[6:7]
	s_or_b32 s4, vcc_lo, s4
	s_delay_alu instid0(SALU_CYCLE_1)
	s_and_not1_b32 exec_lo, exec_lo, s4
	s_cbranch_execnz .LBB10_274
.LBB10_275:
	s_or_b32 exec_lo, exec_lo, s6
	v_mov_b64_e32 v[2:3], v[4:5]
	s_mov_b32 s0, 0
.LBB10_276:                             ; =>This Inner Loop Header: Depth=1
	global_load_u8 v6, v[2:3], off
	s_wait_xcnt 0x0
	v_add_nc_u64_e32 v[2:3], 1, v[2:3]
	s_wait_loadcnt 0x0
	v_cmp_eq_u16_e32 vcc_lo, 0, v6
	s_or_b32 s0, vcc_lo, s0
	s_delay_alu instid0(SALU_CYCLE_1)
	s_and_not1_b32 exec_lo, exec_lo, s0
	s_cbranch_execnz .LBB10_276
; %bb.277:
	s_or_b32 exec_lo, exec_lo, s0
	s_delay_alu instid0(SALU_CYCLE_1)
	s_mov_b32 s0, exec_lo
	v_cmpx_ne_u64_e32 0, v[4:5]
	s_xor_b32 s6, exec_lo, s0
	s_cbranch_execz .LBB10_363
; %bb.278:
	v_dual_mov_b32 v31, 0 :: v_dual_sub_nc_u32 v26, v2, v4
	v_mov_b64_e32 v[8:9], 0x100000002
	v_and_b32_e32 v28, 2, v0
	s_delay_alu instid0(VALU_DEP_3)
	v_dual_ashrrev_i32 v27, 31, v26 :: v_dual_bitop2_b32 v0, -3, v0 bitop3:0x40
	s_mov_b32 s10, 0
	s_mov_b32 s7, 0
	s_branch .LBB10_280
.LBB10_279:                             ;   in Loop: Header=BB10_280 Depth=1
	s_or_b32 exec_lo, exec_lo, s11
	v_sub_nc_u64_e32 v[26:27], v[26:27], v[32:33]
	v_add_nc_u64_e32 v[4:5], v[4:5], v[32:33]
	s_delay_alu instid0(VALU_DEP_2) | instskip(SKIP_1) | instid1(SALU_CYCLE_1)
	v_cmp_eq_u64_e32 vcc_lo, 0, v[26:27]
	s_or_b32 s7, vcc_lo, s7
	s_and_not1_b32 exec_lo, exec_lo, s7
	s_cbranch_execz .LBB10_362
.LBB10_280:                             ; =>This Loop Header: Depth=1
                                        ;     Child Loop BB10_283 Depth 2
                                        ;     Child Loop BB10_291 Depth 2
	;; [unrolled: 1-line block ×11, first 2 shown]
	s_delay_alu instid0(VALU_DEP_1) | instskip(NEXT) | instid1(VALU_DEP_3)
	v_min_u64 v[32:33], v[26:27], 56
	v_add_nc_u64_e32 v[12:13], 8, v[4:5]
	s_mov_b32 s0, exec_lo
	v_cmpx_gt_u64_e32 8, v[26:27]
	s_xor_b32 s4, exec_lo, s0
	s_cbranch_execz .LBB10_286
; %bb.281:                              ;   in Loop: Header=BB10_280 Depth=1
	v_mov_b64_e32 v[2:3], 0
	s_mov_b32 s5, exec_lo
	v_cmpx_ne_u64_e32 0, v[26:27]
	s_cbranch_execz .LBB10_285
; %bb.282:                              ;   in Loop: Header=BB10_280 Depth=1
	v_mov_b64_e32 v[2:3], 0
	v_mov_b64_e32 v[10:11], v[4:5]
	v_lshlrev_b32_e32 v6, 3, v32
	s_mov_b64 s[0:1], 0
	s_mov_b32 s11, 0
.LBB10_283:                             ;   Parent Loop BB10_280 Depth=1
                                        ; =>  This Inner Loop Header: Depth=2
	global_load_u8 v7, v[10:11], off
	v_mov_b32_e32 v13, s10
	s_wait_xcnt 0x0
	v_add_nc_u64_e32 v[10:11], 1, v[10:11]
	s_wait_loadcnt 0x0
	v_and_b32_e32 v12, 0xffff, v7
	s_delay_alu instid0(VALU_DEP_1) | instskip(SKIP_1) | instid1(SALU_CYCLE_1)
	v_lshlrev_b64_e32 v[12:13], s0, v[12:13]
	s_add_nc_u64 s[0:1], s[0:1], 8
	v_cmp_eq_u32_e32 vcc_lo, s0, v6
	s_delay_alu instid0(VALU_DEP_2) | instskip(NEXT) | instid1(VALU_DEP_3)
	v_or_b32_e32 v3, v13, v3
	v_or_b32_e32 v2, v12, v2
	s_or_b32 s11, vcc_lo, s11
	s_delay_alu instid0(SALU_CYCLE_1)
	s_and_not1_b32 exec_lo, exec_lo, s11
	s_cbranch_execnz .LBB10_283
; %bb.284:                              ;   in Loop: Header=BB10_280 Depth=1
	s_or_b32 exec_lo, exec_lo, s11
.LBB10_285:                             ;   in Loop: Header=BB10_280 Depth=1
	s_delay_alu instid0(SALU_CYCLE_1)
	s_or_b32 exec_lo, exec_lo, s5
	v_mov_b64_e32 v[12:13], v[4:5]
.LBB10_286:                             ;   in Loop: Header=BB10_280 Depth=1
	s_or_saveexec_b32 s0, s4
	v_mov_b32_e32 v14, 0
	s_xor_b32 exec_lo, exec_lo, s0
	s_cbranch_execz .LBB10_288
; %bb.287:                              ;   in Loop: Header=BB10_280 Depth=1
	global_load_b64 v[2:3], v[4:5], off
	v_add_nc_u32_e32 v14, -8, v32
.LBB10_288:                             ;   in Loop: Header=BB10_280 Depth=1
	s_wait_xcnt 0x0
	s_or_b32 exec_lo, exec_lo, s0
	v_add_nc_u64_e32 v[6:7], 8, v[12:13]
                                        ; implicit-def: $vgpr10_vgpr11
	s_mov_b32 s0, exec_lo
	v_cmpx_gt_u32_e32 8, v14
	s_xor_b32 s11, exec_lo, s0
	s_cbranch_execz .LBB10_294
; %bb.289:                              ;   in Loop: Header=BB10_280 Depth=1
	v_mov_b64_e32 v[10:11], 0
	s_mov_b32 s12, exec_lo
	v_cmpx_ne_u32_e32 0, v14
	s_cbranch_execz .LBB10_293
; %bb.290:                              ;   in Loop: Header=BB10_280 Depth=1
	v_mov_b64_e32 v[10:11], 0
	s_mov_b64 s[0:1], 0
	s_mov_b32 s13, 0
	s_mov_b64 s[4:5], 0
.LBB10_291:                             ;   Parent Loop BB10_280 Depth=1
                                        ; =>  This Inner Loop Header: Depth=2
	s_delay_alu instid0(SALU_CYCLE_1) | instskip(SKIP_1) | instid1(SALU_CYCLE_1)
	v_add_nc_u64_e32 v[6:7], s[4:5], v[12:13]
	s_add_nc_u64 s[4:5], s[4:5], 1
	v_cmp_eq_u32_e32 vcc_lo, s4, v14
	global_load_u8 v6, v[6:7], off
	s_wait_xcnt 0x0
	v_mov_b32_e32 v7, s10
	s_or_b32 s13, vcc_lo, s13
	s_wait_loadcnt 0x0
	v_and_b32_e32 v6, 0xffff, v6
	s_delay_alu instid0(VALU_DEP_1) | instskip(SKIP_1) | instid1(VALU_DEP_1)
	v_lshlrev_b64_e32 v[6:7], s0, v[6:7]
	s_add_nc_u64 s[0:1], s[0:1], 8
	v_or_b32_e32 v11, v7, v11
	s_delay_alu instid0(VALU_DEP_2)
	v_or_b32_e32 v10, v6, v10
	s_and_not1_b32 exec_lo, exec_lo, s13
	s_cbranch_execnz .LBB10_291
; %bb.292:                              ;   in Loop: Header=BB10_280 Depth=1
	s_or_b32 exec_lo, exec_lo, s13
.LBB10_293:                             ;   in Loop: Header=BB10_280 Depth=1
	s_delay_alu instid0(SALU_CYCLE_1)
	s_or_b32 exec_lo, exec_lo, s12
	v_mov_b64_e32 v[6:7], v[12:13]
                                        ; implicit-def: $vgpr14
.LBB10_294:                             ;   in Loop: Header=BB10_280 Depth=1
	s_or_saveexec_b32 s0, s11
	v_mov_b32_e32 v15, 0
	s_xor_b32 exec_lo, exec_lo, s0
	s_cbranch_execz .LBB10_296
; %bb.295:                              ;   in Loop: Header=BB10_280 Depth=1
	global_load_b64 v[10:11], v[12:13], off
	v_add_nc_u32_e32 v15, -8, v14
.LBB10_296:                             ;   in Loop: Header=BB10_280 Depth=1
	s_wait_xcnt 0x0
	s_or_b32 exec_lo, exec_lo, s0
	v_add_nc_u64_e32 v[16:17], 8, v[6:7]
	s_mov_b32 s0, exec_lo
	v_cmpx_gt_u32_e32 8, v15
	s_xor_b32 s11, exec_lo, s0
	s_cbranch_execz .LBB10_302
; %bb.297:                              ;   in Loop: Header=BB10_280 Depth=1
	v_mov_b64_e32 v[12:13], 0
	s_mov_b32 s12, exec_lo
	v_cmpx_ne_u32_e32 0, v15
	s_cbranch_execz .LBB10_301
; %bb.298:                              ;   in Loop: Header=BB10_280 Depth=1
	v_mov_b64_e32 v[12:13], 0
	s_mov_b64 s[0:1], 0
	s_mov_b32 s13, 0
	s_mov_b64 s[4:5], 0
.LBB10_299:                             ;   Parent Loop BB10_280 Depth=1
                                        ; =>  This Inner Loop Header: Depth=2
	s_delay_alu instid0(SALU_CYCLE_1) | instskip(SKIP_1) | instid1(SALU_CYCLE_1)
	v_add_nc_u64_e32 v[16:17], s[4:5], v[6:7]
	s_add_nc_u64 s[4:5], s[4:5], 1
	v_cmp_eq_u32_e32 vcc_lo, s4, v15
	global_load_u8 v14, v[16:17], off
	s_wait_xcnt 0x0
	v_mov_b32_e32 v17, s10
	s_or_b32 s13, vcc_lo, s13
	s_wait_loadcnt 0x0
	v_and_b32_e32 v16, 0xffff, v14
	s_delay_alu instid0(VALU_DEP_1) | instskip(SKIP_1) | instid1(VALU_DEP_1)
	v_lshlrev_b64_e32 v[16:17], s0, v[16:17]
	s_add_nc_u64 s[0:1], s[0:1], 8
	v_or_b32_e32 v13, v17, v13
	s_delay_alu instid0(VALU_DEP_2)
	v_or_b32_e32 v12, v16, v12
	s_and_not1_b32 exec_lo, exec_lo, s13
	s_cbranch_execnz .LBB10_299
; %bb.300:                              ;   in Loop: Header=BB10_280 Depth=1
	s_or_b32 exec_lo, exec_lo, s13
.LBB10_301:                             ;   in Loop: Header=BB10_280 Depth=1
	s_delay_alu instid0(SALU_CYCLE_1)
	s_or_b32 exec_lo, exec_lo, s12
	v_mov_b64_e32 v[16:17], v[6:7]
                                        ; implicit-def: $vgpr15
.LBB10_302:                             ;   in Loop: Header=BB10_280 Depth=1
	s_or_saveexec_b32 s0, s11
	v_mov_b32_e32 v18, 0
	s_xor_b32 exec_lo, exec_lo, s0
	s_cbranch_execz .LBB10_304
; %bb.303:                              ;   in Loop: Header=BB10_280 Depth=1
	global_load_b64 v[12:13], v[6:7], off
	v_add_nc_u32_e32 v18, -8, v15
.LBB10_304:                             ;   in Loop: Header=BB10_280 Depth=1
	s_wait_xcnt 0x0
	s_or_b32 exec_lo, exec_lo, s0
	v_add_nc_u64_e32 v[6:7], 8, v[16:17]
                                        ; implicit-def: $vgpr14_vgpr15
	s_mov_b32 s0, exec_lo
	v_cmpx_gt_u32_e32 8, v18
	s_xor_b32 s11, exec_lo, s0
	s_cbranch_execz .LBB10_310
; %bb.305:                              ;   in Loop: Header=BB10_280 Depth=1
	v_mov_b64_e32 v[14:15], 0
	s_mov_b32 s12, exec_lo
	v_cmpx_ne_u32_e32 0, v18
	s_cbranch_execz .LBB10_309
; %bb.306:                              ;   in Loop: Header=BB10_280 Depth=1
	v_mov_b64_e32 v[14:15], 0
	s_mov_b64 s[0:1], 0
	s_mov_b32 s13, 0
	s_mov_b64 s[4:5], 0
.LBB10_307:                             ;   Parent Loop BB10_280 Depth=1
                                        ; =>  This Inner Loop Header: Depth=2
	s_delay_alu instid0(SALU_CYCLE_1) | instskip(SKIP_1) | instid1(SALU_CYCLE_1)
	v_add_nc_u64_e32 v[6:7], s[4:5], v[16:17]
	s_add_nc_u64 s[4:5], s[4:5], 1
	v_cmp_eq_u32_e32 vcc_lo, s4, v18
	global_load_u8 v6, v[6:7], off
	s_wait_xcnt 0x0
	v_mov_b32_e32 v7, s10
	s_or_b32 s13, vcc_lo, s13
	s_wait_loadcnt 0x0
	v_and_b32_e32 v6, 0xffff, v6
	s_delay_alu instid0(VALU_DEP_1) | instskip(SKIP_1) | instid1(VALU_DEP_1)
	v_lshlrev_b64_e32 v[6:7], s0, v[6:7]
	s_add_nc_u64 s[0:1], s[0:1], 8
	v_or_b32_e32 v15, v7, v15
	s_delay_alu instid0(VALU_DEP_2)
	v_or_b32_e32 v14, v6, v14
	s_and_not1_b32 exec_lo, exec_lo, s13
	s_cbranch_execnz .LBB10_307
; %bb.308:                              ;   in Loop: Header=BB10_280 Depth=1
	s_or_b32 exec_lo, exec_lo, s13
.LBB10_309:                             ;   in Loop: Header=BB10_280 Depth=1
	s_delay_alu instid0(SALU_CYCLE_1)
	s_or_b32 exec_lo, exec_lo, s12
	v_mov_b64_e32 v[6:7], v[16:17]
                                        ; implicit-def: $vgpr18
.LBB10_310:                             ;   in Loop: Header=BB10_280 Depth=1
	s_or_saveexec_b32 s0, s11
	v_mov_b32_e32 v19, 0
	s_xor_b32 exec_lo, exec_lo, s0
	s_cbranch_execz .LBB10_312
; %bb.311:                              ;   in Loop: Header=BB10_280 Depth=1
	global_load_b64 v[14:15], v[16:17], off
	v_add_nc_u32_e32 v19, -8, v18
.LBB10_312:                             ;   in Loop: Header=BB10_280 Depth=1
	s_wait_xcnt 0x0
	s_or_b32 exec_lo, exec_lo, s0
	v_add_nc_u64_e32 v[20:21], 8, v[6:7]
	s_mov_b32 s0, exec_lo
	v_cmpx_gt_u32_e32 8, v19
	s_xor_b32 s11, exec_lo, s0
	s_cbranch_execz .LBB10_318
; %bb.313:                              ;   in Loop: Header=BB10_280 Depth=1
	v_mov_b64_e32 v[16:17], 0
	s_mov_b32 s12, exec_lo
	v_cmpx_ne_u32_e32 0, v19
	s_cbranch_execz .LBB10_317
; %bb.314:                              ;   in Loop: Header=BB10_280 Depth=1
	v_mov_b64_e32 v[16:17], 0
	s_mov_b64 s[0:1], 0
	s_mov_b32 s13, 0
	s_mov_b64 s[4:5], 0
.LBB10_315:                             ;   Parent Loop BB10_280 Depth=1
                                        ; =>  This Inner Loop Header: Depth=2
	s_delay_alu instid0(SALU_CYCLE_1) | instskip(SKIP_1) | instid1(SALU_CYCLE_1)
	v_add_nc_u64_e32 v[20:21], s[4:5], v[6:7]
	s_add_nc_u64 s[4:5], s[4:5], 1
	v_cmp_eq_u32_e32 vcc_lo, s4, v19
	global_load_u8 v18, v[20:21], off
	s_wait_xcnt 0x0
	v_mov_b32_e32 v21, s10
	s_or_b32 s13, vcc_lo, s13
	s_wait_loadcnt 0x0
	v_and_b32_e32 v20, 0xffff, v18
	s_delay_alu instid0(VALU_DEP_1) | instskip(SKIP_1) | instid1(VALU_DEP_1)
	v_lshlrev_b64_e32 v[20:21], s0, v[20:21]
	s_add_nc_u64 s[0:1], s[0:1], 8
	v_or_b32_e32 v17, v21, v17
	s_delay_alu instid0(VALU_DEP_2)
	v_or_b32_e32 v16, v20, v16
	s_and_not1_b32 exec_lo, exec_lo, s13
	s_cbranch_execnz .LBB10_315
; %bb.316:                              ;   in Loop: Header=BB10_280 Depth=1
	s_or_b32 exec_lo, exec_lo, s13
.LBB10_317:                             ;   in Loop: Header=BB10_280 Depth=1
	s_delay_alu instid0(SALU_CYCLE_1)
	s_or_b32 exec_lo, exec_lo, s12
	v_mov_b64_e32 v[20:21], v[6:7]
                                        ; implicit-def: $vgpr19
.LBB10_318:                             ;   in Loop: Header=BB10_280 Depth=1
	s_or_saveexec_b32 s0, s11
	v_mov_b32_e32 v22, 0
	s_xor_b32 exec_lo, exec_lo, s0
	s_cbranch_execz .LBB10_320
; %bb.319:                              ;   in Loop: Header=BB10_280 Depth=1
	global_load_b64 v[16:17], v[6:7], off
	v_add_nc_u32_e32 v22, -8, v19
.LBB10_320:                             ;   in Loop: Header=BB10_280 Depth=1
	s_wait_xcnt 0x0
	s_or_b32 exec_lo, exec_lo, s0
	v_add_nc_u64_e32 v[6:7], 8, v[20:21]
                                        ; implicit-def: $vgpr18_vgpr19
	s_mov_b32 s0, exec_lo
	v_cmpx_gt_u32_e32 8, v22
	s_xor_b32 s11, exec_lo, s0
	s_cbranch_execz .LBB10_326
; %bb.321:                              ;   in Loop: Header=BB10_280 Depth=1
	v_mov_b64_e32 v[18:19], 0
	s_mov_b32 s12, exec_lo
	v_cmpx_ne_u32_e32 0, v22
	s_cbranch_execz .LBB10_325
; %bb.322:                              ;   in Loop: Header=BB10_280 Depth=1
	v_mov_b64_e32 v[18:19], 0
	s_mov_b64 s[0:1], 0
	s_mov_b32 s13, 0
	s_mov_b64 s[4:5], 0
.LBB10_323:                             ;   Parent Loop BB10_280 Depth=1
                                        ; =>  This Inner Loop Header: Depth=2
	s_delay_alu instid0(SALU_CYCLE_1) | instskip(SKIP_1) | instid1(SALU_CYCLE_1)
	v_add_nc_u64_e32 v[6:7], s[4:5], v[20:21]
	s_add_nc_u64 s[4:5], s[4:5], 1
	v_cmp_eq_u32_e32 vcc_lo, s4, v22
	global_load_u8 v6, v[6:7], off
	s_wait_xcnt 0x0
	v_mov_b32_e32 v7, s10
	s_or_b32 s13, vcc_lo, s13
	s_wait_loadcnt 0x0
	v_and_b32_e32 v6, 0xffff, v6
	s_delay_alu instid0(VALU_DEP_1) | instskip(SKIP_1) | instid1(VALU_DEP_1)
	v_lshlrev_b64_e32 v[6:7], s0, v[6:7]
	s_add_nc_u64 s[0:1], s[0:1], 8
	v_or_b32_e32 v19, v7, v19
	s_delay_alu instid0(VALU_DEP_2)
	v_or_b32_e32 v18, v6, v18
	s_and_not1_b32 exec_lo, exec_lo, s13
	s_cbranch_execnz .LBB10_323
; %bb.324:                              ;   in Loop: Header=BB10_280 Depth=1
	s_or_b32 exec_lo, exec_lo, s13
.LBB10_325:                             ;   in Loop: Header=BB10_280 Depth=1
	s_delay_alu instid0(SALU_CYCLE_1)
	s_or_b32 exec_lo, exec_lo, s12
	v_mov_b64_e32 v[6:7], v[20:21]
                                        ; implicit-def: $vgpr22
.LBB10_326:                             ;   in Loop: Header=BB10_280 Depth=1
	s_or_saveexec_b32 s0, s11
	v_mov_b32_e32 v23, 0
	s_xor_b32 exec_lo, exec_lo, s0
	s_cbranch_execz .LBB10_328
; %bb.327:                              ;   in Loop: Header=BB10_280 Depth=1
	global_load_b64 v[18:19], v[20:21], off
	v_add_nc_u32_e32 v23, -8, v22
.LBB10_328:                             ;   in Loop: Header=BB10_280 Depth=1
	s_wait_xcnt 0x0
	s_or_b32 exec_lo, exec_lo, s0
	s_delay_alu instid0(SALU_CYCLE_1) | instskip(NEXT) | instid1(VALU_DEP_1)
	s_mov_b32 s0, exec_lo
	v_cmpx_gt_u32_e32 8, v23
	s_xor_b32 s4, exec_lo, s0
	s_cbranch_execz .LBB10_334
; %bb.329:                              ;   in Loop: Header=BB10_280 Depth=1
	v_mov_b64_e32 v[20:21], 0
	s_mov_b32 s5, exec_lo
	v_cmpx_ne_u32_e32 0, v23
	s_cbranch_execz .LBB10_333
; %bb.330:                              ;   in Loop: Header=BB10_280 Depth=1
	v_mov_b64_e32 v[20:21], 0
	s_mov_b64 s[0:1], 0
	s_mov_b32 s11, 0
.LBB10_331:                             ;   Parent Loop BB10_280 Depth=1
                                        ; =>  This Inner Loop Header: Depth=2
	global_load_u8 v22, v[6:7], off
	v_dual_mov_b32 v25, s10 :: v_dual_add_nc_u32 v23, -1, v23
	s_wait_xcnt 0x0
	v_add_nc_u64_e32 v[6:7], 1, v[6:7]
	s_delay_alu instid0(VALU_DEP_2) | instskip(SKIP_3) | instid1(VALU_DEP_1)
	v_cmp_eq_u32_e32 vcc_lo, 0, v23
	s_or_b32 s11, vcc_lo, s11
	s_wait_loadcnt 0x0
	v_and_b32_e32 v24, 0xffff, v22
	v_lshlrev_b64_e32 v[24:25], s0, v[24:25]
	s_add_nc_u64 s[0:1], s[0:1], 8
	s_delay_alu instid0(VALU_DEP_1) | instskip(NEXT) | instid1(VALU_DEP_2)
	v_or_b32_e32 v21, v25, v21
	v_or_b32_e32 v20, v24, v20
	s_and_not1_b32 exec_lo, exec_lo, s11
	s_cbranch_execnz .LBB10_331
; %bb.332:                              ;   in Loop: Header=BB10_280 Depth=1
	s_or_b32 exec_lo, exec_lo, s11
.LBB10_333:                             ;   in Loop: Header=BB10_280 Depth=1
	s_delay_alu instid0(SALU_CYCLE_1)
	s_or_b32 exec_lo, exec_lo, s5
                                        ; implicit-def: $vgpr6_vgpr7
.LBB10_334:                             ;   in Loop: Header=BB10_280 Depth=1
	s_and_not1_saveexec_b32 s0, s4
	s_cbranch_execz .LBB10_336
; %bb.335:                              ;   in Loop: Header=BB10_280 Depth=1
	global_load_b64 v[20:21], v[6:7], off
.LBB10_336:                             ;   in Loop: Header=BB10_280 Depth=1
	s_wait_xcnt 0x0
	s_or_b32 exec_lo, exec_lo, s0
	v_readfirstlane_b32 s0, v48
	v_mov_b64_e32 v[6:7], 0
	s_delay_alu instid0(VALU_DEP_2)
	v_cmp_eq_u32_e64 s0, s0, v48
	s_and_saveexec_b32 s1, s0
	s_cbranch_execz .LBB10_342
; %bb.337:                              ;   in Loop: Header=BB10_280 Depth=1
	global_load_b64 v[24:25], v31, s[2:3] offset:24 scope:SCOPE_SYS
	s_wait_loadcnt 0x0
	global_inv scope:SCOPE_SYS
	s_clause 0x1
	global_load_b64 v[6:7], v31, s[2:3] offset:40
	global_load_b64 v[22:23], v31, s[2:3]
	s_mov_b32 s4, exec_lo
	s_wait_loadcnt 0x1
	v_and_b32_e32 v6, v6, v24
	v_and_b32_e32 v7, v7, v25
	s_delay_alu instid0(VALU_DEP_1) | instskip(SKIP_1) | instid1(VALU_DEP_1)
	v_mul_u64_e32 v[6:7], 24, v[6:7]
	s_wait_loadcnt 0x0
	v_add_nc_u64_e32 v[6:7], v[22:23], v[6:7]
	global_load_b64 v[22:23], v[6:7], off scope:SCOPE_SYS
	s_wait_xcnt 0x0
	s_wait_loadcnt 0x0
	global_atomic_cmpswap_b64 v[6:7], v31, v[22:25], s[2:3] offset:24 th:TH_ATOMIC_RETURN scope:SCOPE_SYS
	s_wait_loadcnt 0x0
	global_inv scope:SCOPE_SYS
	s_wait_xcnt 0x0
	v_cmpx_ne_u64_e64 v[6:7], v[24:25]
	s_cbranch_execz .LBB10_341
; %bb.338:                              ;   in Loop: Header=BB10_280 Depth=1
	s_mov_b32 s5, 0
.LBB10_339:                             ;   Parent Loop BB10_280 Depth=1
                                        ; =>  This Inner Loop Header: Depth=2
	s_sleep 1
	s_clause 0x1
	global_load_b64 v[22:23], v31, s[2:3] offset:40
	global_load_b64 v[34:35], v31, s[2:3]
	v_mov_b64_e32 v[24:25], v[6:7]
	s_wait_loadcnt 0x1
	s_delay_alu instid0(VALU_DEP_1) | instskip(NEXT) | instid1(VALU_DEP_2)
	v_and_b32_e32 v6, v22, v24
	v_and_b32_e32 v22, v23, v25
	s_wait_loadcnt 0x0
	s_delay_alu instid0(VALU_DEP_2) | instskip(NEXT) | instid1(VALU_DEP_1)
	v_mad_nc_u64_u32 v[6:7], v6, 24, v[34:35]
	v_mad_u32 v7, v22, 24, v7
	global_load_b64 v[22:23], v[6:7], off scope:SCOPE_SYS
	s_wait_xcnt 0x0
	s_wait_loadcnt 0x0
	global_atomic_cmpswap_b64 v[6:7], v31, v[22:25], s[2:3] offset:24 th:TH_ATOMIC_RETURN scope:SCOPE_SYS
	s_wait_loadcnt 0x0
	global_inv scope:SCOPE_SYS
	v_cmp_eq_u64_e32 vcc_lo, v[6:7], v[24:25]
	s_or_b32 s5, vcc_lo, s5
	s_wait_xcnt 0x0
	s_and_not1_b32 exec_lo, exec_lo, s5
	s_cbranch_execnz .LBB10_339
; %bb.340:                              ;   in Loop: Header=BB10_280 Depth=1
	s_or_b32 exec_lo, exec_lo, s5
.LBB10_341:                             ;   in Loop: Header=BB10_280 Depth=1
	s_delay_alu instid0(SALU_CYCLE_1)
	s_or_b32 exec_lo, exec_lo, s4
.LBB10_342:                             ;   in Loop: Header=BB10_280 Depth=1
	s_delay_alu instid0(SALU_CYCLE_1)
	s_or_b32 exec_lo, exec_lo, s1
	s_clause 0x1
	global_load_b64 v[34:35], v31, s[2:3] offset:40
	global_load_b128 v[22:25], v31, s[2:3]
	v_readfirstlane_b32 s4, v6
	v_readfirstlane_b32 s5, v7
	s_mov_b32 s1, exec_lo
	s_wait_loadcnt 0x1
	v_and_b32_e32 v36, s4, v34
	v_and_b32_e32 v37, s5, v35
	s_delay_alu instid0(VALU_DEP_1) | instskip(SKIP_1) | instid1(VALU_DEP_1)
	v_mul_u64_e32 v[6:7], 24, v[36:37]
	s_wait_loadcnt 0x0
	v_add_nc_u64_e32 v[34:35], v[22:23], v[6:7]
	s_wait_xcnt 0x0
	s_and_saveexec_b32 s11, s0
	s_cbranch_execz .LBB10_344
; %bb.343:                              ;   in Loop: Header=BB10_280 Depth=1
	v_dual_mov_b32 v6, s1 :: v_dual_mov_b32 v7, v31
	global_store_b128 v[34:35], v[6:9], off offset:8
.LBB10_344:                             ;   in Loop: Header=BB10_280 Depth=1
	s_wait_xcnt 0x0
	s_or_b32 exec_lo, exec_lo, s11
	v_cmp_gt_u64_e32 vcc_lo, 57, v[26:27]
	v_lshlrev_b64_e32 v[6:7], 12, v[36:37]
	v_and_b32_e32 v0, 0xffffff1f, v0
	v_lshl_add_u32 v36, v32, 2, 28
	v_cndmask_b32_e32 v29, 0, v28, vcc_lo
	s_delay_alu instid0(VALU_DEP_4) | instskip(NEXT) | instid1(VALU_DEP_2)
	v_add_nc_u64_e32 v[6:7], v[24:25], v[6:7]
	v_or_b32_e32 v0, v0, v29
	s_delay_alu instid0(VALU_DEP_2) | instskip(NEXT) | instid1(VALU_DEP_3)
	v_readfirstlane_b32 s12, v6
	v_readfirstlane_b32 s13, v7
	s_delay_alu instid0(VALU_DEP_3)
	v_and_or_b32 v0, 0x1e0, v36, v0
	s_clause 0x3
	global_store_b128 v30, v[0:3], s[12:13]
	global_store_b128 v30, v[10:13], s[12:13] offset:16
	global_store_b128 v30, v[14:17], s[12:13] offset:32
	;; [unrolled: 1-line block ×3, first 2 shown]
	s_wait_xcnt 0x0
	s_and_saveexec_b32 s1, s0
	s_cbranch_execz .LBB10_352
; %bb.345:                              ;   in Loop: Header=BB10_280 Depth=1
	s_clause 0x1
	global_load_b64 v[14:15], v31, s[2:3] offset:32 scope:SCOPE_SYS
	global_load_b64 v[0:1], v31, s[2:3] offset:40
	s_mov_b32 s11, exec_lo
	v_dual_mov_b32 v12, s4 :: v_dual_mov_b32 v13, s5
	s_wait_loadcnt 0x0
	v_and_b32_e32 v1, s5, v1
	v_and_b32_e32 v0, s4, v0
	s_delay_alu instid0(VALU_DEP_1) | instskip(NEXT) | instid1(VALU_DEP_1)
	v_mul_u64_e32 v[0:1], 24, v[0:1]
	v_add_nc_u64_e32 v[10:11], v[22:23], v[0:1]
	global_store_b64 v[10:11], v[14:15], off
	global_wb scope:SCOPE_SYS
	s_wait_storecnt 0x0
	s_wait_xcnt 0x0
	global_atomic_cmpswap_b64 v[2:3], v31, v[12:15], s[2:3] offset:32 th:TH_ATOMIC_RETURN scope:SCOPE_SYS
	s_wait_loadcnt 0x0
	v_cmpx_ne_u64_e64 v[2:3], v[14:15]
	s_cbranch_execz .LBB10_348
; %bb.346:                              ;   in Loop: Header=BB10_280 Depth=1
	s_mov_b32 s12, 0
.LBB10_347:                             ;   Parent Loop BB10_280 Depth=1
                                        ; =>  This Inner Loop Header: Depth=2
	v_dual_mov_b32 v0, s4 :: v_dual_mov_b32 v1, s5
	s_sleep 1
	global_store_b64 v[10:11], v[2:3], off
	global_wb scope:SCOPE_SYS
	s_wait_storecnt 0x0
	s_wait_xcnt 0x0
	global_atomic_cmpswap_b64 v[0:1], v31, v[0:3], s[2:3] offset:32 th:TH_ATOMIC_RETURN scope:SCOPE_SYS
	s_wait_loadcnt 0x0
	v_cmp_eq_u64_e32 vcc_lo, v[0:1], v[2:3]
	v_mov_b64_e32 v[2:3], v[0:1]
	s_or_b32 s12, vcc_lo, s12
	s_delay_alu instid0(SALU_CYCLE_1)
	s_and_not1_b32 exec_lo, exec_lo, s12
	s_cbranch_execnz .LBB10_347
.LBB10_348:                             ;   in Loop: Header=BB10_280 Depth=1
	s_or_b32 exec_lo, exec_lo, s11
	global_load_b64 v[0:1], v31, s[2:3] offset:16
	s_mov_b32 s12, exec_lo
	s_mov_b32 s11, exec_lo
	v_mbcnt_lo_u32_b32 v2, s12, 0
	s_wait_xcnt 0x0
	s_delay_alu instid0(VALU_DEP_1)
	v_cmpx_eq_u32_e32 0, v2
	s_cbranch_execz .LBB10_350
; %bb.349:                              ;   in Loop: Header=BB10_280 Depth=1
	s_bcnt1_i32_b32 s12, s12
	s_delay_alu instid0(SALU_CYCLE_1)
	v_dual_mov_b32 v3, v31 :: v_dual_mov_b32 v2, s12
	global_wb scope:SCOPE_SYS
	s_wait_loadcnt 0x0
	s_wait_storecnt 0x0
	global_atomic_add_u64 v[0:1], v[2:3], off offset:8 scope:SCOPE_SYS
.LBB10_350:                             ;   in Loop: Header=BB10_280 Depth=1
	s_wait_xcnt 0x0
	s_or_b32 exec_lo, exec_lo, s11
	s_wait_loadcnt 0x0
	global_load_b64 v[2:3], v[0:1], off offset:16
	s_wait_loadcnt 0x0
	v_cmp_eq_u64_e32 vcc_lo, 0, v[2:3]
	s_cbranch_vccnz .LBB10_352
; %bb.351:                              ;   in Loop: Header=BB10_280 Depth=1
	global_load_b32 v0, v[0:1], off offset:24
	s_wait_xcnt 0x0
	v_mov_b32_e32 v1, v31
	s_wait_loadcnt 0x0
	v_readfirstlane_b32 s11, v0
	global_wb scope:SCOPE_SYS
	s_wait_storecnt 0x0
	global_store_b64 v[2:3], v[0:1], off scope:SCOPE_SYS
	s_and_b32 m0, s11, 0xffffff
	s_sendmsg sendmsg(MSG_INTERRUPT)
.LBB10_352:                             ;   in Loop: Header=BB10_280 Depth=1
	s_wait_xcnt 0x0
	s_or_b32 exec_lo, exec_lo, s1
	v_add_nc_u64_e32 v[0:1], v[6:7], v[30:31]
	s_branch .LBB10_356
.LBB10_353:                             ;   in Loop: Header=BB10_356 Depth=2
	s_wait_xcnt 0x0
	s_or_b32 exec_lo, exec_lo, s1
	s_delay_alu instid0(VALU_DEP_1)
	v_readfirstlane_b32 s1, v2
	s_cmp_eq_u32 s1, 0
	s_cbranch_scc1 .LBB10_355
; %bb.354:                              ;   in Loop: Header=BB10_356 Depth=2
	s_sleep 1
	s_cbranch_execnz .LBB10_356
	s_branch .LBB10_358
.LBB10_355:                             ;   in Loop: Header=BB10_280 Depth=1
	s_branch .LBB10_358
.LBB10_356:                             ;   Parent Loop BB10_280 Depth=1
                                        ; =>  This Inner Loop Header: Depth=2
	v_mov_b32_e32 v2, 1
	s_and_saveexec_b32 s1, s0
	s_cbranch_execz .LBB10_353
; %bb.357:                              ;   in Loop: Header=BB10_356 Depth=2
	global_load_b32 v2, v[34:35], off offset:20 scope:SCOPE_SYS
	s_wait_loadcnt 0x0
	global_inv scope:SCOPE_SYS
	v_and_b32_e32 v2, 1, v2
	s_branch .LBB10_353
.LBB10_358:                             ;   in Loop: Header=BB10_280 Depth=1
	global_load_b64 v[0:1], v[0:1], off
	s_wait_xcnt 0x0
	s_and_saveexec_b32 s11, s0
	s_cbranch_execz .LBB10_279
; %bb.359:                              ;   in Loop: Header=BB10_280 Depth=1
	s_clause 0x2
	global_load_b64 v[2:3], v31, s[2:3] offset:40
	global_load_b64 v[14:15], v31, s[2:3] offset:24 scope:SCOPE_SYS
	global_load_b64 v[6:7], v31, s[2:3]
	s_wait_loadcnt 0x2
	v_readfirstlane_b32 s12, v2
	v_readfirstlane_b32 s13, v3
	s_add_nc_u64 s[0:1], s[12:13], 1
	s_delay_alu instid0(SALU_CYCLE_1) | instskip(NEXT) | instid1(SALU_CYCLE_1)
	s_add_nc_u64 s[4:5], s[0:1], s[4:5]
	s_cmp_eq_u64 s[4:5], 0
	s_cselect_b32 s1, s1, s5
	s_cselect_b32 s0, s0, s4
	s_delay_alu instid0(SALU_CYCLE_1) | instskip(SKIP_1) | instid1(SALU_CYCLE_1)
	v_dual_mov_b32 v13, s1 :: v_dual_mov_b32 v12, s0
	s_and_b64 s[4:5], s[0:1], s[12:13]
	s_mul_u64 s[4:5], s[4:5], 24
	s_wait_loadcnt 0x0
	v_add_nc_u64_e32 v[2:3], s[4:5], v[6:7]
	global_store_b64 v[2:3], v[14:15], off
	global_wb scope:SCOPE_SYS
	s_wait_storecnt 0x0
	s_wait_xcnt 0x0
	global_atomic_cmpswap_b64 v[12:13], v31, v[12:15], s[2:3] offset:24 th:TH_ATOMIC_RETURN scope:SCOPE_SYS
	s_wait_loadcnt 0x0
	v_cmp_ne_u64_e32 vcc_lo, v[12:13], v[14:15]
	s_and_b32 exec_lo, exec_lo, vcc_lo
	s_cbranch_execz .LBB10_279
; %bb.360:                              ;   in Loop: Header=BB10_280 Depth=1
	s_mov_b32 s4, 0
.LBB10_361:                             ;   Parent Loop BB10_280 Depth=1
                                        ; =>  This Inner Loop Header: Depth=2
	v_dual_mov_b32 v10, s0 :: v_dual_mov_b32 v11, s1
	s_sleep 1
	global_store_b64 v[2:3], v[12:13], off
	global_wb scope:SCOPE_SYS
	s_wait_storecnt 0x0
	s_wait_xcnt 0x0
	global_atomic_cmpswap_b64 v[6:7], v31, v[10:13], s[2:3] offset:24 th:TH_ATOMIC_RETURN scope:SCOPE_SYS
	s_wait_loadcnt 0x0
	v_cmp_eq_u64_e32 vcc_lo, v[6:7], v[12:13]
	v_mov_b64_e32 v[12:13], v[6:7]
	s_or_b32 s4, vcc_lo, s4
	s_delay_alu instid0(SALU_CYCLE_1)
	s_and_not1_b32 exec_lo, exec_lo, s4
	s_cbranch_execnz .LBB10_361
	s_branch .LBB10_279
.LBB10_362:
	s_or_b32 exec_lo, exec_lo, s7
                                        ; implicit-def: $vgpr30
                                        ; implicit-def: $vgpr48
.LBB10_363:
	s_and_not1_saveexec_b32 s6, s6
	s_cbranch_execz .LBB10_391
; %bb.364:
	v_readfirstlane_b32 s0, v48
	v_mov_b64_e32 v[2:3], 0
	s_delay_alu instid0(VALU_DEP_2)
	v_cmp_eq_u32_e64 s0, s0, v48
	s_and_saveexec_b32 s1, s0
	s_cbranch_execz .LBB10_370
; %bb.365:
	v_mov_b32_e32 v4, 0
	s_mov_b32 s4, exec_lo
	global_load_b64 v[8:9], v4, s[2:3] offset:24 scope:SCOPE_SYS
	s_wait_loadcnt 0x0
	global_inv scope:SCOPE_SYS
	s_clause 0x1
	global_load_b64 v[2:3], v4, s[2:3] offset:40
	global_load_b64 v[6:7], v4, s[2:3]
	s_wait_loadcnt 0x1
	v_and_b32_e32 v2, v2, v8
	v_and_b32_e32 v3, v3, v9
	s_delay_alu instid0(VALU_DEP_1) | instskip(SKIP_1) | instid1(VALU_DEP_1)
	v_mul_u64_e32 v[2:3], 24, v[2:3]
	s_wait_loadcnt 0x0
	v_add_nc_u64_e32 v[2:3], v[6:7], v[2:3]
	global_load_b64 v[6:7], v[2:3], off scope:SCOPE_SYS
	s_wait_xcnt 0x0
	s_wait_loadcnt 0x0
	global_atomic_cmpswap_b64 v[2:3], v4, v[6:9], s[2:3] offset:24 th:TH_ATOMIC_RETURN scope:SCOPE_SYS
	s_wait_loadcnt 0x0
	global_inv scope:SCOPE_SYS
	s_wait_xcnt 0x0
	v_cmpx_ne_u64_e64 v[2:3], v[8:9]
	s_cbranch_execz .LBB10_369
; %bb.366:
	s_mov_b32 s5, 0
.LBB10_367:                             ; =>This Inner Loop Header: Depth=1
	s_sleep 1
	s_clause 0x1
	global_load_b64 v[6:7], v4, s[2:3] offset:40
	global_load_b64 v[10:11], v4, s[2:3]
	v_mov_b64_e32 v[8:9], v[2:3]
	s_wait_loadcnt 0x1
	s_delay_alu instid0(VALU_DEP_1) | instskip(NEXT) | instid1(VALU_DEP_2)
	v_and_b32_e32 v2, v6, v8
	v_and_b32_e32 v5, v7, v9
	s_wait_loadcnt 0x0
	s_delay_alu instid0(VALU_DEP_2) | instskip(NEXT) | instid1(VALU_DEP_1)
	v_mad_nc_u64_u32 v[2:3], v2, 24, v[10:11]
	v_mad_u32 v3, v5, 24, v3
	global_load_b64 v[6:7], v[2:3], off scope:SCOPE_SYS
	s_wait_xcnt 0x0
	s_wait_loadcnt 0x0
	global_atomic_cmpswap_b64 v[2:3], v4, v[6:9], s[2:3] offset:24 th:TH_ATOMIC_RETURN scope:SCOPE_SYS
	s_wait_loadcnt 0x0
	global_inv scope:SCOPE_SYS
	v_cmp_eq_u64_e32 vcc_lo, v[2:3], v[8:9]
	s_or_b32 s5, vcc_lo, s5
	s_wait_xcnt 0x0
	s_and_not1_b32 exec_lo, exec_lo, s5
	s_cbranch_execnz .LBB10_367
; %bb.368:
	s_or_b32 exec_lo, exec_lo, s5
.LBB10_369:
	s_delay_alu instid0(SALU_CYCLE_1)
	s_or_b32 exec_lo, exec_lo, s4
.LBB10_370:
	s_delay_alu instid0(SALU_CYCLE_1)
	s_or_b32 exec_lo, exec_lo, s1
	v_readfirstlane_b32 s4, v2
	v_mov_b32_e32 v31, 0
	v_readfirstlane_b32 s5, v3
	s_mov_b32 s1, exec_lo
	s_clause 0x1
	global_load_b64 v[8:9], v31, s[2:3] offset:40
	global_load_b128 v[4:7], v31, s[2:3]
	s_wait_loadcnt 0x1
	v_and_b32_e32 v2, s4, v8
	v_and_b32_e32 v3, s5, v9
	s_delay_alu instid0(VALU_DEP_1) | instskip(SKIP_1) | instid1(VALU_DEP_1)
	v_mul_u64_e32 v[8:9], 24, v[2:3]
	s_wait_loadcnt 0x0
	v_add_nc_u64_e32 v[8:9], v[4:5], v[8:9]
	s_wait_xcnt 0x0
	s_and_saveexec_b32 s7, s0
	s_cbranch_execz .LBB10_372
; %bb.371:
	v_mov_b64_e32 v[12:13], 0x100000002
	v_dual_mov_b32 v10, s1 :: v_dual_mov_b32 v11, v31
	global_store_b128 v[8:9], v[10:13], off offset:8
.LBB10_372:
	s_wait_xcnt 0x0
	s_or_b32 exec_lo, exec_lo, s7
	v_lshlrev_b64_e32 v[2:3], 12, v[2:3]
	s_mov_b32 s12, 0
	v_and_or_b32 v0, 0xffffff1f, v0, 32
	s_mov_b32 s13, s12
	s_mov_b32 s14, s12
	;; [unrolled: 1-line block ×3, first 2 shown]
	v_mov_b64_e32 v[10:11], s[12:13]
	v_add_nc_u64_e32 v[6:7], v[6:7], v[2:3]
	v_mov_b64_e32 v[12:13], s[14:15]
	v_dual_mov_b32 v2, v31 :: v_dual_mov_b32 v3, v31
	s_delay_alu instid0(VALU_DEP_3) | instskip(NEXT) | instid1(VALU_DEP_4)
	v_readfirstlane_b32 s10, v6
	v_readfirstlane_b32 s11, v7
	s_clause 0x3
	global_store_b128 v30, v[0:3], s[10:11]
	global_store_b128 v30, v[10:13], s[10:11] offset:16
	global_store_b128 v30, v[10:13], s[10:11] offset:32
	;; [unrolled: 1-line block ×3, first 2 shown]
	s_wait_xcnt 0x0
	s_and_saveexec_b32 s1, s0
	s_cbranch_execz .LBB10_380
; %bb.373:
	v_dual_mov_b32 v10, 0 :: v_dual_mov_b32 v13, s5
	s_mov_b32 s7, exec_lo
	s_clause 0x1
	global_load_b64 v[14:15], v10, s[2:3] offset:32 scope:SCOPE_SYS
	global_load_b64 v[0:1], v10, s[2:3] offset:40
	s_wait_loadcnt 0x0
	v_dual_mov_b32 v12, s4 :: v_dual_bitop2_b32 v1, s5, v1 bitop3:0x40
	v_and_b32_e32 v0, s4, v0
	s_delay_alu instid0(VALU_DEP_1) | instskip(NEXT) | instid1(VALU_DEP_1)
	v_mul_u64_e32 v[0:1], 24, v[0:1]
	v_add_nc_u64_e32 v[4:5], v[4:5], v[0:1]
	global_store_b64 v[4:5], v[14:15], off
	global_wb scope:SCOPE_SYS
	s_wait_storecnt 0x0
	s_wait_xcnt 0x0
	global_atomic_cmpswap_b64 v[2:3], v10, v[12:15], s[2:3] offset:32 th:TH_ATOMIC_RETURN scope:SCOPE_SYS
	s_wait_loadcnt 0x0
	v_cmpx_ne_u64_e64 v[2:3], v[14:15]
	s_cbranch_execz .LBB10_376
; %bb.374:
	s_mov_b32 s10, 0
.LBB10_375:                             ; =>This Inner Loop Header: Depth=1
	v_dual_mov_b32 v0, s4 :: v_dual_mov_b32 v1, s5
	s_sleep 1
	global_store_b64 v[4:5], v[2:3], off
	global_wb scope:SCOPE_SYS
	s_wait_storecnt 0x0
	s_wait_xcnt 0x0
	global_atomic_cmpswap_b64 v[0:1], v10, v[0:3], s[2:3] offset:32 th:TH_ATOMIC_RETURN scope:SCOPE_SYS
	s_wait_loadcnt 0x0
	v_cmp_eq_u64_e32 vcc_lo, v[0:1], v[2:3]
	v_mov_b64_e32 v[2:3], v[0:1]
	s_or_b32 s10, vcc_lo, s10
	s_delay_alu instid0(SALU_CYCLE_1)
	s_and_not1_b32 exec_lo, exec_lo, s10
	s_cbranch_execnz .LBB10_375
.LBB10_376:
	s_or_b32 exec_lo, exec_lo, s7
	v_mov_b32_e32 v3, 0
	s_mov_b32 s10, exec_lo
	s_mov_b32 s7, exec_lo
	v_mbcnt_lo_u32_b32 v2, s10, 0
	global_load_b64 v[0:1], v3, s[2:3] offset:16
	s_wait_xcnt 0x0
	v_cmpx_eq_u32_e32 0, v2
	s_cbranch_execz .LBB10_378
; %bb.377:
	s_bcnt1_i32_b32 s10, s10
	s_delay_alu instid0(SALU_CYCLE_1)
	v_mov_b32_e32 v2, s10
	global_wb scope:SCOPE_SYS
	s_wait_loadcnt 0x0
	s_wait_storecnt 0x0
	global_atomic_add_u64 v[0:1], v[2:3], off offset:8 scope:SCOPE_SYS
.LBB10_378:
	s_wait_xcnt 0x0
	s_or_b32 exec_lo, exec_lo, s7
	s_wait_loadcnt 0x0
	global_load_b64 v[2:3], v[0:1], off offset:16
	s_wait_loadcnt 0x0
	v_cmp_eq_u64_e32 vcc_lo, 0, v[2:3]
	s_cbranch_vccnz .LBB10_380
; %bb.379:
	global_load_b32 v0, v[0:1], off offset:24
	s_wait_xcnt 0x0
	v_mov_b32_e32 v1, 0
	s_wait_loadcnt 0x0
	v_readfirstlane_b32 s7, v0
	global_wb scope:SCOPE_SYS
	s_wait_storecnt 0x0
	global_store_b64 v[2:3], v[0:1], off scope:SCOPE_SYS
	s_and_b32 m0, s7, 0xffffff
	s_sendmsg sendmsg(MSG_INTERRUPT)
.LBB10_380:
	s_wait_xcnt 0x0
	s_or_b32 exec_lo, exec_lo, s1
	v_add_nc_u64_e32 v[0:1], v[6:7], v[30:31]
	s_branch .LBB10_384
.LBB10_381:                             ;   in Loop: Header=BB10_384 Depth=1
	s_wait_xcnt 0x0
	s_or_b32 exec_lo, exec_lo, s1
	s_delay_alu instid0(VALU_DEP_1)
	v_readfirstlane_b32 s1, v2
	s_cmp_eq_u32 s1, 0
	s_cbranch_scc1 .LBB10_383
; %bb.382:                              ;   in Loop: Header=BB10_384 Depth=1
	s_sleep 1
	s_cbranch_execnz .LBB10_384
	s_branch .LBB10_386
.LBB10_383:
	s_branch .LBB10_386
.LBB10_384:                             ; =>This Inner Loop Header: Depth=1
	v_mov_b32_e32 v2, 1
	s_and_saveexec_b32 s1, s0
	s_cbranch_execz .LBB10_381
; %bb.385:                              ;   in Loop: Header=BB10_384 Depth=1
	global_load_b32 v2, v[8:9], off offset:20 scope:SCOPE_SYS
	s_wait_loadcnt 0x0
	global_inv scope:SCOPE_SYS
	v_and_b32_e32 v2, 1, v2
	s_branch .LBB10_381
.LBB10_386:
	global_load_b64 v[0:1], v[0:1], off
	s_wait_xcnt 0x0
	s_and_saveexec_b32 s7, s0
	s_cbranch_execz .LBB10_390
; %bb.387:
	v_mov_b32_e32 v8, 0
	s_clause 0x2
	global_load_b64 v[2:3], v8, s[2:3] offset:40
	global_load_b64 v[12:13], v8, s[2:3] offset:24 scope:SCOPE_SYS
	global_load_b64 v[4:5], v8, s[2:3]
	s_wait_loadcnt 0x2
	v_readfirstlane_b32 s10, v2
	v_readfirstlane_b32 s11, v3
	s_add_nc_u64 s[0:1], s[10:11], 1
	s_delay_alu instid0(SALU_CYCLE_1) | instskip(NEXT) | instid1(SALU_CYCLE_1)
	s_add_nc_u64 s[4:5], s[0:1], s[4:5]
	s_cmp_eq_u64 s[4:5], 0
	s_cselect_b32 s1, s1, s5
	s_cselect_b32 s0, s0, s4
	v_mov_b32_e32 v11, s1
	s_and_b64 s[4:5], s[0:1], s[10:11]
	v_mov_b32_e32 v10, s0
	s_mul_u64 s[4:5], s[4:5], 24
	s_wait_loadcnt 0x0
	v_add_nc_u64_e32 v[6:7], s[4:5], v[4:5]
	global_store_b64 v[6:7], v[12:13], off
	global_wb scope:SCOPE_SYS
	s_wait_storecnt 0x0
	s_wait_xcnt 0x0
	global_atomic_cmpswap_b64 v[4:5], v8, v[10:13], s[2:3] offset:24 th:TH_ATOMIC_RETURN scope:SCOPE_SYS
	s_wait_loadcnt 0x0
	v_cmp_ne_u64_e32 vcc_lo, v[4:5], v[12:13]
	s_and_b32 exec_lo, exec_lo, vcc_lo
	s_cbranch_execz .LBB10_390
; %bb.388:
	s_mov_b32 s4, 0
.LBB10_389:                             ; =>This Inner Loop Header: Depth=1
	v_dual_mov_b32 v2, s0 :: v_dual_mov_b32 v3, s1
	s_sleep 1
	global_store_b64 v[6:7], v[4:5], off
	global_wb scope:SCOPE_SYS
	s_wait_storecnt 0x0
	s_wait_xcnt 0x0
	global_atomic_cmpswap_b64 v[2:3], v8, v[2:5], s[2:3] offset:24 th:TH_ATOMIC_RETURN scope:SCOPE_SYS
	s_wait_loadcnt 0x0
	v_cmp_eq_u64_e32 vcc_lo, v[2:3], v[4:5]
	v_mov_b64_e32 v[4:5], v[2:3]
	s_or_b32 s4, vcc_lo, s4
	s_delay_alu instid0(SALU_CYCLE_1)
	s_and_not1_b32 exec_lo, exec_lo, s4
	s_cbranch_execnz .LBB10_389
.LBB10_390:
	s_or_b32 exec_lo, exec_lo, s7
.LBB10_391:
	s_delay_alu instid0(SALU_CYCLE_1)
	s_or_b32 exec_lo, exec_lo, s6
	s_get_pc_i64 s[0:1]
	s_add_nc_u64 s[0:1], s[0:1], .str.3@rel64+4
	s_get_pc_i64 s[2:3]
	s_add_nc_u64 s[2:3], s[2:3], .str.3@rel64+27
	v_dual_mov_b32 v2, s0 :: v_dual_mov_b32 v3, s1
	s_sub_co_i32 s4, s2, s0
	v_mov_b32_e32 v6, 1
	s_ashr_i32 s5, s4, 31
	s_delay_alu instid0(SALU_CYCLE_1) | instskip(SKIP_2) | instid1(SALU_CYCLE_1)
	v_dual_mov_b32 v4, s4 :: v_dual_mov_b32 v5, s5
	s_get_pc_i64 s[2:3]
	s_add_nc_u64 s[2:3], s[2:3], __ockl_fprintf_append_string_n@rel64+4
	s_swap_pc_i64 s[30:31], s[2:3]
	s_trap 2
.Lfunc_end10:
	.size	__assert_fail, .Lfunc_end10-__assert_fail
                                        ; -- End function
	.set .L__assert_fail.num_vgpr, max(49, .L__ockl_fprintf_append_string_n.num_vgpr)
	.set .L__assert_fail.num_agpr, max(0, .L__ockl_fprintf_append_string_n.num_agpr)
	.set .L__assert_fail.numbered_sgpr, max(34, .L__ockl_fprintf_append_string_n.numbered_sgpr)
	.set .L__assert_fail.num_named_barrier, max(0, .L__ockl_fprintf_append_string_n.num_named_barrier)
	.set .L__assert_fail.private_seg_size, 64+max(.L__ockl_fprintf_append_string_n.private_seg_size)
	.set .L__assert_fail.uses_vcc, or(1, .L__ockl_fprintf_append_string_n.uses_vcc)
	.set .L__assert_fail.uses_flat_scratch, or(1, .L__ockl_fprintf_append_string_n.uses_flat_scratch)
	.set .L__assert_fail.has_dyn_sized_stack, or(0, .L__ockl_fprintf_append_string_n.has_dyn_sized_stack)
	.set .L__assert_fail.has_recursion, or(0, .L__ockl_fprintf_append_string_n.has_recursion)
	.set .L__assert_fail.has_indirect_call, or(0, .L__ockl_fprintf_append_string_n.has_indirect_call)
	.section	.AMDGPU.csdata,"",@progbits
; Function info:
; codeLenInByte = 15740
; TotalNumSgprs: 36
; NumVgprs: 49
; ScratchSize: 64
; MemoryBound: 0
	.section	.text._ZN9rocsolver6v33100L17syevj_diag_rotateILb0EffPfEEvbiiT2_iilPT0_Pii,"axG",@progbits,_ZN9rocsolver6v33100L17syevj_diag_rotateILb0EffPfEEvbiiT2_iilPT0_Pii,comdat
	.globl	_ZN9rocsolver6v33100L17syevj_diag_rotateILb0EffPfEEvbiiT2_iilPT0_Pii ; -- Begin function _ZN9rocsolver6v33100L17syevj_diag_rotateILb0EffPfEEvbiiT2_iilPT0_Pii
	.p2align	8
	.type	_ZN9rocsolver6v33100L17syevj_diag_rotateILb0EffPfEEvbiiT2_iilPT0_Pii,@function
_ZN9rocsolver6v33100L17syevj_diag_rotateILb0EffPfEEvbiiT2_iilPT0_Pii: ; @_ZN9rocsolver6v33100L17syevj_diag_rotateILb0EffPfEEvbiiT2_iilPT0_Pii
; %bb.0:
	s_load_b96 s[24:26], s[0:1], 0x0
	s_mov_b64 s[22:23], s[0:1]
	v_mov_b32_e32 v41, v0
	s_mov_b32 s29, 0
	s_mov_b32 s32, 0
	s_wait_kmcnt 0x0
	s_abs_i32 s21, s25
	s_mul_i32 s27, s25, s25
	s_cvt_f32_u32 s0, s21
	s_cmp_lt_u32 s27, 0x4001
	s_delay_alu instid0(SALU_CYCLE_2) | instskip(SKIP_2) | instid1(TRANS32_DEP_1)
	v_rcp_iflag_f32_e32 v0, s0
	s_mov_b32 s0, -1
	v_nop
	v_readfirstlane_b32 s28, v0
	s_cbranch_scc1 .LBB11_2
; %bb.1:
	s_get_pc_i64 s[0:1]
	s_add_nc_u64 s[0:1], s[0:1], __PRETTY_FUNCTION__._ZN9rocsolver6v33100L17syevj_diag_rotateILb0EffPfEEvbiiT2_iilPT0_Pii@rel64+4
	s_add_nc_u64 s[8:9], s[22:23], 64
	v_dual_mov_b32 v0, s0 :: v_dual_mov_b32 v1, s1
	s_get_pc_i64 s[2:3]
	s_add_nc_u64 s[2:3], s[2:3], __assert_fail@rel64+4
	s_delay_alu instid0(SALU_CYCLE_1)
	s_swap_pc_i64 s[30:31], s[2:3]
	; divergent unreachable
	s_mov_b32 s0, 0
.LBB11_2:
	s_delay_alu instid0(SALU_CYCLE_1)
	s_and_not1_b32 vcc_lo, exec_lo, s0
	s_cbranch_vccnz .LBB11_35
; %bb.3:
	s_load_b32 s30, s[22:23], 0x38
	s_bfe_u32 s0, ttmp6, 0x40014
	s_lshr_b32 s1, ttmp7, 16
	s_add_co_i32 s0, s0, 1
	s_bfe_u32 s3, ttmp6, 0x40008
	s_mul_i32 s2, s1, s0
	s_getreg_b32 s0, hwreg(HW_REG_IB_STS2, 6, 4)
	s_add_co_i32 s3, s3, s2
	s_cmp_eq_u32 s0, 0
	s_cselect_b32 s16, s1, s3
	s_mov_b32 s3, 0
	s_wait_kmcnt 0x0
	s_cmp_ge_u32 s16, s30
	s_cbranch_scc1 .LBB11_35
; %bb.4:
	s_mul_f32 s1, s28, 0x4f7ffffe
	s_clause 0x1
	s_load_b128 s[12:15], s[22:23], 0x40
	s_load_b64 s[18:19], s[22:23], 0x30
	s_sub_co_i32 s2, 0, s21
	s_cvt_u32_f32 s1, s1
	s_add_co_i32 s4, s26, -1
	s_ashr_i32 s17, s25, 31
	s_abs_i32 s28, s4
	s_mul_i32 s2, s2, s1
	s_ashr_i32 s20, s4, 31
	s_mul_hi_u32 s2, s1, s2
	s_mov_b32 s5, s29
	s_add_co_i32 s4, s1, s2
	s_cmp_lt_u32 s27, 0x2001
	s_mul_u64 s[34:35], s[28:29], s[4:5]
	s_cselect_b32 s31, -1, 0
	s_bitcmp1_b32 s24, 0
	v_bfe_u32 v5, v41, 10, 10
	s_cselect_b32 s24, -1, 0
	s_bfe_u32 s1, ttmp6, 0x40010
	s_bfe_u32 s4, ttmp6, 0x4000c
	s_and_b32 s2, ttmp7, 0xffff
	s_add_co_i32 s1, s1, 1
	s_add_co_i32 s4, s4, 1
	s_mul_i32 s1, s2, s1
	s_bfe_u32 s5, ttmp6, 0x40004
	s_and_b32 s6, ttmp6, 15
	s_mul_i32 s4, ttmp9, s4
	s_wait_kmcnt 0x0
	s_lshr_b32 s29, s15, 16
	s_and_b32 s15, s15, 0xffff
	s_add_co_i32 s1, s5, s1
	s_add_co_i32 s33, s6, s4
	s_load_b256 s[4:11], s[22:23], 0x10
	s_cmp_eq_u32 s0, 0
	s_mul_i32 s0, s35, s21
	s_cselect_b32 s33, ttmp9, s33
	s_cselect_b32 s34, s2, s1
	s_sub_co_i32 s0, s28, s0
	s_xor_b32 s1, s20, s17
	s_add_co_i32 s2, s35, 1
	s_sub_co_i32 s17, s0, s21
	s_cmp_ge_u32 s0, s21
	v_mul_lo_u32 v0, v5, s25
	s_cselect_b32 s2, s2, s35
	s_cselect_b32 s0, s17, s0
	s_add_co_i32 s17, s2, 1
	s_cmp_ge_u32 s0, s21
	v_and_b32_e32 v4, 0x3ff, v41
	s_cselect_b32 s0, s17, s2
	s_mov_b64 s[36:37], src_shared_base
	s_xor_b32 s0, s0, s1
	s_mul_i32 s39, s29, s15
	s_sub_co_i32 s28, s0, s1
	s_lshl_b32 s0, s27, 2
	s_add_co_i32 s35, s28, 1
	s_add_co_i32 s36, s0, 0
	s_wait_kmcnt 0x0
	s_ashr_i32 s23, s6, 31
	v_mad_u32_u24 v6, v5, s15, v4
	v_lshlrev_b32_e32 v1, 2, v4
	v_lshlrev_b32_e32 v0, 2, v0
	s_cmp_lt_u32 s33, s35
	s_mul_i32 s0, s28, s25
	s_cselect_b32 s38, -1, 0
	s_sub_co_i32 s26, s26, s0
	s_mov_b32 s22, s6
	s_cmp_lt_u32 s34, s35
	v_cmp_gt_u32_e64 s0, s27, v6
	v_lshl_add_u32 v7, v6, 2, s36
	v_add_nc_u32_e32 v9, 0, v1
	v_add3_u32 v8, v0, v1, 0
	v_mov_b32_e32 v1, 0
	s_cselect_b32 s40, -1, 0
	s_ashr_i32 s21, s7, 31
	s_mov_b32 s20, s7
	s_lshl_b64 s[6:7], s[22:23], 2
	s_mul_i32 s1, s25, s29
	s_add_nc_u64 s[4:5], s[4:5], s[6:7]
	s_lshl_b32 s41, s39, 2
	s_lshl_b32 s42, s1, 2
	;; [unrolled: 1-line block ×3, first 2 shown]
	s_mul_i32 s44, s34, s25
	s_mul_i32 s45, s13, s25
	s_lshl_b32 s46, s25, 2
	s_branch .LBB11_6
.LBB11_5:                               ;   in Loop: Header=BB11_6 Depth=1
	s_add_co_i32 s16, s16, s14
	s_delay_alu instid0(SALU_CYCLE_1)
	s_cmp_lt_u32 s16, s30
	s_cbranch_scc0 .LBB11_35
.LBB11_6:                               ; =>This Loop Header: Depth=1
                                        ;     Child Loop BB11_10 Depth 2
                                        ;       Child Loop BB11_13 Depth 3
                                        ;       Child Loop BB11_19 Depth 3
                                        ;         Child Loop BB11_23 Depth 4
                                        ;           Child Loop BB11_25 Depth 5
                                        ;         Child Loop BB11_29 Depth 4
                                        ;           Child Loop BB11_32 Depth 5
                                        ;             Child Loop BB11_34 Depth 6
	s_wait_xcnt 0x0
	v_mov_b32_e32 v0, s16
	global_load_b32 v0, v0, s[18:19] offset:4 scale_offset
	s_wait_loadcnt 0x0
	v_cmp_ne_u32_e32 vcc_lo, 0, v0
	s_cbranch_vccnz .LBB11_5
; %bb.7:                                ;   in Loop: Header=BB11_6 Depth=1
	s_and_not1_b32 vcc_lo, exec_lo, s38
	s_cbranch_vccnz .LBB11_5
; %bb.8:                                ;   in Loop: Header=BB11_6 Depth=1
	s_mov_b32 s17, s3
	s_mov_b32 s47, s33
	s_mul_u64 s[6:7], s[8:9], s[16:17]
	s_mul_i32 s17, s16, s35
	s_lshl_b64 s[6:7], s[6:7], 2
	s_delay_alu instid0(SALU_CYCLE_1)
	s_add_nc_u64 s[6:7], s[4:5], s[6:7]
	s_branch .LBB11_10
.LBB11_9:                               ;   in Loop: Header=BB11_10 Depth=2
	s_add_co_i32 s47, s47, s12
	s_delay_alu instid0(SALU_CYCLE_1)
	s_cmp_ge_u32 s47, s35
	s_cbranch_scc1 .LBB11_5
.LBB11_10:                              ;   Parent Loop BB11_6 Depth=1
                                        ; =>  This Loop Header: Depth=2
                                        ;       Child Loop BB11_13 Depth 3
                                        ;       Child Loop BB11_19 Depth 3
                                        ;         Child Loop BB11_23 Depth 4
                                        ;           Child Loop BB11_25 Depth 5
                                        ;         Child Loop BB11_29 Depth 4
                                        ;           Child Loop BB11_32 Depth 5
                                        ;             Child Loop BB11_34 Depth 6
	s_add_co_i32 s1, s47, s17
	s_and_not1_b32 vcc_lo, exec_lo, s31
	s_mul_i32 s2, s1, s27
	s_delay_alu instid0(SALU_CYCLE_1) | instskip(NEXT) | instid1(SALU_CYCLE_1)
	s_lshl_b64 s[22:23], s[2:3], 2
	s_add_nc_u64 s[22:23], s[10:11], s[22:23]
	s_cbranch_vccnz .LBB11_15
; %bb.11:                               ;   in Loop: Header=BB11_10 Depth=2
	s_wait_storecnt 0x0
	s_barrier_signal -1
	s_barrier_wait -1
	s_wait_xcnt 0x0
	s_and_saveexec_b32 s1, s0
	s_cbranch_execz .LBB11_14
; %bb.12:                               ;   in Loop: Header=BB11_10 Depth=2
	v_dual_mov_b32 v0, v7 :: v_dual_mov_b32 v2, v6
	s_mov_b32 s2, 0
.LBB11_13:                              ;   Parent Loop BB11_6 Depth=1
                                        ;     Parent Loop BB11_10 Depth=2
                                        ; =>    This Inner Loop Header: Depth=3
	global_load_b32 v3, v2, s[22:23] scale_offset
	s_wait_xcnt 0x0
	v_add_nc_u32_e32 v2, s39, v2
	s_wait_loadcnt 0x0
	ds_store_b32 v0, v3
	v_add_nc_u32_e32 v0, s41, v0
	v_cmp_le_u32_e32 vcc_lo, s27, v2
	s_or_b32 s2, vcc_lo, s2
	s_delay_alu instid0(SALU_CYCLE_1)
	s_and_not1_b32 exec_lo, exec_lo, s2
	s_cbranch_execnz .LBB11_13
.LBB11_14:                              ;   in Loop: Header=BB11_10 Depth=2
	s_or_b32 exec_lo, exec_lo, s1
	s_wait_dscnt 0x0
	s_barrier_signal -1
	s_barrier_wait -1
.LBB11_15:                              ;   in Loop: Header=BB11_10 Depth=2
	s_and_not1_b32 vcc_lo, exec_lo, s40
	s_cbranch_vccnz .LBB11_9
; %bb.16:                               ;   in Loop: Header=BB11_10 Depth=2
	s_and_b32 s1, s31, exec_lo
	s_cselect_b32 s23, s37, s23
	s_cselect_b32 s22, s36, s22
	s_cmp_eq_u32 s47, s28
	s_mul_i32 s50, s47, s25
	s_cselect_b32 s48, s26, s25
	s_mov_b32 s51, s44
	v_cmp_gt_u32_e64 s1, s48, v5
	s_cmp_gt_i32 s48, 0
	s_mov_b32 s52, s34
	s_cselect_b32 s49, -1, 0
	s_branch .LBB11_19
.LBB11_17:                              ;   in Loop: Header=BB11_19 Depth=3
	s_or_b32 exec_lo, exec_lo, s54
	s_wait_storecnt 0x0
	s_barrier_signal -1
	s_barrier_wait -1
.LBB11_18:                              ;   in Loop: Header=BB11_19 Depth=3
	s_add_co_i32 s52, s52, s13
	s_add_co_i32 s51, s51, s45
	s_cmp_ge_u32 s52, s35
	s_cbranch_scc1 .LBB11_9
.LBB11_19:                              ;   Parent Loop BB11_6 Depth=1
                                        ;     Parent Loop BB11_10 Depth=2
                                        ; =>    This Loop Header: Depth=3
                                        ;         Child Loop BB11_23 Depth 4
                                        ;           Child Loop BB11_25 Depth 5
                                        ;         Child Loop BB11_29 Depth 4
                                        ;           Child Loop BB11_32 Depth 5
                                        ;             Child Loop BB11_34 Depth 6
	s_cmp_eq_u32 s47, s52
	s_cselect_b32 s2, -1, 0
	s_delay_alu instid0(SALU_CYCLE_1) | instskip(NEXT) | instid1(SALU_CYCLE_1)
	s_and_b32 s2, s24, s2
	s_and_b32 vcc_lo, exec_lo, s2
	s_cbranch_vccnz .LBB11_18
; %bb.20:                               ;   in Loop: Header=BB11_19 Depth=3
	s_cmp_eq_u32 s52, s28
	s_wait_storecnt 0x0
	s_cselect_b32 s53, s26, s25
	s_barrier_signal -1
	s_barrier_wait -1
	s_wait_xcnt 0x0
	s_and_saveexec_b32 s54, s1
	s_cbranch_execz .LBB11_26
; %bb.21:                               ;   in Loop: Header=BB11_19 Depth=3
	v_dual_mov_b32 v10, v8 :: v_dual_mov_b32 v11, v5
	s_mov_b32 s55, 0
	v_cmp_gt_u32_e32 vcc_lo, s53, v4
	s_branch .LBB11_23
.LBB11_22:                              ;   in Loop: Header=BB11_23 Depth=4
	s_or_b32 exec_lo, exec_lo, s56
	v_dual_add_nc_u32 v11, s29, v11 :: v_dual_add_nc_u32 v10, s42, v10
	s_delay_alu instid0(VALU_DEP_1) | instskip(SKIP_1) | instid1(SALU_CYCLE_1)
	v_cmp_le_u32_e64 s2, s48, v11
	s_or_b32 s55, s2, s55
	s_and_not1_b32 exec_lo, exec_lo, s55
	s_cbranch_execz .LBB11_26
.LBB11_23:                              ;   Parent Loop BB11_6 Depth=1
                                        ;     Parent Loop BB11_10 Depth=2
                                        ;       Parent Loop BB11_19 Depth=3
                                        ; =>      This Loop Header: Depth=4
                                        ;           Child Loop BB11_25 Depth 5
	s_and_saveexec_b32 s56, vcc_lo
	s_cbranch_execz .LBB11_22
; %bb.24:                               ;   in Loop: Header=BB11_23 Depth=4
	v_dual_add_nc_u32 v0, s50, v11 :: v_dual_mov_b32 v12, v10
	v_mov_b32_e32 v13, v4
	s_mov_b32 s57, 0
	s_delay_alu instid0(VALU_DEP_2) | instskip(NEXT) | instid1(VALU_DEP_1)
	v_mul_u64_e32 v[2:3], s[20:21], v[0:1]
	v_lshl_add_u64 v[2:3], v[2:3], 2, s[6:7]
.LBB11_25:                              ;   Parent Loop BB11_6 Depth=1
                                        ;     Parent Loop BB11_10 Depth=2
                                        ;       Parent Loop BB11_19 Depth=3
                                        ;         Parent Loop BB11_23 Depth=4
                                        ; =>        This Inner Loop Header: Depth=5
	s_delay_alu instid0(VALU_DEP_3) | instskip(NEXT) | instid1(VALU_DEP_1)
	v_dual_add_nc_u32 v0, s51, v13 :: v_dual_add_nc_u32 v13, s15, v13
	v_lshl_add_u64 v[14:15], v[0:1], 2, v[2:3]
	s_delay_alu instid0(VALU_DEP_2)
	v_cmp_le_u32_e64 s2, s53, v13
	global_load_b32 v0, v[14:15], off
	s_or_b32 s57, s2, s57
	s_wait_loadcnt 0x0
	ds_store_b32 v12, v0
	v_add_nc_u32_e32 v12, s43, v12
	s_wait_xcnt 0x0
	s_and_not1_b32 exec_lo, exec_lo, s57
	s_cbranch_execnz .LBB11_25
	s_branch .LBB11_22
.LBB11_26:                              ;   in Loop: Header=BB11_19 Depth=3
	s_or_b32 exec_lo, exec_lo, s54
	s_wait_dscnt 0x0
	s_barrier_signal -1
	s_barrier_wait -1
	s_and_saveexec_b32 s54, s1
	s_cbranch_execz .LBB11_17
; %bb.27:                               ;   in Loop: Header=BB11_19 Depth=3
	v_cmp_gt_u32_e64 s2, s53, v4
	v_mov_b32_e32 v10, v5
	s_mul_i32 s55, s52, s25
	s_mov_b32 s56, 0
	s_branch .LBB11_29
.LBB11_28:                              ;   in Loop: Header=BB11_29 Depth=4
	s_or_b32 exec_lo, exec_lo, s57
	v_add_nc_u32_e32 v10, s29, v10
	s_delay_alu instid0(VALU_DEP_1) | instskip(SKIP_1) | instid1(SALU_CYCLE_1)
	v_cmp_le_u32_e32 vcc_lo, s48, v10
	s_or_b32 s56, vcc_lo, s56
	s_and_not1_b32 exec_lo, exec_lo, s56
	s_cbranch_execz .LBB11_17
.LBB11_29:                              ;   Parent Loop BB11_6 Depth=1
                                        ;     Parent Loop BB11_10 Depth=2
                                        ;       Parent Loop BB11_19 Depth=3
                                        ; =>      This Loop Header: Depth=4
                                        ;           Child Loop BB11_32 Depth 5
                                        ;             Child Loop BB11_34 Depth 6
	s_and_saveexec_b32 s57, s2
	s_cbranch_execz .LBB11_28
; %bb.30:                               ;   in Loop: Header=BB11_29 Depth=4
	v_dual_mov_b32 v11, v9 :: v_dual_add_nc_u32 v0, s50, v10
	v_mov_b32_e32 v12, v4
	s_mov_b32 s58, 0
	s_delay_alu instid0(VALU_DEP_2) | instskip(NEXT) | instid1(VALU_DEP_1)
	v_mul_u64_e32 v[2:3], s[20:21], v[0:1]
	v_lshl_add_u64 v[2:3], v[2:3], 2, s[6:7]
	s_branch .LBB11_32
.LBB11_31:                              ;   in Loop: Header=BB11_32 Depth=5
	v_dual_add_nc_u32 v0, s55, v12 :: v_dual_add_nc_u32 v12, s15, v12
	v_add_nc_u32_e32 v11, s43, v11
	s_delay_alu instid0(VALU_DEP_2) | instskip(NEXT) | instid1(VALU_DEP_3)
	v_lshl_add_u64 v[14:15], v[0:1], 2, v[2:3]
	v_cmp_le_u32_e32 vcc_lo, s53, v12
	global_store_b32 v[14:15], v13, off
	s_or_b32 s58, vcc_lo, s58
	s_wait_xcnt 0x0
	s_and_not1_b32 exec_lo, exec_lo, s58
	s_cbranch_execz .LBB11_28
.LBB11_32:                              ;   Parent Loop BB11_6 Depth=1
                                        ;     Parent Loop BB11_10 Depth=2
                                        ;       Parent Loop BB11_19 Depth=3
                                        ;         Parent Loop BB11_29 Depth=4
                                        ; =>        This Loop Header: Depth=5
                                        ;             Child Loop BB11_34 Depth 6
	v_mov_b32_e32 v13, 0
	s_and_not1_b32 vcc_lo, exec_lo, s49
	s_cbranch_vccnz .LBB11_31
; %bb.33:                               ;   in Loop: Header=BB11_32 Depth=5
	v_dual_mov_b32 v0, v10 :: v_dual_mov_b32 v14, v11
	s_mov_b32 s59, s48
.LBB11_34:                              ;   Parent Loop BB11_6 Depth=1
                                        ;     Parent Loop BB11_10 Depth=2
                                        ;       Parent Loop BB11_19 Depth=3
                                        ;         Parent Loop BB11_29 Depth=4
                                        ;           Parent Loop BB11_32 Depth=5
                                        ; =>          This Inner Loop Header: Depth=6
	flat_load_b32 v15, v0, s[22:23] scale_offset
	ds_load_b32 v16, v14
	s_wait_xcnt 0x0
	v_dual_add_nc_u32 v14, s46, v14 :: v_dual_add_nc_u32 v0, s25, v0
	s_add_co_i32 s59, s59, -1
	s_delay_alu instid0(SALU_CYCLE_1)
	s_cmp_eq_u32 s59, 0
	s_wait_loadcnt_dscnt 0x0
	v_fmac_f32_e32 v13, v16, v15
	s_cbranch_scc0 .LBB11_34
	s_branch .LBB11_31
.LBB11_35:
	s_endpgm
	.section	.rodata,"a",@progbits
	.p2align	6, 0x0
	.amdhsa_kernel _ZN9rocsolver6v33100L17syevj_diag_rotateILb0EffPfEEvbiiT2_iilPT0_Pii
		.amdhsa_group_segment_fixed_size 0
		.amdhsa_private_segment_fixed_size 64
		.amdhsa_kernarg_size 320
		.amdhsa_user_sgpr_count 2
		.amdhsa_user_sgpr_dispatch_ptr 0
		.amdhsa_user_sgpr_queue_ptr 0
		.amdhsa_user_sgpr_kernarg_segment_ptr 1
		.amdhsa_user_sgpr_dispatch_id 0
		.amdhsa_user_sgpr_kernarg_preload_length 0
		.amdhsa_user_sgpr_kernarg_preload_offset 0
		.amdhsa_user_sgpr_private_segment_size 0
		.amdhsa_wavefront_size32 1
		.amdhsa_uses_dynamic_stack 0
		.amdhsa_enable_private_segment 1
		.amdhsa_system_sgpr_workgroup_id_x 1
		.amdhsa_system_sgpr_workgroup_id_y 1
		.amdhsa_system_sgpr_workgroup_id_z 1
		.amdhsa_system_sgpr_workgroup_info 0
		.amdhsa_system_vgpr_workitem_id 1
		.amdhsa_next_free_vgpr 49
		.amdhsa_next_free_sgpr 60
		.amdhsa_named_barrier_count 0
		.amdhsa_reserve_vcc 1
		.amdhsa_float_round_mode_32 0
		.amdhsa_float_round_mode_16_64 0
		.amdhsa_float_denorm_mode_32 3
		.amdhsa_float_denorm_mode_16_64 3
		.amdhsa_fp16_overflow 0
		.amdhsa_memory_ordered 1
		.amdhsa_forward_progress 1
		.amdhsa_inst_pref_size 12
		.amdhsa_round_robin_scheduling 0
		.amdhsa_exception_fp_ieee_invalid_op 0
		.amdhsa_exception_fp_denorm_src 0
		.amdhsa_exception_fp_ieee_div_zero 0
		.amdhsa_exception_fp_ieee_overflow 0
		.amdhsa_exception_fp_ieee_underflow 0
		.amdhsa_exception_fp_ieee_inexact 0
		.amdhsa_exception_int_div_zero 0
	.end_amdhsa_kernel
	.section	.text._ZN9rocsolver6v33100L17syevj_diag_rotateILb0EffPfEEvbiiT2_iilPT0_Pii,"axG",@progbits,_ZN9rocsolver6v33100L17syevj_diag_rotateILb0EffPfEEvbiiT2_iilPT0_Pii,comdat
.Lfunc_end11:
	.size	_ZN9rocsolver6v33100L17syevj_diag_rotateILb0EffPfEEvbiiT2_iilPT0_Pii, .Lfunc_end11-_ZN9rocsolver6v33100L17syevj_diag_rotateILb0EffPfEEvbiiT2_iilPT0_Pii
                                        ; -- End function
	.set _ZN9rocsolver6v33100L17syevj_diag_rotateILb0EffPfEEvbiiT2_iilPT0_Pii.num_vgpr, max(42, .L__assert_fail.num_vgpr)
	.set _ZN9rocsolver6v33100L17syevj_diag_rotateILb0EffPfEEvbiiT2_iilPT0_Pii.num_agpr, max(0, .L__assert_fail.num_agpr)
	.set _ZN9rocsolver6v33100L17syevj_diag_rotateILb0EffPfEEvbiiT2_iilPT0_Pii.numbered_sgpr, max(60, .L__assert_fail.numbered_sgpr)
	.set _ZN9rocsolver6v33100L17syevj_diag_rotateILb0EffPfEEvbiiT2_iilPT0_Pii.num_named_barrier, max(0, .L__assert_fail.num_named_barrier)
	.set _ZN9rocsolver6v33100L17syevj_diag_rotateILb0EffPfEEvbiiT2_iilPT0_Pii.private_seg_size, 0+max(.L__assert_fail.private_seg_size)
	.set _ZN9rocsolver6v33100L17syevj_diag_rotateILb0EffPfEEvbiiT2_iilPT0_Pii.uses_vcc, or(1, .L__assert_fail.uses_vcc)
	.set _ZN9rocsolver6v33100L17syevj_diag_rotateILb0EffPfEEvbiiT2_iilPT0_Pii.uses_flat_scratch, or(0, .L__assert_fail.uses_flat_scratch)
	.set _ZN9rocsolver6v33100L17syevj_diag_rotateILb0EffPfEEvbiiT2_iilPT0_Pii.has_dyn_sized_stack, or(0, .L__assert_fail.has_dyn_sized_stack)
	.set _ZN9rocsolver6v33100L17syevj_diag_rotateILb0EffPfEEvbiiT2_iilPT0_Pii.has_recursion, or(0, .L__assert_fail.has_recursion)
	.set _ZN9rocsolver6v33100L17syevj_diag_rotateILb0EffPfEEvbiiT2_iilPT0_Pii.has_indirect_call, or(0, .L__assert_fail.has_indirect_call)
	.section	.AMDGPU.csdata,"",@progbits
; Kernel info:
; codeLenInByte = 1480
; TotalNumSgprs: 62
; NumVgprs: 49
; ScratchSize: 64
; MemoryBound: 0
; FloatMode: 240
; IeeeMode: 1
; LDSByteSize: 0 bytes/workgroup (compile time only)
; SGPRBlocks: 0
; VGPRBlocks: 3
; NumSGPRsForWavesPerEU: 62
; NumVGPRsForWavesPerEU: 49
; NamedBarCnt: 0
; Occupancy: 16
; WaveLimiterHint : 1
; COMPUTE_PGM_RSRC2:SCRATCH_EN: 1
; COMPUTE_PGM_RSRC2:USER_SGPR: 2
; COMPUTE_PGM_RSRC2:TRAP_HANDLER: 0
; COMPUTE_PGM_RSRC2:TGID_X_EN: 1
; COMPUTE_PGM_RSRC2:TGID_Y_EN: 1
; COMPUTE_PGM_RSRC2:TGID_Z_EN: 1
; COMPUTE_PGM_RSRC2:TIDIG_COMP_CNT: 1
	.section	.text._ZN9rocsolver6v33100L17syevj_diag_rotateILb1EffPfEEvbiiT2_iilPT0_Pii,"axG",@progbits,_ZN9rocsolver6v33100L17syevj_diag_rotateILb1EffPfEEvbiiT2_iilPT0_Pii,comdat
	.globl	_ZN9rocsolver6v33100L17syevj_diag_rotateILb1EffPfEEvbiiT2_iilPT0_Pii ; -- Begin function _ZN9rocsolver6v33100L17syevj_diag_rotateILb1EffPfEEvbiiT2_iilPT0_Pii
	.p2align	8
	.type	_ZN9rocsolver6v33100L17syevj_diag_rotateILb1EffPfEEvbiiT2_iilPT0_Pii,@function
_ZN9rocsolver6v33100L17syevj_diag_rotateILb1EffPfEEvbiiT2_iilPT0_Pii: ; @_ZN9rocsolver6v33100L17syevj_diag_rotateILb1EffPfEEvbiiT2_iilPT0_Pii
; %bb.0:
	s_load_b96 s[24:26], s[0:1], 0x0
	s_mov_b64 s[22:23], s[0:1]
	v_mov_b32_e32 v41, v0
	s_mov_b32 s29, 0
	s_mov_b32 s32, 0
	s_wait_kmcnt 0x0
	s_abs_i32 s21, s25
	s_mul_i32 s27, s25, s25
	s_cvt_f32_u32 s0, s21
	s_cmp_lt_u32 s27, 0x4001
	s_delay_alu instid0(SALU_CYCLE_2) | instskip(SKIP_2) | instid1(TRANS32_DEP_1)
	v_rcp_iflag_f32_e32 v0, s0
	s_mov_b32 s0, -1
	v_nop
	v_readfirstlane_b32 s28, v0
	s_cbranch_scc1 .LBB12_2
; %bb.1:
	s_get_pc_i64 s[0:1]
	s_add_nc_u64 s[0:1], s[0:1], __PRETTY_FUNCTION__._ZN9rocsolver6v33100L17syevj_diag_rotateILb1EffPfEEvbiiT2_iilPT0_Pii@rel64+4
	s_add_nc_u64 s[8:9], s[22:23], 64
	v_dual_mov_b32 v0, s0 :: v_dual_mov_b32 v1, s1
	s_get_pc_i64 s[2:3]
	s_add_nc_u64 s[2:3], s[2:3], __assert_fail@rel64+4
	s_delay_alu instid0(SALU_CYCLE_1)
	s_swap_pc_i64 s[30:31], s[2:3]
	; divergent unreachable
	s_mov_b32 s0, 0
.LBB12_2:
	s_delay_alu instid0(SALU_CYCLE_1)
	s_and_not1_b32 vcc_lo, exec_lo, s0
	s_cbranch_vccnz .LBB12_35
; %bb.3:
	s_load_b32 s30, s[22:23], 0x38
	s_bfe_u32 s0, ttmp6, 0x40014
	s_lshr_b32 s1, ttmp7, 16
	s_add_co_i32 s0, s0, 1
	s_bfe_u32 s3, ttmp6, 0x40008
	s_mul_i32 s2, s1, s0
	s_getreg_b32 s0, hwreg(HW_REG_IB_STS2, 6, 4)
	s_add_co_i32 s3, s3, s2
	s_cmp_eq_u32 s0, 0
	s_cselect_b32 s16, s1, s3
	s_mov_b32 s3, 0
	s_wait_kmcnt 0x0
	s_cmp_ge_u32 s16, s30
	s_cbranch_scc1 .LBB12_35
; %bb.4:
	s_mul_f32 s1, s28, 0x4f7ffffe
	s_clause 0x1
	s_load_b128 s[12:15], s[22:23], 0x40
	s_load_b64 s[18:19], s[22:23], 0x30
	s_sub_co_i32 s2, 0, s21
	s_cvt_u32_f32 s1, s1
	s_add_co_i32 s4, s26, -1
	s_ashr_i32 s17, s25, 31
	s_abs_i32 s28, s4
	s_mul_i32 s2, s2, s1
	s_ashr_i32 s20, s4, 31
	s_mul_hi_u32 s2, s1, s2
	s_mov_b32 s5, s29
	s_add_co_i32 s4, s1, s2
	s_cmp_lt_u32 s27, 0x2001
	s_mul_u64 s[34:35], s[28:29], s[4:5]
	s_cselect_b32 s31, -1, 0
	s_bitcmp1_b32 s24, 0
	v_bfe_u32 v5, v41, 10, 10
	s_cselect_b32 s24, -1, 0
	s_bfe_u32 s1, ttmp6, 0x40010
	s_bfe_u32 s4, ttmp6, 0x4000c
	s_and_b32 s2, ttmp7, 0xffff
	s_add_co_i32 s1, s1, 1
	s_add_co_i32 s4, s4, 1
	s_mul_i32 s1, s2, s1
	s_bfe_u32 s5, ttmp6, 0x40004
	s_and_b32 s6, ttmp6, 15
	s_mul_i32 s4, ttmp9, s4
	s_wait_kmcnt 0x0
	s_lshr_b32 s29, s15, 16
	s_and_b32 s15, s15, 0xffff
	s_add_co_i32 s1, s5, s1
	s_add_co_i32 s33, s6, s4
	s_load_b256 s[4:11], s[22:23], 0x10
	s_cmp_eq_u32 s0, 0
	s_mul_i32 s0, s35, s21
	s_cselect_b32 s33, ttmp9, s33
	s_cselect_b32 s34, s2, s1
	s_sub_co_i32 s0, s28, s0
	s_xor_b32 s1, s20, s17
	s_add_co_i32 s2, s35, 1
	s_sub_co_i32 s17, s0, s21
	s_cmp_ge_u32 s0, s21
	v_mul_lo_u32 v0, v5, s25
	s_cselect_b32 s2, s2, s35
	s_cselect_b32 s0, s17, s0
	s_add_co_i32 s17, s2, 1
	s_cmp_ge_u32 s0, s21
	v_and_b32_e32 v4, 0x3ff, v41
	s_cselect_b32 s0, s17, s2
	s_mov_b64 s[36:37], src_shared_base
	s_xor_b32 s0, s0, s1
	s_mul_i32 s39, s29, s15
	s_sub_co_i32 s28, s0, s1
	s_lshl_b32 s0, s27, 2
	s_add_co_i32 s35, s28, 1
	s_add_co_i32 s36, s0, 0
	s_wait_kmcnt 0x0
	s_ashr_i32 s23, s6, 31
	v_mad_u32_u24 v6, v5, s15, v4
	v_lshlrev_b32_e32 v0, 2, v0
	v_lshlrev_b32_e32 v1, 2, v4
	s_cmp_lt_u32 s33, s35
	s_mul_i32 s0, s28, s25
	s_cselect_b32 s38, -1, 0
	s_sub_co_i32 s26, s26, s0
	s_mov_b32 s22, s6
	s_cmp_lt_u32 s34, s35
	v_cmp_gt_u32_e64 s0, s27, v6
	v_lshl_add_u32 v7, v6, 2, s36
	v_add3_u32 v8, v0, v1, 0
	v_dual_mov_b32 v1, 0 :: v_dual_add_nc_u32 v9, 0, v0
	s_cselect_b32 s40, -1, 0
	s_ashr_i32 s21, s7, 31
	s_mov_b32 s20, s7
	s_lshl_b64 s[6:7], s[22:23], 2
	s_mul_i32 s1, s25, s29
	s_add_nc_u64 s[4:5], s[4:5], s[6:7]
	s_lshl_b32 s41, s39, 2
	s_lshl_b32 s42, s1, 2
	;; [unrolled: 1-line block ×3, first 2 shown]
	s_mul_i32 s44, s33, s25
	s_mul_i32 s45, s12, s25
	s_branch .LBB12_6
.LBB12_5:                               ;   in Loop: Header=BB12_6 Depth=1
	s_add_co_i32 s16, s16, s14
	s_delay_alu instid0(SALU_CYCLE_1)
	s_cmp_lt_u32 s16, s30
	s_cbranch_scc0 .LBB12_35
.LBB12_6:                               ; =>This Loop Header: Depth=1
                                        ;     Child Loop BB12_10 Depth 2
                                        ;       Child Loop BB12_13 Depth 3
                                        ;       Child Loop BB12_19 Depth 3
                                        ;         Child Loop BB12_23 Depth 4
                                        ;           Child Loop BB12_25 Depth 5
                                        ;         Child Loop BB12_29 Depth 4
                                        ;           Child Loop BB12_32 Depth 5
                                        ;             Child Loop BB12_34 Depth 6
	s_wait_xcnt 0x0
	v_mov_b32_e32 v0, s16
	global_load_b32 v0, v0, s[18:19] offset:4 scale_offset
	s_wait_loadcnt 0x0
	v_cmp_ne_u32_e32 vcc_lo, 0, v0
	s_cbranch_vccnz .LBB12_5
; %bb.7:                                ;   in Loop: Header=BB12_6 Depth=1
	s_and_not1_b32 vcc_lo, exec_lo, s38
	s_cbranch_vccnz .LBB12_5
; %bb.8:                                ;   in Loop: Header=BB12_6 Depth=1
	s_mov_b32 s17, s3
	s_mov_b32 s46, s44
	s_mul_u64 s[6:7], s[8:9], s[16:17]
	s_mul_i32 s17, s16, s35
	s_lshl_b64 s[6:7], s[6:7], 2
	s_mov_b32 s47, s33
	s_add_nc_u64 s[6:7], s[4:5], s[6:7]
	s_branch .LBB12_10
.LBB12_9:                               ;   in Loop: Header=BB12_10 Depth=2
	s_add_co_i32 s47, s47, s12
	s_add_co_i32 s46, s46, s45
	s_cmp_ge_u32 s47, s35
	s_cbranch_scc1 .LBB12_5
.LBB12_10:                              ;   Parent Loop BB12_6 Depth=1
                                        ; =>  This Loop Header: Depth=2
                                        ;       Child Loop BB12_13 Depth 3
                                        ;       Child Loop BB12_19 Depth 3
                                        ;         Child Loop BB12_23 Depth 4
                                        ;           Child Loop BB12_25 Depth 5
                                        ;         Child Loop BB12_29 Depth 4
                                        ;           Child Loop BB12_32 Depth 5
                                        ;             Child Loop BB12_34 Depth 6
	s_add_co_i32 s1, s47, s17
	s_and_not1_b32 vcc_lo, exec_lo, s31
	s_mul_i32 s2, s1, s27
	s_delay_alu instid0(SALU_CYCLE_1) | instskip(NEXT) | instid1(SALU_CYCLE_1)
	s_lshl_b64 s[22:23], s[2:3], 2
	s_add_nc_u64 s[22:23], s[10:11], s[22:23]
	s_cbranch_vccnz .LBB12_15
; %bb.11:                               ;   in Loop: Header=BB12_10 Depth=2
	s_wait_storecnt 0x0
	s_barrier_signal -1
	s_barrier_wait -1
	s_wait_xcnt 0x0
	s_and_saveexec_b32 s1, s0
	s_cbranch_execz .LBB12_14
; %bb.12:                               ;   in Loop: Header=BB12_10 Depth=2
	v_dual_mov_b32 v0, v7 :: v_dual_mov_b32 v2, v6
	s_mov_b32 s2, 0
.LBB12_13:                              ;   Parent Loop BB12_6 Depth=1
                                        ;     Parent Loop BB12_10 Depth=2
                                        ; =>    This Inner Loop Header: Depth=3
	global_load_b32 v3, v2, s[22:23] scale_offset
	s_wait_xcnt 0x0
	v_add_nc_u32_e32 v2, s39, v2
	s_wait_loadcnt 0x0
	ds_store_b32 v0, v3
	v_add_nc_u32_e32 v0, s41, v0
	v_cmp_le_u32_e32 vcc_lo, s27, v2
	s_or_b32 s2, vcc_lo, s2
	s_delay_alu instid0(SALU_CYCLE_1)
	s_and_not1_b32 exec_lo, exec_lo, s2
	s_cbranch_execnz .LBB12_13
.LBB12_14:                              ;   in Loop: Header=BB12_10 Depth=2
	s_or_b32 exec_lo, exec_lo, s1
	s_wait_dscnt 0x0
	s_barrier_signal -1
	s_barrier_wait -1
.LBB12_15:                              ;   in Loop: Header=BB12_10 Depth=2
	s_and_not1_b32 vcc_lo, exec_lo, s40
	s_cbranch_vccnz .LBB12_9
; %bb.16:                               ;   in Loop: Header=BB12_10 Depth=2
	s_and_b32 s1, s31, exec_lo
	s_cselect_b32 s23, s37, s23
	s_cselect_b32 s22, s36, s22
	s_cmp_eq_u32 s47, s28
	s_mul_i32 s50, s47, s25
	s_cselect_b32 s48, s26, s25
	s_mov_b32 s51, s34
	v_cmp_gt_u32_e64 s1, s48, v4
	s_cmp_gt_i32 s48, 0
	s_cselect_b32 s49, -1, 0
	s_branch .LBB12_19
.LBB12_17:                              ;   in Loop: Header=BB12_19 Depth=3
	s_or_b32 exec_lo, exec_lo, s2
	s_wait_storecnt 0x0
	s_barrier_signal -1
	s_barrier_wait -1
.LBB12_18:                              ;   in Loop: Header=BB12_19 Depth=3
	s_add_co_i32 s51, s51, s13
	s_delay_alu instid0(SALU_CYCLE_1)
	s_cmp_ge_u32 s51, s35
	s_cbranch_scc1 .LBB12_9
.LBB12_19:                              ;   Parent Loop BB12_6 Depth=1
                                        ;     Parent Loop BB12_10 Depth=2
                                        ; =>    This Loop Header: Depth=3
                                        ;         Child Loop BB12_23 Depth 4
                                        ;           Child Loop BB12_25 Depth 5
                                        ;         Child Loop BB12_29 Depth 4
                                        ;           Child Loop BB12_32 Depth 5
                                        ;             Child Loop BB12_34 Depth 6
	s_cmp_eq_u32 s47, s51
	s_cselect_b32 s2, -1, 0
	s_delay_alu instid0(SALU_CYCLE_1) | instskip(NEXT) | instid1(SALU_CYCLE_1)
	s_and_b32 s2, s24, s2
	s_and_b32 vcc_lo, exec_lo, s2
	s_cbranch_vccnz .LBB12_18
; %bb.20:                               ;   in Loop: Header=BB12_19 Depth=3
	s_cmp_eq_u32 s51, s28
	s_mul_i32 s53, s51, s25
	s_cselect_b32 s52, s26, s25
	s_wait_storecnt 0x0
	v_cmp_gt_u32_e32 vcc_lo, s52, v5
	s_barrier_signal -1
	s_barrier_wait -1
	s_wait_xcnt 0x0
	s_and_saveexec_b32 s54, vcc_lo
	s_cbranch_execz .LBB12_26
; %bb.21:                               ;   in Loop: Header=BB12_19 Depth=3
	v_dual_mov_b32 v10, v8 :: v_dual_mov_b32 v11, v5
	s_mov_b32 s55, 0
	s_branch .LBB12_23
.LBB12_22:                              ;   in Loop: Header=BB12_23 Depth=4
	s_or_b32 exec_lo, exec_lo, s56
	v_dual_add_nc_u32 v11, s29, v11 :: v_dual_add_nc_u32 v10, s42, v10
	s_delay_alu instid0(VALU_DEP_1) | instskip(SKIP_1) | instid1(SALU_CYCLE_1)
	v_cmp_le_u32_e64 s2, s52, v11
	s_or_b32 s55, s2, s55
	s_and_not1_b32 exec_lo, exec_lo, s55
	s_cbranch_execz .LBB12_26
.LBB12_23:                              ;   Parent Loop BB12_6 Depth=1
                                        ;     Parent Loop BB12_10 Depth=2
                                        ;       Parent Loop BB12_19 Depth=3
                                        ; =>      This Loop Header: Depth=4
                                        ;           Child Loop BB12_25 Depth 5
	s_and_saveexec_b32 s56, s1
	s_cbranch_execz .LBB12_22
; %bb.24:                               ;   in Loop: Header=BB12_23 Depth=4
	v_dual_add_nc_u32 v0, s53, v11 :: v_dual_mov_b32 v12, v10
	v_mov_b32_e32 v13, v4
	s_mov_b32 s57, 0
	s_delay_alu instid0(VALU_DEP_2) | instskip(NEXT) | instid1(VALU_DEP_1)
	v_mul_u64_e32 v[2:3], s[20:21], v[0:1]
	v_lshl_add_u64 v[2:3], v[2:3], 2, s[6:7]
.LBB12_25:                              ;   Parent Loop BB12_6 Depth=1
                                        ;     Parent Loop BB12_10 Depth=2
                                        ;       Parent Loop BB12_19 Depth=3
                                        ;         Parent Loop BB12_23 Depth=4
                                        ; =>        This Inner Loop Header: Depth=5
	s_delay_alu instid0(VALU_DEP_3) | instskip(NEXT) | instid1(VALU_DEP_1)
	v_dual_add_nc_u32 v0, s46, v13 :: v_dual_add_nc_u32 v13, s15, v13
	v_lshl_add_u64 v[14:15], v[0:1], 2, v[2:3]
	s_delay_alu instid0(VALU_DEP_2)
	v_cmp_le_u32_e64 s2, s48, v13
	global_load_b32 v0, v[14:15], off
	s_or_b32 s57, s2, s57
	s_wait_loadcnt 0x0
	ds_store_b32 v12, v0
	v_add_nc_u32_e32 v12, s43, v12
	s_wait_xcnt 0x0
	s_and_not1_b32 exec_lo, exec_lo, s57
	s_cbranch_execnz .LBB12_25
	s_branch .LBB12_22
.LBB12_26:                              ;   in Loop: Header=BB12_19 Depth=3
	s_or_b32 exec_lo, exec_lo, s54
	s_wait_dscnt 0x0
	s_barrier_signal -1
	s_barrier_wait -1
	s_and_saveexec_b32 s2, vcc_lo
	s_cbranch_execz .LBB12_17
; %bb.27:                               ;   in Loop: Header=BB12_19 Depth=3
	v_dual_mov_b32 v10, v9 :: v_dual_mov_b32 v11, v5
	s_mov_b32 s54, 0
	s_branch .LBB12_29
.LBB12_28:                              ;   in Loop: Header=BB12_29 Depth=4
	s_or_b32 exec_lo, exec_lo, s55
	v_dual_add_nc_u32 v11, s29, v11 :: v_dual_add_nc_u32 v10, s42, v10
	s_delay_alu instid0(VALU_DEP_1) | instskip(SKIP_1) | instid1(SALU_CYCLE_1)
	v_cmp_le_u32_e32 vcc_lo, s52, v11
	s_or_b32 s54, vcc_lo, s54
	s_and_not1_b32 exec_lo, exec_lo, s54
	s_cbranch_execz .LBB12_17
.LBB12_29:                              ;   Parent Loop BB12_6 Depth=1
                                        ;     Parent Loop BB12_10 Depth=2
                                        ;       Parent Loop BB12_19 Depth=3
                                        ; =>      This Loop Header: Depth=4
                                        ;           Child Loop BB12_32 Depth 5
                                        ;             Child Loop BB12_34 Depth 6
	s_and_saveexec_b32 s55, s1
	s_cbranch_execz .LBB12_28
; %bb.30:                               ;   in Loop: Header=BB12_29 Depth=4
	v_dual_add_nc_u32 v0, s53, v11 :: v_dual_mov_b32 v12, v4
	s_mov_b32 s56, 0
	s_delay_alu instid0(VALU_DEP_1) | instskip(NEXT) | instid1(VALU_DEP_1)
	v_mul_u64_e32 v[2:3], s[20:21], v[0:1]
	v_lshl_add_u64 v[2:3], v[2:3], 2, s[6:7]
	s_branch .LBB12_32
.LBB12_31:                              ;   in Loop: Header=BB12_32 Depth=5
	v_dual_add_nc_u32 v0, s50, v12 :: v_dual_add_nc_u32 v12, s15, v12
	s_delay_alu instid0(VALU_DEP_1) | instskip(NEXT) | instid1(VALU_DEP_2)
	v_lshl_add_u64 v[14:15], v[0:1], 2, v[2:3]
	v_cmp_le_u32_e32 vcc_lo, s48, v12
	global_store_b32 v[14:15], v13, off
	s_or_b32 s56, vcc_lo, s56
	s_wait_xcnt 0x0
	s_and_not1_b32 exec_lo, exec_lo, s56
	s_cbranch_execz .LBB12_28
.LBB12_32:                              ;   Parent Loop BB12_6 Depth=1
                                        ;     Parent Loop BB12_10 Depth=2
                                        ;       Parent Loop BB12_19 Depth=3
                                        ;         Parent Loop BB12_29 Depth=4
                                        ; =>        This Loop Header: Depth=5
                                        ;             Child Loop BB12_34 Depth 6
	v_mov_b32_e32 v13, 0
	s_and_not1_b32 vcc_lo, exec_lo, s49
	s_cbranch_vccnz .LBB12_31
; %bb.33:                               ;   in Loop: Header=BB12_32 Depth=5
	v_dual_mov_b32 v0, v12 :: v_dual_mov_b32 v14, v10
	s_mov_b32 s57, s48
.LBB12_34:                              ;   Parent Loop BB12_6 Depth=1
                                        ;     Parent Loop BB12_10 Depth=2
                                        ;       Parent Loop BB12_19 Depth=3
                                        ;         Parent Loop BB12_29 Depth=4
                                        ;           Parent Loop BB12_32 Depth=5
                                        ; =>          This Inner Loop Header: Depth=6
	flat_load_b32 v15, v0, s[22:23] scale_offset
	ds_load_b32 v16, v14
	s_wait_xcnt 0x0
	v_dual_add_nc_u32 v14, 4, v14 :: v_dual_add_nc_u32 v0, s25, v0
	s_add_co_i32 s57, s57, -1
	s_delay_alu instid0(SALU_CYCLE_1)
	s_cmp_eq_u32 s57, 0
	s_wait_loadcnt_dscnt 0x0
	v_fmac_f32_e32 v13, v15, v16
	s_cbranch_scc0 .LBB12_34
	s_branch .LBB12_31
.LBB12_35:
	s_endpgm
	.section	.rodata,"a",@progbits
	.p2align	6, 0x0
	.amdhsa_kernel _ZN9rocsolver6v33100L17syevj_diag_rotateILb1EffPfEEvbiiT2_iilPT0_Pii
		.amdhsa_group_segment_fixed_size 0
		.amdhsa_private_segment_fixed_size 64
		.amdhsa_kernarg_size 320
		.amdhsa_user_sgpr_count 2
		.amdhsa_user_sgpr_dispatch_ptr 0
		.amdhsa_user_sgpr_queue_ptr 0
		.amdhsa_user_sgpr_kernarg_segment_ptr 1
		.amdhsa_user_sgpr_dispatch_id 0
		.amdhsa_user_sgpr_kernarg_preload_length 0
		.amdhsa_user_sgpr_kernarg_preload_offset 0
		.amdhsa_user_sgpr_private_segment_size 0
		.amdhsa_wavefront_size32 1
		.amdhsa_uses_dynamic_stack 0
		.amdhsa_enable_private_segment 1
		.amdhsa_system_sgpr_workgroup_id_x 1
		.amdhsa_system_sgpr_workgroup_id_y 1
		.amdhsa_system_sgpr_workgroup_id_z 1
		.amdhsa_system_sgpr_workgroup_info 0
		.amdhsa_system_vgpr_workitem_id 1
		.amdhsa_next_free_vgpr 49
		.amdhsa_next_free_sgpr 58
		.amdhsa_named_barrier_count 0
		.amdhsa_reserve_vcc 1
		.amdhsa_float_round_mode_32 0
		.amdhsa_float_round_mode_16_64 0
		.amdhsa_float_denorm_mode_32 3
		.amdhsa_float_denorm_mode_16_64 3
		.amdhsa_fp16_overflow 0
		.amdhsa_memory_ordered 1
		.amdhsa_forward_progress 1
		.amdhsa_inst_pref_size 12
		.amdhsa_round_robin_scheduling 0
		.amdhsa_exception_fp_ieee_invalid_op 0
		.amdhsa_exception_fp_denorm_src 0
		.amdhsa_exception_fp_ieee_div_zero 0
		.amdhsa_exception_fp_ieee_overflow 0
		.amdhsa_exception_fp_ieee_underflow 0
		.amdhsa_exception_fp_ieee_inexact 0
		.amdhsa_exception_int_div_zero 0
	.end_amdhsa_kernel
	.section	.text._ZN9rocsolver6v33100L17syevj_diag_rotateILb1EffPfEEvbiiT2_iilPT0_Pii,"axG",@progbits,_ZN9rocsolver6v33100L17syevj_diag_rotateILb1EffPfEEvbiiT2_iilPT0_Pii,comdat
.Lfunc_end12:
	.size	_ZN9rocsolver6v33100L17syevj_diag_rotateILb1EffPfEEvbiiT2_iilPT0_Pii, .Lfunc_end12-_ZN9rocsolver6v33100L17syevj_diag_rotateILb1EffPfEEvbiiT2_iilPT0_Pii
                                        ; -- End function
	.set _ZN9rocsolver6v33100L17syevj_diag_rotateILb1EffPfEEvbiiT2_iilPT0_Pii.num_vgpr, max(42, .L__assert_fail.num_vgpr)
	.set _ZN9rocsolver6v33100L17syevj_diag_rotateILb1EffPfEEvbiiT2_iilPT0_Pii.num_agpr, max(0, .L__assert_fail.num_agpr)
	.set _ZN9rocsolver6v33100L17syevj_diag_rotateILb1EffPfEEvbiiT2_iilPT0_Pii.numbered_sgpr, max(58, .L__assert_fail.numbered_sgpr)
	.set _ZN9rocsolver6v33100L17syevj_diag_rotateILb1EffPfEEvbiiT2_iilPT0_Pii.num_named_barrier, max(0, .L__assert_fail.num_named_barrier)
	.set _ZN9rocsolver6v33100L17syevj_diag_rotateILb1EffPfEEvbiiT2_iilPT0_Pii.private_seg_size, 0+max(.L__assert_fail.private_seg_size)
	.set _ZN9rocsolver6v33100L17syevj_diag_rotateILb1EffPfEEvbiiT2_iilPT0_Pii.uses_vcc, or(1, .L__assert_fail.uses_vcc)
	.set _ZN9rocsolver6v33100L17syevj_diag_rotateILb1EffPfEEvbiiT2_iilPT0_Pii.uses_flat_scratch, or(0, .L__assert_fail.uses_flat_scratch)
	.set _ZN9rocsolver6v33100L17syevj_diag_rotateILb1EffPfEEvbiiT2_iilPT0_Pii.has_dyn_sized_stack, or(0, .L__assert_fail.has_dyn_sized_stack)
	.set _ZN9rocsolver6v33100L17syevj_diag_rotateILb1EffPfEEvbiiT2_iilPT0_Pii.has_recursion, or(0, .L__assert_fail.has_recursion)
	.set _ZN9rocsolver6v33100L17syevj_diag_rotateILb1EffPfEEvbiiT2_iilPT0_Pii.has_indirect_call, or(0, .L__assert_fail.has_indirect_call)
	.section	.AMDGPU.csdata,"",@progbits
; Kernel info:
; codeLenInByte = 1476
; TotalNumSgprs: 60
; NumVgprs: 49
; ScratchSize: 64
; MemoryBound: 0
; FloatMode: 240
; IeeeMode: 1
; LDSByteSize: 0 bytes/workgroup (compile time only)
; SGPRBlocks: 0
; VGPRBlocks: 3
; NumSGPRsForWavesPerEU: 60
; NumVGPRsForWavesPerEU: 49
; NamedBarCnt: 0
; Occupancy: 16
; WaveLimiterHint : 1
; COMPUTE_PGM_RSRC2:SCRATCH_EN: 1
; COMPUTE_PGM_RSRC2:USER_SGPR: 2
; COMPUTE_PGM_RSRC2:TRAP_HANDLER: 0
; COMPUTE_PGM_RSRC2:TGID_X_EN: 1
; COMPUTE_PGM_RSRC2:TGID_Y_EN: 1
; COMPUTE_PGM_RSRC2:TGID_Z_EN: 1
; COMPUTE_PGM_RSRC2:TIDIG_COMP_CNT: 1
	.section	.text._ZN9rocsolver6v33100L21syevj_offd_kernel_orgIffPfEEviiT1_iilT0_PT_PiS7_S7_,"axG",@progbits,_ZN9rocsolver6v33100L21syevj_offd_kernel_orgIffPfEEviiT1_iilT0_PT_PiS7_S7_,comdat
	.globl	_ZN9rocsolver6v33100L21syevj_offd_kernel_orgIffPfEEviiT1_iilT0_PT_PiS7_S7_ ; -- Begin function _ZN9rocsolver6v33100L21syevj_offd_kernel_orgIffPfEEviiT1_iilT0_PT_PiS7_S7_
	.p2align	8
	.type	_ZN9rocsolver6v33100L21syevj_offd_kernel_orgIffPfEEviiT1_iilT0_PT_PiS7_S7_,@function
_ZN9rocsolver6v33100L21syevj_offd_kernel_orgIffPfEEviiT1_iilT0_PT_PiS7_S7_: ; @_ZN9rocsolver6v33100L21syevj_offd_kernel_orgIffPfEEviiT1_iilT0_PT_PiS7_S7_
; %bb.0:
	s_load_b256 s[4:11], s[0:1], 0x28
	s_bfe_u32 s2, ttmp6, 0x40014
	s_lshr_b32 s3, ttmp7, 16
	s_add_co_i32 s2, s2, 1
	s_bfe_u32 s13, ttmp6, 0x40008
	s_mul_i32 s12, s3, s2
	s_getreg_b32 s2, hwreg(HW_REG_IB_STS2, 6, 4)
	s_add_co_i32 s13, s13, s12
	s_cmp_eq_u32 s2, 0
	s_mov_b32 s17, 0
	s_cselect_b32 s16, s3, s13
	s_wait_kmcnt 0x0
	s_load_b32 s3, s[10:11], s16 offset:0x4 scale_offset
	s_wait_kmcnt 0x0
	s_cmp_lg_u32 s3, 0
	s_cbranch_scc1 .LBB13_39
; %bb.1:
	s_bfe_u32 s3, ttmp6, 0x4000c
	s_and_b32 s10, ttmp6, 15
	s_add_co_i32 s3, s3, 1
	s_delay_alu instid0(SALU_CYCLE_1) | instskip(NEXT) | instid1(SALU_CYCLE_1)
	s_mul_i32 s3, ttmp9, s3
	s_add_co_i32 s10, s10, s3
	s_cmp_eq_u32 s2, 0
	s_cselect_b32 s2, ttmp9, s10
	s_load_b32 s3, s[6:7], s2 offset:0x0 scale_offset
	s_load_b32 s12, s[8:9], s2 offset:0x0 scale_offset
	s_load_b64 s[10:11], s[0:1], 0x0
	s_wait_kmcnt 0x0
	s_max_i32 s20, s3, s12
	s_delay_alu instid0(SALU_CYCLE_1)
	s_cmp_ge_i32 s20, s10
	s_cbranch_scc1 .LBB13_39
; %bb.2:
	s_load_b32 s6, s[0:1], 0x54
	v_bfe_u32 v1, v0, 10, 10
	s_min_i32 s3, s3, s12
	s_wait_kmcnt 0x0
	s_and_b32 s18, s6, 0xffff
	s_mov_b32 s6, exec_lo
	s_mul_i32 s3, s3, s18
	s_delay_alu instid0(SALU_CYCLE_1) | instskip(NEXT) | instid1(VALU_DEP_1)
	v_add_nc_u32_e32 v20, s3, v1
	v_cmpx_gt_i32_e64 s11, v20
	s_cbranch_execz .LBB13_39
; %bb.3:
	s_cmp_eq_u64 s[4:5], 0
	s_mov_b64 s[12:13], 0
	s_cbranch_scc1 .LBB13_5
; %bb.4:
	s_add_nc_u64 s[6:7], s[0:1], 0x48
	s_load_b32 s6, s[6:7], 0x0
	s_wait_kmcnt 0x0
	s_mul_i32 s6, s6, s16
	s_delay_alu instid0(SALU_CYCLE_1) | instskip(NEXT) | instid1(SALU_CYCLE_1)
	s_add_co_i32 s2, s6, s2
	s_mul_i32 s2, s2, s18
	s_delay_alu instid0(SALU_CYCLE_1) | instskip(NEXT) | instid1(SALU_CYCLE_1)
	s_mul_i32 s2, s2, s18
	s_lshl_b32 s6, s2, 2
	s_delay_alu instid0(SALU_CYCLE_1) | instskip(NEXT) | instid1(SALU_CYCLE_1)
	s_ashr_i32 s7, s6, 31
	s_lshl_b64 s[6:7], s[6:7], 2
	s_delay_alu instid0(SALU_CYCLE_1)
	s_add_nc_u64 s[12:13], s[4:5], s[6:7]
.LBB13_5:
	v_and_b32_e32 v0, 0x3ff, v0
	v_add_nc_u32_e32 v2, s18, v1
	s_lshl_b32 s2, s18, 1
	s_cmp_lg_u64 s[12:13], 0
	s_cselect_b32 s19, -1, 0
	s_delay_alu instid0(VALU_DEP_1)
	v_mad_u32_u24 v6, v2, s2, v0
	s_cmp_eq_u64 s[12:13], 0
	s_cbranch_scc1 .LBB13_7
; %bb.6:
	v_cmp_eq_u32_e32 vcc_lo, v0, v1
	v_dual_add_nc_u32 v3, s18, v0 :: v_dual_mov_b32 v7, 0
	v_mad_u32_u24 v5, s2, v1, v0
	v_cndmask_b32_e64 v4, 0, 1.0, vcc_lo
	s_delay_alu instid0(VALU_DEP_3)
	v_mad_u32_u24 v8, s2, v1, v3
	v_mad_u32_u24 v3, v2, s2, v3
	s_clause 0x3
	global_store_b32 v5, v4, s[12:13] scale_offset
	global_store_b32 v6, v7, s[12:13] scale_offset
	;; [unrolled: 1-line block ×4, first 2 shown]
.LBB13_7:
	s_cmp_eq_u32 s18, 0
	s_mov_b32 s15, 0
	s_cbranch_scc1 .LBB13_39
; %bb.8:
	s_clause 0x1
	s_load_b96 s[8:10], s[0:1], 0x18
	s_load_b128 s[4:7], s[0:1], 0x8
	s_wait_xcnt 0x0
	s_cvt_f32_u32 s1, s18
	v_dual_add_nc_u32 v21, s3, v0 :: v_dual_lshlrev_b32 v4, 2, v0
	v_mul_u32_u24_e32 v23, s2, v2
	s_delay_alu instid0(SALU_CYCLE_1) | instskip(SKIP_2) | instid1(SALU_CYCLE_1)
	v_rcp_iflag_f32_e32 v2, s1
	s_lshl_b32 s21, s18, 2
	s_mul_i32 s20, s20, s18
	v_dual_mov_b32 v3, 0 :: v_dual_add_nc_u32 v24, s20, v1
	v_add_nc_u32_e32 v25, 0, v4
	v_add3_u32 v26, 0, s21, v4
	v_mul_u32_u24_e32 v22, s2, v1
	v_readfirstlane_b32 s2, v2
	s_sub_co_i32 s3, 0, s18
	s_mov_b32 s14, 0x800000
	v_cmp_eq_u32_e64 s0, 0, v1
	v_add_lshl_u32 v2, v22, v0, 2
	s_mul_f32 s21, s2, 0x4f7ffffe
	s_wait_kmcnt 0x0
	v_div_scale_f32 v4, null, s10, s10, 0x800000
	v_div_scale_f32 v19, vcc_lo, s14, s10, s14
	s_cvt_u32_f32 s21, s21
	v_rcp_f32_e32 v17, v4
	v_xor_b32_e32 v15, 0x80000000, v4
	v_add_nc_u64_e32 v[4:5], s[12:13], v[2:3]
	s_mul_i32 s3, s3, s21
	v_mul_lo_u32 v27, v20, s7
	s_mul_hi_u32 s3, s21, s3
	s_mul_u64 s[8:9], s[8:9], s[16:17]
	v_fma_f32 v2, v15, v17, 1.0
	v_mov_b32_e32 v1, v3
	s_add_co_i32 s14, s21, s3
	s_ashr_i32 s23, s6, 31
	s_mov_b32 s22, s6
	v_fmac_f32_e32 v17, v2, v17
	v_mul_lo_u32 v2, v21, s7
	v_mul_u64_e32 v[8:9], s[14:15], v[0:1]
	v_mul_lo_u32 v1, v24, s7
	v_add_nc_u32_e32 v16, v27, v21
	v_mul_f32_e32 v28, v19, v17
	s_lshl_b64 s[8:9], s[8:9], 2
	v_mov_b32_e32 v7, v3
	s_lshl_b64 s[16:17], s[22:23], 2
	s_add_nc_u64 s[4:5], s[4:5], s[8:9]
	v_cmp_gt_i32_e64 s1, s11, v21
	s_add_nc_u64 s[8:9], s[4:5], s[16:17]
	v_add_nc_u32_e32 v12, v2, v20
	v_dual_fma_f32 v11, v15, v28, v19 :: v_dual_add_nc_u32 v10, v2, v21
	v_dual_add_nc_u32 v18, v1, v21 :: v_dual_add_nc_u32 v14, v2, v24
	s_delay_alu instid0(VALU_DEP_2) | instskip(NEXT) | instid1(VALU_DEP_3)
	v_dual_fmac_f32 v28, v11, v17 :: v_dual_ashrrev_i32 v13, 31, v12
	v_ashrrev_i32_e32 v11, 31, v10
	v_cmp_gt_i32_e64 s2, s11, v24
	v_lshl_add_u64 v[6:7], v[6:7], 2, s[12:13]
	s_delay_alu instid0(VALU_DEP_4) | instskip(SKIP_4) | instid1(VALU_DEP_2)
	v_lshl_add_u64 v[12:13], v[12:13], 2, s[8:9]
	v_dual_fmac_f32 v19, v15, v28 :: v_dual_ashrrev_i32 v15, 31, v14
	v_lshl_add_u64 v[10:11], v[10:11], 2, s[8:9]
	s_and_b32 s5, s0, s1
	s_mov_b32 s6, s18
	v_div_fmas_f32 v28, v19, v17, v28
	v_dual_ashrrev_i32 v17, 31, v16 :: v_dual_ashrrev_i32 v19, 31, v18
	v_lshl_add_u64 v[14:15], v[14:15], 2, s[8:9]
                                        ; implicit-def: $vgpr29
                                        ; implicit-def: $vgpr35
                                        ; implicit-def: $vgpr32
	s_delay_alu instid0(VALU_DEP_3) | instskip(NEXT) | instid1(VALU_DEP_3)
	v_div_fixup_f32 v28, v28, s10, 0x800000
	v_lshl_add_u64 v[16:17], v[16:17], 2, s[8:9]
	s_delay_alu instid0(VALU_DEP_4)
	v_lshl_add_u64 v[18:19], v[18:19], 2, s[8:9]
	s_branch .LBB13_10
.LBB13_9:                               ;   in Loop: Header=BB13_10 Depth=1
	s_wait_xcnt 0x0
	s_or_b32 exec_lo, exec_lo, s3
	v_add_nc_u64_e32 v[8:9], s[14:15], v[8:9]
	v_add_nc_u32_e32 v0, 1, v0
	s_add_co_i32 s6, s6, -1
	s_delay_alu instid0(SALU_CYCLE_1)
	s_cmp_lg_u32 s6, 0
	s_cbranch_scc0 .LBB13_39
.LBB13_10:                              ; =>This Inner Loop Header: Depth=1
	s_delay_alu instid0(VALU_DEP_2) | instskip(SKIP_1) | instid1(VALU_DEP_1)
	v_mul_lo_u32 v30, s18, v9
	v_not_b32_e32 v31, v9
	v_mad_u32 v31, s18, v31, v0
	s_delay_alu instid0(VALU_DEP_3) | instskip(NEXT) | instid1(VALU_DEP_1)
	v_sub_nc_u32_e32 v30, v0, v30
	v_cmp_le_u32_e32 vcc_lo, s18, v30
	s_delay_alu instid0(VALU_DEP_3) | instskip(NEXT) | instid1(VALU_DEP_1)
	v_cndmask_b32_e32 v30, v30, v31, vcc_lo
	v_subrev_nc_u32_e32 v31, s18, v30
	v_cmp_le_u32_e32 vcc_lo, s18, v30
	s_delay_alu instid0(VALU_DEP_2) | instskip(NEXT) | instid1(VALU_DEP_1)
	v_cndmask_b32_e32 v33, v30, v31, vcc_lo
	v_add_nc_u32_e32 v30, s20, v33
	s_delay_alu instid0(VALU_DEP_1) | instskip(SKIP_2) | instid1(SALU_CYCLE_1)
	v_mul_lo_u32 v31, v30, s7
	v_cmp_gt_i32_e64 s3, s11, v30
	s_and_b32 s4, s5, s3
	s_and_saveexec_b32 s10, s4
	s_cbranch_execz .LBB13_26
; %bb.11:                               ;   in Loop: Header=BB13_10 Depth=1
	v_add_nc_u32_e32 v32, v31, v21
	global_load_b32 v34, v32, s[8:9] scale_offset
	s_wait_loadcnt 0x0
	v_dual_mov_b32 v32, 1.0 :: v_dual_mul_f32 v35, v34, v34
	s_delay_alu instid0(VALU_DEP_1)
	v_cmp_nlt_f32_e32 vcc_lo, v35, v28
	v_mov_b32_e32 v35, 0
	s_and_saveexec_b32 s16, vcc_lo
	s_cbranch_execz .LBB13_25
; %bb.12:                               ;   in Loop: Header=BB13_10 Depth=1
	v_add_nc_u32_e32 v32, v31, v30
	v_add_f32_e64 v35, |v34|, |v34|
	s_mov_b32 s4, exec_lo
	s_clause 0x1
	global_load_b32 v36, v32, s[8:9] scale_offset
	global_load_b32 v37, v[10:11], off
	s_wait_loadcnt 0x0
	v_sub_f32_e32 v36, v36, v37
	s_wait_xcnt 0x1
	s_delay_alu instid0(VALU_DEP_1) | instskip(NEXT) | instid1(VALU_DEP_1)
	v_max_num_f32_e64 v32, |v36|, |v35|
	v_cvt_f64_f32_e32 v[38:39], v32
	s_delay_alu instid0(VALU_DEP_1) | instskip(NEXT) | instid1(VALU_DEP_1)
	v_frexp_exp_i32_f64_e32 v37, v[38:39]
	v_sub_nc_u32_e32 v38, 0, v37
	s_delay_alu instid0(VALU_DEP_1) | instskip(NEXT) | instid1(VALU_DEP_1)
	v_ldexp_f32 v39, |v35|, v38
	v_mul_f32_e32 v39, v39, v39
	v_ldexp_f32 v38, |v36|, v38
	s_delay_alu instid0(VALU_DEP_1) | instskip(NEXT) | instid1(VALU_DEP_1)
	v_fmac_f32_e32 v39, v38, v38
                                        ; implicit-def: $vgpr38
	v_sqrt_f32_e32 v39, v39
	s_wait_xcnt 0x0
	v_cmpx_ngt_f32_e32 0, v36
	s_xor_b32 s4, exec_lo, s4
; %bb.13:                               ;   in Loop: Header=BB13_10 Depth=1
	s_delay_alu instid0(TRANS32_DEP_1) | instskip(SKIP_1) | instid1(VALU_DEP_2)
	v_ldexp_f32 v37, v39, v37
	v_cmp_neq_f32_e32 vcc_lo, 0x7f800000, v32
                                        ; implicit-def: $vgpr39
                                        ; implicit-def: $vgpr32
	v_cndmask_b32_e32 v38, 0x7f800000, v37, vcc_lo
                                        ; implicit-def: $vgpr37
; %bb.14:                               ;   in Loop: Header=BB13_10 Depth=1
	s_and_not1_saveexec_b32 s4, s4
; %bb.15:                               ;   in Loop: Header=BB13_10 Depth=1
	v_ldexp_f32 v37, -v39, v37
	v_cmp_neq_f32_e32 vcc_lo, 0x7f800000, v32
	s_delay_alu instid0(VALU_DEP_2)
	v_cndmask_b32_e32 v38, 0xff800000, v37, vcc_lo
; %bb.16:                               ;   in Loop: Header=BB13_10 Depth=1
	s_or_b32 exec_lo, exec_lo, s4
	v_dual_mov_b32 v37, 0 :: v_dual_mov_b32 v32, 1.0
	s_mov_b32 s17, exec_lo
	v_cmpx_neq_f32_e32 0, v35
	s_cbranch_execz .LBB13_24
; %bb.17:                               ;   in Loop: Header=BB13_10 Depth=1
	v_dual_add_f32 v36, v36, v38 :: v_dual_mov_b32 v32, 0
	v_mov_b32_e32 v37, 1.0
	s_mov_b32 s21, exec_lo
	s_delay_alu instid0(VALU_DEP_2)
	v_cmpx_neq_f32_e32 0, v36
	s_cbranch_execz .LBB13_23
; %bb.18:                               ;   in Loop: Header=BB13_10 Depth=1
	s_mov_b32 s22, exec_lo
                                        ; implicit-def: $vgpr37
                                        ; implicit-def: $vgpr32
	v_cmpx_ngt_f32_e64 |v35|, |v36|
	s_xor_b32 s22, exec_lo, s22
	s_cbranch_execz .LBB13_20
; %bb.19:                               ;   in Loop: Header=BB13_10 Depth=1
	v_div_scale_f32 v32, null, v36, v36, -v35
	v_div_scale_f32 v39, vcc_lo, -v35, v36, -v35
	s_delay_alu instid0(VALU_DEP_2) | instskip(SKIP_1) | instid1(TRANS32_DEP_1)
	v_rcp_f32_e32 v37, v32
	v_nop
	v_fma_f32 v38, -v32, v37, 1.0
	s_delay_alu instid0(VALU_DEP_1) | instskip(NEXT) | instid1(VALU_DEP_1)
	v_fmac_f32_e32 v37, v38, v37
	v_mul_f32_e32 v38, v39, v37
	s_delay_alu instid0(VALU_DEP_1) | instskip(NEXT) | instid1(VALU_DEP_1)
	v_fma_f32 v40, -v32, v38, v39
	v_fmac_f32_e32 v38, v40, v37
	s_delay_alu instid0(VALU_DEP_1) | instskip(NEXT) | instid1(VALU_DEP_1)
	v_fma_f32 v32, -v32, v38, v39
	v_div_fmas_f32 v32, v32, v37, v38
	s_delay_alu instid0(VALU_DEP_1) | instskip(NEXT) | instid1(VALU_DEP_1)
	v_div_fixup_f32 v35, v32, v36, -v35
	v_fma_f32 v32, v35, v35, 1.0
	s_delay_alu instid0(VALU_DEP_1) | instskip(SKIP_1) | instid1(VALU_DEP_2)
	v_mul_f32_e32 v36, 0x4f800000, v32
	v_cmp_gt_f32_e32 vcc_lo, 0xf800000, v32
	v_cndmask_b32_e32 v32, v32, v36, vcc_lo
	s_delay_alu instid0(VALU_DEP_1) | instskip(SKIP_1) | instid1(TRANS32_DEP_1)
	v_sqrt_f32_e32 v36, v32
	v_nop
	v_dual_add_nc_u32 v37, -1, v36 :: v_dual_add_nc_u32 v38, 1, v36
	s_delay_alu instid0(VALU_DEP_1) | instskip(NEXT) | instid1(VALU_DEP_1)
	v_dual_fma_f32 v39, -v37, v36, v32 :: v_dual_fma_f32 v40, -v38, v36, v32
	v_cmp_ge_f32_e64 s4, 0, v39
	s_delay_alu instid0(VALU_DEP_1) | instskip(NEXT) | instid1(VALU_DEP_3)
	v_cndmask_b32_e64 v36, v36, v37, s4
	v_cmp_lt_f32_e64 s4, 0, v40
	s_delay_alu instid0(VALU_DEP_1) | instskip(NEXT) | instid1(VALU_DEP_1)
	v_cndmask_b32_e64 v36, v36, v38, s4
	v_mul_f32_e32 v37, 0x37800000, v36
	s_delay_alu instid0(VALU_DEP_1) | instskip(SKIP_1) | instid1(VALU_DEP_2)
	v_cndmask_b32_e32 v36, v36, v37, vcc_lo
	v_cmp_class_f32_e64 vcc_lo, v32, 0x260
	v_cndmask_b32_e32 v32, v36, v32, vcc_lo
	s_delay_alu instid0(VALU_DEP_1) | instskip(NEXT) | instid1(VALU_DEP_1)
	v_div_scale_f32 v36, null, v32, v32, 1.0
	v_rcp_f32_e32 v37, v36
	v_nop
	s_delay_alu instid0(TRANS32_DEP_1) | instskip(NEXT) | instid1(VALU_DEP_1)
	v_fma_f32 v38, -v36, v37, 1.0
	v_fmac_f32_e32 v37, v38, v37
	v_div_scale_f32 v38, vcc_lo, 1.0, v32, 1.0
	s_delay_alu instid0(VALU_DEP_1) | instskip(NEXT) | instid1(VALU_DEP_1)
	v_mul_f32_e32 v39, v38, v37
	v_fma_f32 v40, -v36, v39, v38
	s_delay_alu instid0(VALU_DEP_1) | instskip(NEXT) | instid1(VALU_DEP_1)
	v_fmac_f32_e32 v39, v40, v37
	v_fma_f32 v36, -v36, v39, v38
	s_delay_alu instid0(VALU_DEP_1) | instskip(NEXT) | instid1(VALU_DEP_1)
	v_div_fmas_f32 v36, v36, v37, v39
	v_div_fixup_f32 v32, v36, v32, 1.0
                                        ; implicit-def: $vgpr36
	s_delay_alu instid0(VALU_DEP_1)
	v_mul_f32_e32 v37, v35, v32
                                        ; implicit-def: $vgpr35
.LBB13_20:                              ;   in Loop: Header=BB13_10 Depth=1
	s_and_not1_saveexec_b32 s22, s22
	s_cbranch_execz .LBB13_22
; %bb.21:                               ;   in Loop: Header=BB13_10 Depth=1
	v_div_scale_f32 v32, null, v35, v35, -v36
	v_div_scale_f32 v39, vcc_lo, -v36, v35, -v36
	s_delay_alu instid0(VALU_DEP_2) | instskip(SKIP_1) | instid1(TRANS32_DEP_1)
	v_rcp_f32_e32 v37, v32
	v_nop
	v_fma_f32 v38, -v32, v37, 1.0
	s_delay_alu instid0(VALU_DEP_1) | instskip(NEXT) | instid1(VALU_DEP_1)
	v_fmac_f32_e32 v37, v38, v37
	v_mul_f32_e32 v38, v39, v37
	s_delay_alu instid0(VALU_DEP_1) | instskip(NEXT) | instid1(VALU_DEP_1)
	v_fma_f32 v40, -v32, v38, v39
	v_fmac_f32_e32 v38, v40, v37
	s_delay_alu instid0(VALU_DEP_1) | instskip(NEXT) | instid1(VALU_DEP_1)
	v_fma_f32 v32, -v32, v38, v39
	v_div_fmas_f32 v32, v32, v37, v38
	s_delay_alu instid0(VALU_DEP_1) | instskip(NEXT) | instid1(VALU_DEP_1)
	v_div_fixup_f32 v32, v32, v35, -v36
	v_fma_f32 v35, v32, v32, 1.0
	s_delay_alu instid0(VALU_DEP_1) | instskip(SKIP_1) | instid1(VALU_DEP_2)
	v_mul_f32_e32 v36, 0x4f800000, v35
	v_cmp_gt_f32_e32 vcc_lo, 0xf800000, v35
	v_cndmask_b32_e32 v35, v35, v36, vcc_lo
	s_delay_alu instid0(VALU_DEP_1) | instskip(SKIP_1) | instid1(TRANS32_DEP_1)
	v_sqrt_f32_e32 v36, v35
	v_nop
	v_dual_add_nc_u32 v37, -1, v36 :: v_dual_add_nc_u32 v38, 1, v36
	s_delay_alu instid0(VALU_DEP_1) | instskip(NEXT) | instid1(VALU_DEP_1)
	v_dual_fma_f32 v39, -v37, v36, v35 :: v_dual_fma_f32 v40, -v38, v36, v35
	v_cmp_ge_f32_e64 s4, 0, v39
	s_delay_alu instid0(VALU_DEP_1) | instskip(NEXT) | instid1(VALU_DEP_3)
	v_cndmask_b32_e64 v36, v36, v37, s4
	v_cmp_lt_f32_e64 s4, 0, v40
	s_delay_alu instid0(VALU_DEP_1) | instskip(NEXT) | instid1(VALU_DEP_1)
	v_cndmask_b32_e64 v36, v36, v38, s4
	v_mul_f32_e32 v37, 0x37800000, v36
	s_delay_alu instid0(VALU_DEP_1) | instskip(SKIP_1) | instid1(VALU_DEP_2)
	v_cndmask_b32_e32 v36, v36, v37, vcc_lo
	v_cmp_class_f32_e64 vcc_lo, v35, 0x260
	v_cndmask_b32_e32 v35, v36, v35, vcc_lo
	s_delay_alu instid0(VALU_DEP_1) | instskip(NEXT) | instid1(VALU_DEP_1)
	v_div_scale_f32 v36, null, v35, v35, 1.0
	v_rcp_f32_e32 v37, v36
	v_nop
	s_delay_alu instid0(TRANS32_DEP_1) | instskip(NEXT) | instid1(VALU_DEP_1)
	v_fma_f32 v38, -v36, v37, 1.0
	v_fmac_f32_e32 v37, v38, v37
	v_div_scale_f32 v38, vcc_lo, 1.0, v35, 1.0
	s_delay_alu instid0(VALU_DEP_1) | instskip(NEXT) | instid1(VALU_DEP_1)
	v_mul_f32_e32 v39, v38, v37
	v_fma_f32 v40, -v36, v39, v38
	s_delay_alu instid0(VALU_DEP_1) | instskip(NEXT) | instid1(VALU_DEP_1)
	v_fmac_f32_e32 v39, v40, v37
	v_fma_f32 v36, -v36, v39, v38
	s_delay_alu instid0(VALU_DEP_1) | instskip(NEXT) | instid1(VALU_DEP_1)
	v_div_fmas_f32 v36, v36, v37, v39
	v_div_fixup_f32 v37, v36, v35, 1.0
	s_delay_alu instid0(VALU_DEP_1)
	v_mul_f32_e32 v32, v32, v37
.LBB13_22:                              ;   in Loop: Header=BB13_10 Depth=1
	s_or_b32 exec_lo, exec_lo, s22
.LBB13_23:                              ;   in Loop: Header=BB13_10 Depth=1
	s_delay_alu instid0(SALU_CYCLE_1)
	s_or_b32 exec_lo, exec_lo, s21
.LBB13_24:                              ;   in Loop: Header=BB13_10 Depth=1
	s_delay_alu instid0(SALU_CYCLE_1) | instskip(SKIP_2) | instid1(VALU_DEP_1)
	s_or_b32 exec_lo, exec_lo, s17
	v_mul_f32_e32 v35, v34, v37
	v_and_b32_e32 v36, 0x7fffffff, v34
	v_div_scale_f32 v37, null, v36, v36, v35
	s_delay_alu instid0(VALU_DEP_1) | instskip(SKIP_1) | instid1(TRANS32_DEP_1)
	v_rcp_f32_e32 v38, v37
	v_nop
	v_fma_f32 v39, -v37, v38, 1.0
	s_delay_alu instid0(VALU_DEP_1) | instskip(SKIP_1) | instid1(VALU_DEP_1)
	v_fmac_f32_e32 v38, v39, v38
	v_div_scale_f32 v36, vcc_lo, v35, v36, v35
	v_mul_f32_e32 v39, v36, v38
	s_delay_alu instid0(VALU_DEP_1) | instskip(NEXT) | instid1(VALU_DEP_1)
	v_fma_f32 v40, -v37, v39, v36
	v_fmac_f32_e32 v39, v40, v38
	s_delay_alu instid0(VALU_DEP_1) | instskip(NEXT) | instid1(VALU_DEP_1)
	v_fma_f32 v36, -v37, v39, v36
	v_div_fmas_f32 v36, v36, v38, v39
	s_delay_alu instid0(VALU_DEP_1)
	v_div_fixup_f32 v35, v36, |v34|, v35
.LBB13_25:                              ;   in Loop: Header=BB13_10 Depth=1
	s_or_b32 exec_lo, exec_lo, s16
	ds_store_b32 v25, v32
	ds_store_b32 v26, v35
.LBB13_26:                              ;   in Loop: Header=BB13_10 Depth=1
	s_or_b32 exec_lo, exec_lo, s10
	s_and_b32 s4, s1, s3
	s_wait_storecnt_dscnt 0x0
	s_barrier_signal -1
	s_barrier_wait -1
	s_and_saveexec_b32 s10, s4
	s_cbranch_execz .LBB13_34
; %bb.27:                               ;   in Loop: Header=BB13_10 Depth=1
	ds_load_b32 v32, v25
	ds_load_b32 v29, v26
	s_and_not1_b32 vcc_lo, exec_lo, s19
	s_cbranch_vccnz .LBB13_31
; %bb.28:                               ;   in Loop: Header=BB13_10 Depth=1
	v_add_nc_u32_e32 v33, s18, v33
	s_delay_alu instid0(VALU_DEP_1)
	v_add_nc_u32_e32 v34, v33, v22
	s_clause 0x1
	global_load_b32 v35, v34, s[12:13] scale_offset
	global_load_b32 v36, v[4:5], off
	s_wait_loadcnt_dscnt 0x0
	v_dual_mul_f32 v37, v29, v35 :: v_dual_mul_f32 v38, v29, v36
	s_delay_alu instid0(VALU_DEP_1)
	v_dual_fmac_f32 v37, v32, v36 :: v_dual_fma_f32 v35, v32, v35, -v38
	s_clause 0x1
	global_store_b32 v[4:5], v37, off
	global_store_b32 v34, v35, s[12:13] scale_offset
	s_wait_xcnt 0x0
	s_and_saveexec_b32 s16, s2
	s_cbranch_execz .LBB13_30
; %bb.29:                               ;   in Loop: Header=BB13_10 Depth=1
	v_add_nc_u32_e32 v33, v33, v23
	s_clause 0x1
	global_load_b32 v34, v33, s[12:13] scale_offset
	global_load_b32 v35, v[6:7], off
	s_wait_loadcnt 0x0
	v_dual_mul_f32 v36, v29, v34 :: v_dual_mul_f32 v37, v29, v35
	s_delay_alu instid0(VALU_DEP_1)
	v_dual_fmac_f32 v36, v32, v35 :: v_dual_fma_f32 v34, v32, v34, -v37
	s_clause 0x1
	global_store_b32 v[6:7], v36, off
	global_store_b32 v33, v34, s[12:13] scale_offset
.LBB13_30:                              ;   in Loop: Header=BB13_10 Depth=1
	s_wait_xcnt 0x0
	s_or_b32 exec_lo, exec_lo, s16
.LBB13_31:                              ;   in Loop: Header=BB13_10 Depth=1
	v_add_nc_u32_e32 v33, v31, v20
	s_clause 0x1
	global_load_b32 v34, v33, s[8:9] scale_offset
	global_load_b32 v35, v[12:13], off
	s_wait_loadcnt_dscnt 0x0
	v_dual_mul_f32 v36, v29, v34 :: v_dual_mul_f32 v37, v29, v35
	s_delay_alu instid0(VALU_DEP_1)
	v_dual_fmac_f32 v36, v32, v35 :: v_dual_fma_f32 v34, v32, v34, -v37
	s_clause 0x1
	global_store_b32 v[12:13], v36, off
	global_store_b32 v33, v34, s[8:9] scale_offset
	s_wait_xcnt 0x0
	s_and_saveexec_b32 s16, s2
	s_cbranch_execz .LBB13_33
; %bb.32:                               ;   in Loop: Header=BB13_10 Depth=1
	v_add_nc_u32_e32 v31, v31, v24
	s_clause 0x1
	global_load_b32 v33, v31, s[8:9] scale_offset
	global_load_b32 v34, v[14:15], off
	s_wait_loadcnt 0x0
	v_dual_mul_f32 v35, v29, v33 :: v_dual_mul_f32 v36, v29, v34
	s_delay_alu instid0(VALU_DEP_1)
	v_dual_fmac_f32 v35, v32, v34 :: v_dual_fma_f32 v33, v32, v33, -v36
	s_clause 0x1
	global_store_b32 v[14:15], v35, off
	global_store_b32 v31, v33, s[8:9] scale_offset
.LBB13_33:                              ;   in Loop: Header=BB13_10 Depth=1
	s_wait_xcnt 0x0
	s_or_b32 exec_lo, exec_lo, s16
	v_mov_b32_e32 v35, v29
.LBB13_34:                              ;   in Loop: Header=BB13_10 Depth=1
	s_or_b32 exec_lo, exec_lo, s10
	s_wait_storecnt 0x0
	s_barrier_signal -1
	s_barrier_wait -1
	s_and_saveexec_b32 s10, s4
	s_cbranch_execz .LBB13_37
; %bb.35:                               ;   in Loop: Header=BB13_10 Depth=1
	v_add_nc_u32_e32 v31, v30, v27
	s_clause 0x1
	global_load_b32 v33, v31, s[8:9] scale_offset
	global_load_b32 v34, v[16:17], off
	s_wait_loadcnt 0x0
	v_dual_mul_f32 v36, v35, v33 :: v_dual_mul_f32 v37, v29, v34
	s_delay_alu instid0(VALU_DEP_1)
	v_dual_fmac_f32 v36, v32, v34 :: v_dual_fma_f32 v33, v32, v33, -v37
	s_clause 0x1
	global_store_b32 v[16:17], v36, off
	global_store_b32 v31, v33, s[8:9] scale_offset
	s_wait_xcnt 0x0
	s_and_b32 exec_lo, exec_lo, s2
	s_cbranch_execz .LBB13_37
; %bb.36:                               ;   in Loop: Header=BB13_10 Depth=1
	v_add_nc_u32_e32 v31, v30, v1
	s_clause 0x1
	global_load_b32 v33, v31, s[8:9] scale_offset
	global_load_b32 v34, v[18:19], off
	s_wait_loadcnt 0x0
	v_dual_mul_f32 v37, v29, v34 :: v_dual_mul_f32 v36, v35, v33
	s_delay_alu instid0(VALU_DEP_1)
	v_dual_fma_f32 v33, v32, v33, -v37 :: v_dual_fmac_f32 v36, v32, v34
	s_clause 0x1
	global_store_b32 v[18:19], v36, off
	global_store_b32 v31, v33, s[8:9] scale_offset
.LBB13_37:                              ;   in Loop: Header=BB13_10 Depth=1
	s_wait_xcnt 0x0
	s_or_b32 exec_lo, exec_lo, s10
	s_and_b32 s4, s0, s3
	s_wait_storecnt 0x0
	s_barrier_signal -1
	s_barrier_wait -1
	s_and_saveexec_b32 s3, s4
	s_cbranch_execz .LBB13_9
; %bb.38:                               ;   in Loop: Header=BB13_10 Depth=1
	v_mad_u32 v31, v30, s7, v21
	v_add_nc_u32_e32 v30, v30, v2
	s_clause 0x1
	global_store_b32 v31, v3, s[8:9] scale_offset
	global_store_b32 v30, v3, s[8:9] scale_offset
	s_branch .LBB13_9
.LBB13_39:
	s_endpgm
	.section	.rodata,"a",@progbits
	.p2align	6, 0x0
	.amdhsa_kernel _ZN9rocsolver6v33100L21syevj_offd_kernel_orgIffPfEEviiT1_iilT0_PT_PiS7_S7_
		.amdhsa_group_segment_fixed_size 0
		.amdhsa_private_segment_fixed_size 0
		.amdhsa_kernarg_size 328
		.amdhsa_user_sgpr_count 2
		.amdhsa_user_sgpr_dispatch_ptr 0
		.amdhsa_user_sgpr_queue_ptr 0
		.amdhsa_user_sgpr_kernarg_segment_ptr 1
		.amdhsa_user_sgpr_dispatch_id 0
		.amdhsa_user_sgpr_kernarg_preload_length 0
		.amdhsa_user_sgpr_kernarg_preload_offset 0
		.amdhsa_user_sgpr_private_segment_size 0
		.amdhsa_wavefront_size32 1
		.amdhsa_uses_dynamic_stack 0
		.amdhsa_enable_private_segment 0
		.amdhsa_system_sgpr_workgroup_id_x 1
		.amdhsa_system_sgpr_workgroup_id_y 0
		.amdhsa_system_sgpr_workgroup_id_z 1
		.amdhsa_system_sgpr_workgroup_info 0
		.amdhsa_system_vgpr_workitem_id 1
		.amdhsa_next_free_vgpr 41
		.amdhsa_next_free_sgpr 24
		.amdhsa_named_barrier_count 0
		.amdhsa_reserve_vcc 1
		.amdhsa_float_round_mode_32 0
		.amdhsa_float_round_mode_16_64 0
		.amdhsa_float_denorm_mode_32 3
		.amdhsa_float_denorm_mode_16_64 3
		.amdhsa_fp16_overflow 0
		.amdhsa_memory_ordered 1
		.amdhsa_forward_progress 1
		.amdhsa_inst_pref_size 23
		.amdhsa_round_robin_scheduling 0
		.amdhsa_exception_fp_ieee_invalid_op 0
		.amdhsa_exception_fp_denorm_src 0
		.amdhsa_exception_fp_ieee_div_zero 0
		.amdhsa_exception_fp_ieee_overflow 0
		.amdhsa_exception_fp_ieee_underflow 0
		.amdhsa_exception_fp_ieee_inexact 0
		.amdhsa_exception_int_div_zero 0
	.end_amdhsa_kernel
	.section	.text._ZN9rocsolver6v33100L21syevj_offd_kernel_orgIffPfEEviiT1_iilT0_PT_PiS7_S7_,"axG",@progbits,_ZN9rocsolver6v33100L21syevj_offd_kernel_orgIffPfEEviiT1_iilT0_PT_PiS7_S7_,comdat
.Lfunc_end13:
	.size	_ZN9rocsolver6v33100L21syevj_offd_kernel_orgIffPfEEviiT1_iilT0_PT_PiS7_S7_, .Lfunc_end13-_ZN9rocsolver6v33100L21syevj_offd_kernel_orgIffPfEEviiT1_iilT0_PT_PiS7_S7_
                                        ; -- End function
	.set _ZN9rocsolver6v33100L21syevj_offd_kernel_orgIffPfEEviiT1_iilT0_PT_PiS7_S7_.num_vgpr, 41
	.set _ZN9rocsolver6v33100L21syevj_offd_kernel_orgIffPfEEviiT1_iilT0_PT_PiS7_S7_.num_agpr, 0
	.set _ZN9rocsolver6v33100L21syevj_offd_kernel_orgIffPfEEviiT1_iilT0_PT_PiS7_S7_.numbered_sgpr, 24
	.set _ZN9rocsolver6v33100L21syevj_offd_kernel_orgIffPfEEviiT1_iilT0_PT_PiS7_S7_.num_named_barrier, 0
	.set _ZN9rocsolver6v33100L21syevj_offd_kernel_orgIffPfEEviiT1_iilT0_PT_PiS7_S7_.private_seg_size, 0
	.set _ZN9rocsolver6v33100L21syevj_offd_kernel_orgIffPfEEviiT1_iilT0_PT_PiS7_S7_.uses_vcc, 1
	.set _ZN9rocsolver6v33100L21syevj_offd_kernel_orgIffPfEEviiT1_iilT0_PT_PiS7_S7_.uses_flat_scratch, 0
	.set _ZN9rocsolver6v33100L21syevj_offd_kernel_orgIffPfEEviiT1_iilT0_PT_PiS7_S7_.has_dyn_sized_stack, 0
	.set _ZN9rocsolver6v33100L21syevj_offd_kernel_orgIffPfEEviiT1_iilT0_PT_PiS7_S7_.has_recursion, 0
	.set _ZN9rocsolver6v33100L21syevj_offd_kernel_orgIffPfEEviiT1_iilT0_PT_PiS7_S7_.has_indirect_call, 0
	.section	.AMDGPU.csdata,"",@progbits
; Kernel info:
; codeLenInByte = 2936
; TotalNumSgprs: 26
; NumVgprs: 41
; ScratchSize: 0
; MemoryBound: 0
; FloatMode: 240
; IeeeMode: 1
; LDSByteSize: 0 bytes/workgroup (compile time only)
; SGPRBlocks: 0
; VGPRBlocks: 2
; NumSGPRsForWavesPerEU: 26
; NumVGPRsForWavesPerEU: 41
; NamedBarCnt: 0
; Occupancy: 16
; WaveLimiterHint : 0
; COMPUTE_PGM_RSRC2:SCRATCH_EN: 0
; COMPUTE_PGM_RSRC2:USER_SGPR: 2
; COMPUTE_PGM_RSRC2:TRAP_HANDLER: 0
; COMPUTE_PGM_RSRC2:TGID_X_EN: 1
; COMPUTE_PGM_RSRC2:TGID_Y_EN: 0
; COMPUTE_PGM_RSRC2:TGID_Z_EN: 1
; COMPUTE_PGM_RSRC2:TIDIG_COMP_CNT: 1
	.section	.text._ZN9rocsolver6v33100L17syevj_offd_kernelIffPfEEviiT1_iilT0_PT_PiS7_S7_i,"axG",@progbits,_ZN9rocsolver6v33100L17syevj_offd_kernelIffPfEEviiT1_iilT0_PT_PiS7_S7_i,comdat
	.globl	_ZN9rocsolver6v33100L17syevj_offd_kernelIffPfEEviiT1_iilT0_PT_PiS7_S7_i ; -- Begin function _ZN9rocsolver6v33100L17syevj_offd_kernelIffPfEEviiT1_iilT0_PT_PiS7_S7_i
	.p2align	8
	.type	_ZN9rocsolver6v33100L17syevj_offd_kernelIffPfEEviiT1_iilT0_PT_PiS7_S7_i,@function
_ZN9rocsolver6v33100L17syevj_offd_kernelIffPfEEviiT1_iilT0_PT_PiS7_S7_i: ; @_ZN9rocsolver6v33100L17syevj_offd_kernelIffPfEEviiT1_iilT0_PT_PiS7_S7_i
; %bb.0:
	s_clause 0x1
	s_load_b64 s[20:21], s[0:1], 0x0
	s_load_b32 s33, s[0:1], 0x48
	s_bfe_u32 s5, ttmp6, 0x40014
	s_lshr_b32 s3, ttmp7, 16
	s_add_co_i32 s5, s5, 1
	s_getreg_b32 s19, hwreg(HW_REG_IB_STS2, 6, 4)
	s_mul_i32 s5, s3, s5
	s_mov_b32 s25, 0
	s_wait_kmcnt 0x0
	s_abs_i32 s4, s20
	s_delay_alu instid0(SALU_CYCLE_1) | instskip(NEXT) | instid1(SALU_CYCLE_3)
	s_cvt_f32_u32 s2, s4
	v_rcp_iflag_f32_e32 v1, s2
	s_bfe_u32 s2, ttmp6, 0x40008
	s_delay_alu instid0(SALU_CYCLE_1) | instskip(SKIP_3) | instid1(TRANS32_DEP_1)
	s_add_co_i32 s2, s2, s5
	s_cmp_eq_u32 s19, 0
	s_cselect_b32 s22, s3, s2
	v_nop
	v_readfirstlane_b32 s5, v1
	s_cmp_ge_u32 s22, s33
	s_cbranch_scc1 .LBB14_82
; %bb.1:
	s_mov_b64 s[2:3], src_shared_base
	s_mul_f32 s2, s5, 0x4f7ffffe
	s_sub_co_i32 s6, 0, s4
	s_add_co_i32 s5, s21, -1
	s_mov_b32 s7, s25
	s_cvt_u32_f32 s2, s2
	s_abs_i32 s24, s5
	s_clause 0x1
	s_load_b96 s[16:18], s[0:1], 0x18
	s_load_b128 s[12:15], s[0:1], 0x8
	s_mul_i32 s6, s6, s2
	s_ashr_i32 s31, s20, 31
	s_mul_hi_u32 s6, s2, s6
	s_clause 0x1
	s_load_b32 s38, s[0:1], 0x50
	s_load_b64 s[26:27], s[0:1], 0x58
	s_add_co_i32 s6, s2, s6
	s_ashr_i32 s2, s5, 31
	s_mul_u64 s[6:7], s[24:25], s[6:7]
	s_xor_b32 s2, s2, s31
	s_mul_i32 s5, s7, s4
	s_add_co_i32 s6, s7, 1
	s_sub_co_i32 s5, s24, s5
	v_and_b32_e32 v10, 0x3ff, v0
	s_sub_co_i32 s8, s5, s4
	s_cmp_ge_u32 s5, s4
	v_bfe_u32 v11, v0, 10, 10
	s_cselect_b32 s6, s6, s7
	s_cselect_b32 s5, s8, s5
	s_add_co_i32 s7, s6, 1
	s_cmp_ge_u32 s5, s4
	s_wait_kmcnt 0x0
	v_div_scale_f32 v1, null, s18, s18, 0x800000
	s_cselect_b32 s23, s7, s6
	s_load_b256 s[4:11], s[0:1], 0x28
	s_xor_b32 s23, s23, s2
	v_rcp_f32_e32 v0, v1
	s_sub_co_i32 s39, s23, s2
	v_nop
	v_xor_b32_e32 v1, 0x80000000, v1
	s_wait_xcnt 0x0
	s_add_co_i32 s0, s39, 1
	s_bfe_u32 s23, ttmp6, 0x4000c
	s_lshr_b32 s1, s0, 31
	s_add_co_i32 s23, s23, 1
	s_add_co_i32 s1, s0, s1
	v_fma_f32 v2, v1, v0, 1.0
	s_and_b32 s1, s1, -2
	s_and_b32 s2, ttmp6, 15
	s_sub_co_i32 s1, s0, s1
	s_mul_i32 s23, ttmp9, s23
	s_add_co_i32 s0, s1, s0
	v_fmac_f32_e32 v0, v2, v0
	s_lshr_b32 s1, s0, 31
	s_add_co_i32 s2, s2, s23
	s_add_co_i32 s0, s0, s1
	s_mov_b32 s30, s20
	s_ashr_i32 s40, s0, 1
	s_mov_b32 s0, 0x800000
	s_cmp_eq_u32 s19, 0
	v_div_scale_f32 v2, vcc_lo, s0, s18, s0
	s_cselect_b32 s41, ttmp9, s2
	s_lshl_b32 s28, s20, 1
	s_lshl_b64 s[30:31], s[30:31], 3
	v_mul_f32_e32 v3, v2, v0
	s_ashr_i32 s29, s28, 31
	s_lshl_b32 s43, s20, 2
	s_mul_u64 s[0:1], s[28:29], s[28:29]
	s_add_co_i32 s2, s43, 0
	v_fma_f32 v4, v1, v3, v2
	s_lshl_b64 s[0:1], s[0:1], 2
	s_lshr_b32 s42, s27, 16
	s_add_nc_u64 s[0:1], s[0:1], s[30:31]
	s_and_b32 s27, s27, 0xffff
	v_fmac_f32_e32 v3, v4, v0
	v_cmp_gt_u64_e64 s45, 0x10001, s[0:1]
	s_cvt_f32_u32 s1, s20
	s_mul_i32 s0, s20, s20
	s_add_co_i32 s29, s2, s43
	v_fmac_f32_e32 v2, v1, v3
	v_rcp_iflag_f32_e32 v1, s1
	s_mov_b32 s44, s3
	s_ashr_i32 s3, s14, 31
	s_lshl_b32 s46, s0, 2
	v_div_fmas_f32 v0, v2, v0, v3
	s_cmp_lt_u32 s41, s40
	s_mul_i32 s0, s39, s20
	v_readfirstlane_b32 s1, v1
	v_add_nc_u32_e32 v1, s20, v11
	v_div_fixup_f32 v12, v0, s18, 0x800000
	v_mul_lo_u32 v0, v11, s20
	s_mov_b32 s2, s14
	s_mul_f32 s14, s1, 0x4f7ffffe
	v_mul_lo_u32 v1, s20, v1
	s_cselect_b32 s47, -1, 0
	s_sub_co_i32 s48, s21, s0
	s_wait_kmcnt 0x0
	s_cmp_lg_u64 s[4:5], 0
	s_cvt_u32_f32 s14, s14
	s_cselect_b32 s49, -1, 0
	s_cmp_gt_i32 s20, 0
	s_mov_b32 s18, s15
	v_lshlrev_b32_e32 v13, 1, v0
	s_cselect_b32 s50, -1, 0
	s_sub_co_i32 s51, 0, s20
	s_ashr_i32 s19, s15, 31
	s_mul_i32 s15, s51, s14
	s_lshl_b64 s[2:3], s[2:3], 2
	v_cmp_gt_u32_e64 s0, s20, v11
	v_cmp_gt_u32_e64 s1, s20, v10
	v_lshl_add_u32 v14, v10, 2, 0
	v_add_nc_u32_e32 v15, v10, v13
	v_lshl_add_u32 v16, v1, 1, v10
	v_mov_b32_e32 v1, 0
	s_mul_hi_u32 s15, s14, s15
	s_add_nc_u64 s[12:13], s[12:13], s[2:3]
	s_mul_i32 s2, s20, s42
	s_add_co_i32 s14, s14, s15
	s_mov_b32 s15, s25
	s_lshl_b32 s52, s2, 1
	s_lshl_b32 s53, s27, 2
	s_branch .LBB14_3
.LBB14_2:                               ;   in Loop: Header=BB14_3 Depth=1
	s_add_co_i32 s22, s22, s26
	s_delay_alu instid0(SALU_CYCLE_1)
	s_cmp_ge_u32 s22, s33
	s_cbranch_scc1 .LBB14_82
.LBB14_3:                               ; =>This Loop Header: Depth=1
                                        ;     Child Loop BB14_8 Depth 2
                                        ;       Child Loop BB14_16 Depth 3
                                        ;         Child Loop BB14_18 Depth 4
                                        ;       Child Loop BB14_23 Depth 3
                                        ;         Child Loop BB14_26 Depth 4
                                        ;           Child Loop BB14_33 Depth 5
                                        ;         Child Loop BB14_48 Depth 4
                                        ;           Child Loop BB14_51 Depth 5
	;; [unrolled: 2-line block ×4, first 2 shown]
                                        ;       Child Loop BB14_79 Depth 3
                                        ;         Child Loop BB14_81 Depth 4
	s_wait_xcnt 0x0
	v_mov_b32_e32 v0, s22
	global_load_b32 v0, v0, s[10:11] offset:4 scale_offset
	s_wait_loadcnt 0x0
	v_cmp_ne_u32_e32 vcc_lo, 0, v0
	s_cbranch_vccnz .LBB14_2
; %bb.4:                                ;   in Loop: Header=BB14_3 Depth=1
	s_and_not1_b32 vcc_lo, exec_lo, s47
	s_cbranch_vccnz .LBB14_2
; %bb.5:                                ;   in Loop: Header=BB14_3 Depth=1
	s_mov_b32 s23, s25
	s_mov_b32 s54, s41
	s_mul_u64 s[2:3], s[16:17], s[22:23]
	s_mul_i32 s23, s22, s40
	s_lshl_b64 s[2:3], s[2:3], 2
	s_delay_alu instid0(SALU_CYCLE_1)
	s_add_nc_u64 s[30:31], s[12:13], s[2:3]
	s_branch .LBB14_8
.LBB14_6:                               ;   in Loop: Header=BB14_8 Depth=2
	s_or_b32 exec_lo, exec_lo, s3
	s_wait_storecnt 0x0
	s_barrier_signal -1
	s_barrier_wait -1
.LBB14_7:                               ;   in Loop: Header=BB14_8 Depth=2
	s_add_co_i32 s54, s54, s38
	s_delay_alu instid0(SALU_CYCLE_1)
	s_cmp_lt_u32 s54, s40
	s_cbranch_scc0 .LBB14_2
.LBB14_8:                               ;   Parent Loop BB14_3 Depth=1
                                        ; =>  This Loop Header: Depth=2
                                        ;       Child Loop BB14_16 Depth 3
                                        ;         Child Loop BB14_18 Depth 4
                                        ;       Child Loop BB14_23 Depth 3
                                        ;         Child Loop BB14_26 Depth 4
                                        ;           Child Loop BB14_33 Depth 5
                                        ;         Child Loop BB14_48 Depth 4
                                        ;           Child Loop BB14_51 Depth 5
	;; [unrolled: 2-line block ×4, first 2 shown]
                                        ;       Child Loop BB14_79 Depth 3
                                        ;         Child Loop BB14_81 Depth 4
	s_wait_xcnt 0x0
	v_mov_b32_e32 v3, s54
	s_clause 0x1
	global_load_b32 v0, v3, s[6:7] scale_offset
	global_load_b32 v2, v3, s[8:9] scale_offset
	s_wait_loadcnt 0x1
	v_readfirstlane_b32 s2, v0
	s_wait_loadcnt 0x0
	v_readfirstlane_b32 s3, v2
	s_max_i32 s55, s2, s3
	s_delay_alu instid0(SALU_CYCLE_1)
	s_cmp_gt_i32 s55, s39
	s_cbranch_scc1 .LBB14_7
; %bb.9:                                ;   in Loop: Header=BB14_8 Depth=2
	s_and_not1_b32 vcc_lo, exec_lo, s49
	s_cbranch_vccnz .LBB14_11
; %bb.10:                               ;   in Loop: Header=BB14_8 Depth=2
	s_add_co_i32 s2, s54, s23
	s_delay_alu instid0(SALU_CYCLE_1) | instskip(NEXT) | instid1(SALU_CYCLE_1)
	s_mul_i32 s24, s46, s2
	s_lshl_b64 s[2:3], s[24:25], 2
	s_delay_alu instid0(SALU_CYCLE_1)
	s_add_nc_u64 s[34:35], s[4:5], s[2:3]
	s_branch .LBB14_12
.LBB14_11:                              ;   in Loop: Header=BB14_8 Depth=2
	s_mov_b64 s[34:35], 0
.LBB14_12:                              ;   in Loop: Header=BB14_8 Depth=2
	v_dual_mov_b32 v2, s48 :: v_dual_min_i32 v0, v2, v0
	s_cmp_eq_u32 s55, s39
	s_cselect_b32 s2, s48, s20
	s_delay_alu instid0(VALU_DEP_1) | instskip(NEXT) | instid1(VALU_DEP_2)
	v_cmp_eq_u32_e32 vcc_lo, s39, v0
	v_cndmask_b32_e32 v2, s20, v2, vcc_lo
	s_delay_alu instid0(VALU_DEP_1)
	v_add_nc_u32_e32 v17, s2, v2
	s_and_b32 s2, s45, exec_lo
	s_cselect_b32 s37, s44, s35
	s_cselect_b32 s36, s29, s34
	s_cmp_lg_u64 s[34:35], 0
	v_cmp_lt_u32_e32 vcc_lo, v11, v17
	s_cselect_b32 s24, -1, 0
	s_cmp_eq_u64 s[34:35], 0
	s_cbranch_scc1 .LBB14_20
; %bb.13:                               ;   in Loop: Header=BB14_8 Depth=2
	s_barrier_signal -1
	s_barrier_wait -1
	s_wait_xcnt 0x0
	s_and_saveexec_b32 s56, vcc_lo
	s_cbranch_execz .LBB14_19
; %bb.14:                               ;   in Loop: Header=BB14_8 Depth=2
	v_dual_mov_b32 v2, v13 :: v_dual_mov_b32 v3, v11
	s_mov_b32 s57, 0
	v_cmp_lt_u32_e32 vcc_lo, v10, v17
	s_branch .LBB14_16
.LBB14_15:                              ;   in Loop: Header=BB14_16 Depth=3
	s_or_b32 exec_lo, exec_lo, s58
	v_dual_add_nc_u32 v3, s42, v3 :: v_dual_add_nc_u32 v2, s52, v2
	s_delay_alu instid0(VALU_DEP_1) | instskip(SKIP_1) | instid1(SALU_CYCLE_1)
	v_cmp_ge_u32_e64 s2, v3, v17
	s_or_b32 s57, s2, s57
	s_and_not1_b32 exec_lo, exec_lo, s57
	s_cbranch_execz .LBB14_19
.LBB14_16:                              ;   Parent Loop BB14_3 Depth=1
                                        ;     Parent Loop BB14_8 Depth=2
                                        ; =>    This Loop Header: Depth=3
                                        ;         Child Loop BB14_18 Depth 4
	s_and_saveexec_b32 s58, vcc_lo
	s_cbranch_execz .LBB14_15
; %bb.17:                               ;   in Loop: Header=BB14_16 Depth=3
	v_mov_b32_e32 v4, v10
	s_mov_b32 s59, 0
.LBB14_18:                              ;   Parent Loop BB14_3 Depth=1
                                        ;     Parent Loop BB14_8 Depth=2
                                        ;       Parent Loop BB14_16 Depth=3
                                        ; =>      This Inner Loop Header: Depth=4
	s_delay_alu instid0(VALU_DEP_1) | instskip(SKIP_1) | instid1(VALU_DEP_2)
	v_cmp_eq_u32_e64 s2, v3, v4
	v_dual_add_nc_u32 v5, v2, v4 :: v_dual_add_nc_u32 v4, s27, v4
	v_cndmask_b32_e64 v6, 0, 1.0, s2
	s_delay_alu instid0(VALU_DEP_2)
	v_cmp_ge_u32_e64 s3, v4, v17
	flat_store_b32 v5, v6, s[36:37] scale_offset
	s_or_b32 s59, s3, s59
	s_wait_xcnt 0x0
	s_and_not1_b32 exec_lo, exec_lo, s59
	s_cbranch_execnz .LBB14_18
	s_branch .LBB14_15
.LBB14_19:                              ;   in Loop: Header=BB14_8 Depth=2
	s_or_b32 exec_lo, exec_lo, s56
	s_wait_storecnt_dscnt 0x0
	s_barrier_signal -1
	s_barrier_wait -1
.LBB14_20:                              ;   in Loop: Header=BB14_8 Depth=2
	s_and_not1_b32 vcc_lo, exec_lo, s50
	s_cbranch_vccnz .LBB14_75
; %bb.21:                               ;   in Loop: Header=BB14_8 Depth=2
	v_mul_lo_u32 v18, v0, s20
	s_mul_i32 s55, s55, s20
	s_mov_b32 s56, 0
	s_delay_alu instid0(VALU_DEP_1)
	v_dual_mov_b32 v20, v10 :: v_dual_add_nc_u32 v19, v10, v18
	s_branch .LBB14_23
.LBB14_22:                              ;   in Loop: Header=BB14_23 Depth=3
	s_or_b32 exec_lo, exec_lo, s3
	v_add_nc_u32_e32 v20, 1, v20
	s_add_co_i32 s56, s56, 1
	s_delay_alu instid0(SALU_CYCLE_1)
	s_cmp_eq_u32 s56, s20
	s_cbranch_scc1 .LBB14_75
.LBB14_23:                              ;   Parent Loop BB14_3 Depth=1
                                        ;     Parent Loop BB14_8 Depth=2
                                        ; =>    This Loop Header: Depth=3
                                        ;         Child Loop BB14_26 Depth 4
                                        ;           Child Loop BB14_33 Depth 5
                                        ;         Child Loop BB14_48 Depth 4
                                        ;           Child Loop BB14_51 Depth 5
	;; [unrolled: 2-line block ×4, first 2 shown]
	s_wait_xcnt 0x0
	s_and_saveexec_b32 s57, s0
	s_cbranch_execz .LBB14_45
; %bb.24:                               ;   in Loop: Header=BB14_23 Depth=3
	v_mov_b32_e32 v8, v11
	s_mov_b32 s58, 0
	s_branch .LBB14_26
.LBB14_25:                              ;   in Loop: Header=BB14_26 Depth=4
	s_or_b32 exec_lo, exec_lo, s59
	v_add_nc_u32_e32 v8, s42, v8
	s_delay_alu instid0(VALU_DEP_1) | instskip(SKIP_1) | instid1(SALU_CYCLE_1)
	v_cmp_le_u32_e32 vcc_lo, s20, v8
	s_or_b32 s58, vcc_lo, s58
	s_and_not1_b32 exec_lo, exec_lo, s58
	s_cbranch_execz .LBB14_45
.LBB14_26:                              ;   Parent Loop BB14_3 Depth=1
                                        ;     Parent Loop BB14_8 Depth=2
                                        ;       Parent Loop BB14_23 Depth=3
                                        ; =>      This Loop Header: Depth=4
                                        ;           Child Loop BB14_33 Depth 5
	s_and_saveexec_b32 s59, s1
	s_cbranch_execz .LBB14_25
; %bb.27:                               ;   in Loop: Header=BB14_26 Depth=4
	v_cmp_eq_u32_e64 s2, 0, v8
	v_dual_mov_b32 v9, v14 :: v_dual_mov_b32 v2, v20
	s_mov_b32 s60, 0
	s_mov_b32 s61, 0
	s_branch .LBB14_33
.LBB14_28:                              ;   in Loop: Header=BB14_33 Depth=5
	s_or_b32 exec_lo, exec_lo, s66
.LBB14_29:                              ;   in Loop: Header=BB14_33 Depth=5
	s_delay_alu instid0(SALU_CYCLE_1)
	s_or_b32 exec_lo, exec_lo, s65
.LBB14_30:                              ;   in Loop: Header=BB14_33 Depth=5
	s_delay_alu instid0(SALU_CYCLE_1) | instskip(SKIP_2) | instid1(VALU_DEP_1)
	s_or_b32 exec_lo, exec_lo, s64
	v_mul_f32_e32 v0, v3, v5
	v_and_b32_e32 v4, 0x7fffffff, v3
	v_div_scale_f32 v5, null, v4, v4, v0
	v_div_scale_f32 v4, vcc_lo, v0, v4, v0
	s_delay_alu instid0(VALU_DEP_2) | instskip(SKIP_1) | instid1(TRANS32_DEP_1)
	v_rcp_f32_e32 v6, v5
	v_nop
	v_fma_f32 v7, -v5, v6, 1.0
	s_delay_alu instid0(VALU_DEP_1) | instskip(NEXT) | instid1(VALU_DEP_1)
	v_fmac_f32_e32 v6, v7, v6
	v_mul_f32_e32 v7, v4, v6
	s_delay_alu instid0(VALU_DEP_1) | instskip(NEXT) | instid1(VALU_DEP_1)
	v_fma_f32 v22, -v5, v7, v4
	v_fmac_f32_e32 v7, v22, v6
	s_delay_alu instid0(VALU_DEP_1) | instskip(NEXT) | instid1(VALU_DEP_1)
	v_fma_f32 v4, -v5, v7, v4
	v_div_fmas_f32 v4, v4, v6, v7
	s_delay_alu instid0(VALU_DEP_1)
	v_div_fixup_f32 v22, v4, |v3|, v0
.LBB14_31:                              ;   in Loop: Header=BB14_33 Depth=5
	s_or_b32 exec_lo, exec_lo, s63
	v_add_nc_u32_e32 v0, s43, v9
	ds_store_b32 v9, v21
	ds_store_b32 v0, v22
.LBB14_32:                              ;   in Loop: Header=BB14_33 Depth=5
	s_or_b32 exec_lo, exec_lo, s62
	s_add_co_i32 s61, s61, s27
	v_add_nc_u32_e32 v2, s27, v2
	v_dual_add_nc_u32 v0, s61, v10 :: v_dual_add_nc_u32 v9, s53, v9
	s_delay_alu instid0(VALU_DEP_1) | instskip(SKIP_1) | instid1(SALU_CYCLE_1)
	v_cmp_le_u32_e32 vcc_lo, s20, v0
	s_or_b32 s60, vcc_lo, s60
	s_and_not1_b32 exec_lo, exec_lo, s60
	s_cbranch_execz .LBB14_25
.LBB14_33:                              ;   Parent Loop BB14_3 Depth=1
                                        ;     Parent Loop BB14_8 Depth=2
                                        ;       Parent Loop BB14_23 Depth=3
                                        ;         Parent Loop BB14_26 Depth=4
                                        ; =>        This Inner Loop Header: Depth=5
	v_mov_b32_e32 v3, v1
	s_delay_alu instid0(VALU_DEP_1) | instskip(SKIP_1) | instid1(VALU_DEP_2)
	v_mul_u64_e32 v[4:5], s[14:15], v[2:3]
	v_add_nc_u32_e32 v4, s61, v10
	v_mul_lo_u32 v0, s20, v5
	v_not_b32_e32 v3, v5
	s_delay_alu instid0(VALU_DEP_1) | instskip(NEXT) | instid1(VALU_DEP_3)
	v_mul_lo_u32 v3, s20, v3
	v_sub_nc_u32_e32 v0, s56, v0
	s_delay_alu instid0(VALU_DEP_1) | instskip(NEXT) | instid1(VALU_DEP_3)
	v_add_nc_u32_e32 v0, v4, v0
	v_add3_u32 v3, s56, v3, v4
	s_delay_alu instid0(VALU_DEP_2) | instskip(NEXT) | instid1(VALU_DEP_2)
	v_cmp_le_u32_e32 vcc_lo, s20, v0
	v_cndmask_b32_e32 v0, v0, v3, vcc_lo
	s_delay_alu instid0(VALU_DEP_1) | instskip(SKIP_1) | instid1(VALU_DEP_2)
	v_subrev_nc_u32_e32 v3, s20, v0
	v_cmp_le_u32_e32 vcc_lo, s20, v0
	v_cndmask_b32_e32 v3, v0, v3, vcc_lo
	v_add_nc_u32_e32 v0, s61, v19
	s_delay_alu instid0(VALU_DEP_2) | instskip(NEXT) | instid1(VALU_DEP_2)
	v_add_nc_u32_e32 v4, s55, v3
	v_cmp_gt_u32_e32 vcc_lo, s21, v0
	s_delay_alu instid0(VALU_DEP_2) | instskip(SKIP_1) | instid1(SALU_CYCLE_1)
	v_cmp_gt_u32_e64 s3, s21, v4
	s_and_b32 s62, s2, vcc_lo
	s_and_b32 s3, s62, s3
	s_delay_alu instid0(SALU_CYCLE_1)
	s_and_saveexec_b32 s62, s3
	s_cbranch_execz .LBB14_32
; %bb.34:                               ;   in Loop: Header=BB14_33 Depth=5
	v_dual_mov_b32 v5, v1 :: v_dual_mov_b32 v21, 1.0
	s_delay_alu instid0(VALU_DEP_1) | instskip(NEXT) | instid1(VALU_DEP_1)
	v_mul_u64_e32 v[6:7], s[18:19], v[4:5]
	v_lshl_add_u64 v[6:7], v[6:7], 2, s[30:31]
	s_delay_alu instid0(VALU_DEP_1) | instskip(SKIP_4) | instid1(VALU_DEP_1)
	v_lshl_add_u64 v[22:23], v[0:1], 2, v[6:7]
	global_load_b32 v3, v[22:23], off
	s_wait_loadcnt 0x0
	s_wait_xcnt 0x0
	v_mul_f32_e32 v22, v3, v3
	v_cmp_nlt_f32_e32 vcc_lo, v22, v12
	v_mov_b32_e32 v22, 0
	s_and_saveexec_b32 s63, vcc_lo
	s_cbranch_execz .LBB14_31
; %bb.35:                               ;   in Loop: Header=BB14_33 Depth=5
	v_mul_u64_e32 v[22:23], s[18:19], v[0:1]
	v_lshl_add_u64 v[4:5], v[4:5], 2, v[6:7]
	s_mov_b32 s3, exec_lo
	s_delay_alu instid0(VALU_DEP_2) | instskip(NEXT) | instid1(VALU_DEP_1)
	v_lshl_add_u64 v[22:23], v[22:23], 2, s[30:31]
	v_lshl_add_u64 v[6:7], v[0:1], 2, v[22:23]
	v_add_f32_e64 v0, |v3|, |v3|
	s_clause 0x1
	global_load_b32 v4, v[4:5], off
	global_load_b32 v5, v[6:7], off
	s_wait_loadcnt 0x0
	v_sub_f32_e32 v4, v4, v5
	s_delay_alu instid0(VALU_DEP_1) | instskip(SKIP_1) | instid1(VALU_DEP_1)
	v_max_num_f32_e64 v5, |v4|, |v0|
	s_wait_xcnt 0x0
	v_cvt_f64_f32_e32 v[6:7], v5
	s_delay_alu instid0(VALU_DEP_1) | instskip(NEXT) | instid1(VALU_DEP_1)
	v_frexp_exp_i32_f64_e32 v7, v[6:7]
	v_sub_nc_u32_e32 v6, 0, v7
	s_delay_alu instid0(VALU_DEP_1) | instskip(SKIP_1) | instid1(VALU_DEP_2)
	v_ldexp_f32 v21, |v0|, v6
	v_ldexp_f32 v6, |v4|, v6
	v_mul_f32_e32 v21, v21, v21
	s_delay_alu instid0(VALU_DEP_1) | instskip(NEXT) | instid1(VALU_DEP_1)
	v_fmac_f32_e32 v21, v6, v6
                                        ; implicit-def: $vgpr6
	v_sqrt_f32_e32 v21, v21
	v_cmpx_ngt_f32_e32 0, v4
	s_xor_b32 s3, exec_lo, s3
; %bb.36:                               ;   in Loop: Header=BB14_33 Depth=5
	s_delay_alu instid0(TRANS32_DEP_1) | instskip(SKIP_1) | instid1(VALU_DEP_2)
	v_ldexp_f32 v6, v21, v7
	v_cmp_neq_f32_e32 vcc_lo, 0x7f800000, v5
                                        ; implicit-def: $vgpr21
                                        ; implicit-def: $vgpr7
                                        ; implicit-def: $vgpr5
	v_cndmask_b32_e32 v6, 0x7f800000, v6, vcc_lo
; %bb.37:                               ;   in Loop: Header=BB14_33 Depth=5
	s_and_not1_saveexec_b32 s3, s3
; %bb.38:                               ;   in Loop: Header=BB14_33 Depth=5
	v_ldexp_f32 v6, -v21, v7
	v_cmp_neq_f32_e32 vcc_lo, 0x7f800000, v5
	s_delay_alu instid0(VALU_DEP_2)
	v_cndmask_b32_e32 v6, 0xff800000, v6, vcc_lo
; %bb.39:                               ;   in Loop: Header=BB14_33 Depth=5
	s_or_b32 exec_lo, exec_lo, s3
	v_dual_mov_b32 v5, 0 :: v_dual_mov_b32 v21, 1.0
	s_mov_b32 s64, exec_lo
	v_cmpx_neq_f32_e32 0, v0
	s_cbranch_execz .LBB14_30
; %bb.40:                               ;   in Loop: Header=BB14_33 Depth=5
	v_dual_add_f32 v4, v4, v6 :: v_dual_mov_b32 v21, 0
	v_mov_b32_e32 v5, 1.0
	s_mov_b32 s65, exec_lo
	s_delay_alu instid0(VALU_DEP_2)
	v_cmpx_neq_f32_e32 0, v4
	s_cbranch_execz .LBB14_29
; %bb.41:                               ;   in Loop: Header=BB14_33 Depth=5
	s_mov_b32 s66, exec_lo
                                        ; implicit-def: $vgpr21
                                        ; implicit-def: $vgpr5
	v_cmpx_ngt_f32_e64 |v0|, |v4|
	s_xor_b32 s66, exec_lo, s66
	s_cbranch_execz .LBB14_43
; %bb.42:                               ;   in Loop: Header=BB14_33 Depth=5
	v_div_scale_f32 v5, null, v4, v4, -v0
	v_div_scale_f32 v21, vcc_lo, -v0, v4, -v0
	s_delay_alu instid0(VALU_DEP_2) | instskip(SKIP_1) | instid1(TRANS32_DEP_1)
	v_rcp_f32_e32 v6, v5
	v_nop
	v_fma_f32 v7, -v5, v6, 1.0
	s_delay_alu instid0(VALU_DEP_1) | instskip(NEXT) | instid1(VALU_DEP_1)
	v_fmac_f32_e32 v6, v7, v6
	v_mul_f32_e32 v7, v21, v6
	s_delay_alu instid0(VALU_DEP_1) | instskip(NEXT) | instid1(VALU_DEP_1)
	v_fma_f32 v22, -v5, v7, v21
	v_fmac_f32_e32 v7, v22, v6
	s_delay_alu instid0(VALU_DEP_1) | instskip(NEXT) | instid1(VALU_DEP_1)
	v_fma_f32 v5, -v5, v7, v21
	v_div_fmas_f32 v5, v5, v6, v7
	s_delay_alu instid0(VALU_DEP_1) | instskip(NEXT) | instid1(VALU_DEP_1)
	v_div_fixup_f32 v0, v5, v4, -v0
	v_fma_f32 v4, v0, v0, 1.0
	s_delay_alu instid0(VALU_DEP_1) | instskip(SKIP_1) | instid1(VALU_DEP_2)
	v_mul_f32_e32 v5, 0x4f800000, v4
	v_cmp_gt_f32_e32 vcc_lo, 0xf800000, v4
	v_cndmask_b32_e32 v4, v4, v5, vcc_lo
	s_delay_alu instid0(VALU_DEP_1) | instskip(SKIP_1) | instid1(TRANS32_DEP_1)
	v_sqrt_f32_e32 v5, v4
	v_nop
	v_dual_add_nc_u32 v6, -1, v5 :: v_dual_add_nc_u32 v7, 1, v5
	s_delay_alu instid0(VALU_DEP_1) | instskip(NEXT) | instid1(VALU_DEP_1)
	v_fma_f32 v21, -v6, v5, v4
	v_cmp_ge_f32_e64 s3, 0, v21
	s_delay_alu instid0(VALU_DEP_1) | instskip(NEXT) | instid1(VALU_DEP_1)
	v_dual_fma_f32 v22, -v7, v5, v4 :: v_dual_cndmask_b32 v5, v5, v6, s3
	v_cmp_lt_f32_e64 s3, 0, v22
	s_delay_alu instid0(VALU_DEP_1) | instskip(NEXT) | instid1(VALU_DEP_1)
	v_cndmask_b32_e64 v5, v5, v7, s3
	v_mul_f32_e32 v6, 0x37800000, v5
	s_delay_alu instid0(VALU_DEP_1) | instskip(SKIP_1) | instid1(VALU_DEP_2)
	v_cndmask_b32_e32 v5, v5, v6, vcc_lo
	v_cmp_class_f32_e64 vcc_lo, v4, 0x260
	v_cndmask_b32_e32 v4, v5, v4, vcc_lo
	s_delay_alu instid0(VALU_DEP_1) | instskip(NEXT) | instid1(VALU_DEP_1)
	v_div_scale_f32 v5, null, v4, v4, 1.0
	v_rcp_f32_e32 v6, v5
	v_nop
	s_delay_alu instid0(TRANS32_DEP_1) | instskip(NEXT) | instid1(VALU_DEP_1)
	v_fma_f32 v7, -v5, v6, 1.0
	v_fmac_f32_e32 v6, v7, v6
	v_div_scale_f32 v7, vcc_lo, 1.0, v4, 1.0
	s_delay_alu instid0(VALU_DEP_1) | instskip(NEXT) | instid1(VALU_DEP_1)
	v_mul_f32_e32 v21, v7, v6
	v_fma_f32 v22, -v5, v21, v7
	s_delay_alu instid0(VALU_DEP_1) | instskip(NEXT) | instid1(VALU_DEP_1)
	v_fmac_f32_e32 v21, v22, v6
	v_fma_f32 v5, -v5, v21, v7
	s_delay_alu instid0(VALU_DEP_1) | instskip(NEXT) | instid1(VALU_DEP_1)
	v_div_fmas_f32 v5, v5, v6, v21
	v_div_fixup_f32 v21, v5, v4, 1.0
                                        ; implicit-def: $vgpr4
	s_delay_alu instid0(VALU_DEP_1)
	v_mul_f32_e32 v5, v0, v21
                                        ; implicit-def: $vgpr0
.LBB14_43:                              ;   in Loop: Header=BB14_33 Depth=5
	s_and_not1_saveexec_b32 s66, s66
	s_cbranch_execz .LBB14_28
; %bb.44:                               ;   in Loop: Header=BB14_33 Depth=5
	v_div_scale_f32 v5, null, v0, v0, -v4
	v_div_scale_f32 v21, vcc_lo, -v4, v0, -v4
	s_delay_alu instid0(VALU_DEP_2) | instskip(SKIP_1) | instid1(TRANS32_DEP_1)
	v_rcp_f32_e32 v6, v5
	v_nop
	v_fma_f32 v7, -v5, v6, 1.0
	s_delay_alu instid0(VALU_DEP_1) | instskip(NEXT) | instid1(VALU_DEP_1)
	v_fmac_f32_e32 v6, v7, v6
	v_mul_f32_e32 v7, v21, v6
	s_delay_alu instid0(VALU_DEP_1) | instskip(NEXT) | instid1(VALU_DEP_1)
	v_fma_f32 v22, -v5, v7, v21
	v_fmac_f32_e32 v7, v22, v6
	s_delay_alu instid0(VALU_DEP_1) | instskip(NEXT) | instid1(VALU_DEP_1)
	v_fma_f32 v5, -v5, v7, v21
	v_div_fmas_f32 v5, v5, v6, v7
	s_delay_alu instid0(VALU_DEP_1) | instskip(NEXT) | instid1(VALU_DEP_1)
	v_div_fixup_f32 v0, v5, v0, -v4
	v_fma_f32 v4, v0, v0, 1.0
	s_delay_alu instid0(VALU_DEP_1) | instskip(SKIP_1) | instid1(VALU_DEP_2)
	v_mul_f32_e32 v5, 0x4f800000, v4
	v_cmp_gt_f32_e32 vcc_lo, 0xf800000, v4
	v_cndmask_b32_e32 v4, v4, v5, vcc_lo
	s_delay_alu instid0(VALU_DEP_1) | instskip(SKIP_1) | instid1(TRANS32_DEP_1)
	v_sqrt_f32_e32 v5, v4
	v_nop
	v_dual_add_nc_u32 v6, -1, v5 :: v_dual_add_nc_u32 v7, 1, v5
	s_delay_alu instid0(VALU_DEP_1) | instskip(NEXT) | instid1(VALU_DEP_1)
	v_fma_f32 v21, -v6, v5, v4
	v_cmp_ge_f32_e64 s3, 0, v21
	s_delay_alu instid0(VALU_DEP_1) | instskip(NEXT) | instid1(VALU_DEP_1)
	v_dual_fma_f32 v22, -v7, v5, v4 :: v_dual_cndmask_b32 v5, v5, v6, s3
	v_cmp_lt_f32_e64 s3, 0, v22
	s_delay_alu instid0(VALU_DEP_1) | instskip(NEXT) | instid1(VALU_DEP_1)
	v_cndmask_b32_e64 v5, v5, v7, s3
	v_mul_f32_e32 v6, 0x37800000, v5
	s_delay_alu instid0(VALU_DEP_1) | instskip(SKIP_1) | instid1(VALU_DEP_2)
	v_cndmask_b32_e32 v5, v5, v6, vcc_lo
	v_cmp_class_f32_e64 vcc_lo, v4, 0x260
	v_cndmask_b32_e32 v4, v5, v4, vcc_lo
	s_delay_alu instid0(VALU_DEP_1) | instskip(NEXT) | instid1(VALU_DEP_1)
	v_div_scale_f32 v5, null, v4, v4, 1.0
	v_rcp_f32_e32 v6, v5
	v_nop
	s_delay_alu instid0(TRANS32_DEP_1) | instskip(NEXT) | instid1(VALU_DEP_1)
	v_fma_f32 v7, -v5, v6, 1.0
	v_fmac_f32_e32 v6, v7, v6
	v_div_scale_f32 v7, vcc_lo, 1.0, v4, 1.0
	s_delay_alu instid0(VALU_DEP_1) | instskip(NEXT) | instid1(VALU_DEP_1)
	v_mul_f32_e32 v21, v7, v6
	v_fma_f32 v22, -v5, v21, v7
	s_delay_alu instid0(VALU_DEP_1) | instskip(NEXT) | instid1(VALU_DEP_1)
	v_fmac_f32_e32 v21, v22, v6
	v_fma_f32 v5, -v5, v21, v7
	s_delay_alu instid0(VALU_DEP_1) | instskip(NEXT) | instid1(VALU_DEP_1)
	v_div_fmas_f32 v5, v5, v6, v21
	v_div_fixup_f32 v5, v5, v4, 1.0
	s_delay_alu instid0(VALU_DEP_1)
	v_mul_f32_e32 v21, v0, v5
	s_branch .LBB14_28
.LBB14_45:                              ;   in Loop: Header=BB14_23 Depth=3
	s_or_b32 exec_lo, exec_lo, s57
	s_wait_dscnt 0x0
	s_barrier_signal -1
	s_barrier_wait -1
	s_and_saveexec_b32 s3, s0
	s_cbranch_execz .LBB14_58
; %bb.46:                               ;   in Loop: Header=BB14_23 Depth=3
	v_dual_mov_b32 v21, v16 :: v_dual_mov_b32 v22, v15
	v_mov_b32_e32 v23, v11
	s_mov_b32 s57, 0
	s_branch .LBB14_48
.LBB14_47:                              ;   in Loop: Header=BB14_48 Depth=4
	s_or_b32 exec_lo, exec_lo, s58
	v_dual_add_nc_u32 v23, s42, v23 :: v_dual_add_nc_u32 v22, s52, v22
	v_add_nc_u32_e32 v21, s52, v21
	s_delay_alu instid0(VALU_DEP_2) | instskip(SKIP_1) | instid1(SALU_CYCLE_1)
	v_cmp_le_u32_e32 vcc_lo, s20, v23
	s_or_b32 s57, vcc_lo, s57
	s_and_not1_b32 exec_lo, exec_lo, s57
	s_cbranch_execz .LBB14_58
.LBB14_48:                              ;   Parent Loop BB14_3 Depth=1
                                        ;     Parent Loop BB14_8 Depth=2
                                        ;       Parent Loop BB14_23 Depth=3
                                        ; =>      This Loop Header: Depth=4
                                        ;           Child Loop BB14_51 Depth 5
	s_and_saveexec_b32 s58, s1
	s_cbranch_execz .LBB14_47
; %bb.49:                               ;   in Loop: Header=BB14_48 Depth=4
	v_dual_add_nc_u32 v2, s20, v23 :: v_dual_add_nc_u32 v0, v23, v18
	v_dual_mov_b32 v5, v1 :: v_dual_add_nc_u32 v4, s55, v23
	v_mul_lo_u32 v24, v23, s28
	s_delay_alu instid0(VALU_DEP_3) | instskip(NEXT) | instid1(VALU_DEP_4)
	v_mul_lo_u32 v25, v2, s28
	v_lshlrev_b64_e32 v[2:3], 2, v[0:1]
	s_delay_alu instid0(VALU_DEP_4)
	v_cmp_gt_u32_e64 s2, s21, v4
	v_lshlrev_b64_e32 v[4:5], 2, v[4:5]
	v_dual_mov_b32 v26, v14 :: v_dual_mov_b32 v0, v20
	s_mov_b32 s59, 0
	s_mov_b32 s60, 0
	s_branch .LBB14_51
.LBB14_50:                              ;   in Loop: Header=BB14_51 Depth=5
	s_wait_xcnt 0x0
	s_or_b32 exec_lo, exec_lo, s61
	s_add_co_i32 s60, s60, s27
	v_add_nc_u32_e32 v26, s53, v26
	v_dual_add_nc_u32 v6, s60, v10 :: v_dual_add_nc_u32 v0, s27, v0
	s_delay_alu instid0(VALU_DEP_1) | instskip(SKIP_1) | instid1(SALU_CYCLE_1)
	v_cmp_le_u32_e32 vcc_lo, s20, v6
	s_or_b32 s59, vcc_lo, s59
	s_and_not1_b32 exec_lo, exec_lo, s59
	s_cbranch_execz .LBB14_47
.LBB14_51:                              ;   Parent Loop BB14_3 Depth=1
                                        ;     Parent Loop BB14_8 Depth=2
                                        ;       Parent Loop BB14_23 Depth=3
                                        ;         Parent Loop BB14_48 Depth=4
                                        ; =>        This Inner Loop Header: Depth=5
	s_delay_alu instid0(VALU_DEP_1) | instskip(SKIP_2) | instid1(VALU_DEP_2)
	v_mul_u64_e32 v[6:7], s[14:15], v[0:1]
	v_add_nc_u32_e32 v8, s60, v10
	s_mov_b32 s61, exec_lo
	v_mul_lo_u32 v6, s20, v7
	v_not_b32_e32 v7, v7
	s_delay_alu instid0(VALU_DEP_1) | instskip(NEXT) | instid1(VALU_DEP_3)
	v_mul_lo_u32 v7, s20, v7
	v_sub_nc_u32_e32 v6, s56, v6
	s_delay_alu instid0(VALU_DEP_1) | instskip(NEXT) | instid1(VALU_DEP_3)
	v_add_nc_u32_e32 v6, v8, v6
	v_add3_u32 v7, s56, v7, v8
	s_delay_alu instid0(VALU_DEP_2) | instskip(NEXT) | instid1(VALU_DEP_2)
	v_cmp_le_u32_e32 vcc_lo, s20, v6
	v_cndmask_b32_e32 v6, v6, v7, vcc_lo
	s_delay_alu instid0(VALU_DEP_1) | instskip(SKIP_1) | instid1(VALU_DEP_2)
	v_subrev_nc_u32_e32 v7, s20, v6
	v_cmp_le_u32_e32 vcc_lo, s20, v6
	v_cndmask_b32_e32 v7, v6, v7, vcc_lo
	v_add_nc_u32_e32 v6, s60, v19
	s_delay_alu instid0(VALU_DEP_2) | instskip(NEXT) | instid1(VALU_DEP_1)
	v_add_nc_u32_e32 v8, s55, v7
	v_max_u32_e32 v9, v6, v8
	s_delay_alu instid0(VALU_DEP_1)
	v_cmpx_gt_u32_e64 s21, v9
	s_cbranch_execz .LBB14_50
; %bb.52:                               ;   in Loop: Header=BB14_51 Depth=5
	v_add_nc_u32_e32 v9, s43, v26
	s_and_not1_b32 vcc_lo, exec_lo, s24
	ds_load_b32 v27, v26
	ds_load_b32 v28, v9
	s_cbranch_vccnz .LBB14_56
; %bb.53:                               ;   in Loop: Header=BB14_51 Depth=5
	v_dual_add_nc_u32 v7, s20, v7 :: v_dual_add_nc_u32 v29, s60, v22
	s_delay_alu instid0(VALU_DEP_1)
	v_add_nc_u32_e32 v9, v7, v24
	s_clause 0x1
	flat_load_b32 v30, v9, s[36:37] scale_offset
	flat_load_b32 v31, v29, s[36:37] scale_offset
	s_wait_loadcnt_dscnt 0x0
	v_dual_mul_f32 v32, v28, v30 :: v_dual_mul_f32 v33, v28, v31
	s_delay_alu instid0(VALU_DEP_1)
	v_dual_fmac_f32 v32, v27, v31 :: v_dual_fma_f32 v30, v27, v30, -v33
	s_clause 0x1
	flat_store_b32 v29, v32, s[36:37] scale_offset
	flat_store_b32 v9, v30, s[36:37] scale_offset
	s_wait_xcnt 0x0
	s_and_saveexec_b32 s62, s2
	s_cbranch_execz .LBB14_55
; %bb.54:                               ;   in Loop: Header=BB14_51 Depth=5
	v_add_nc_u32_e32 v7, v7, v25
	v_add_nc_u32_e32 v9, s60, v21
	s_clause 0x1
	flat_load_b32 v29, v7, s[36:37] scale_offset
	flat_load_b32 v30, v9, s[36:37] scale_offset
	s_wait_loadcnt_dscnt 0x0
	v_dual_mul_f32 v32, v28, v30 :: v_dual_mul_f32 v31, v28, v29
	s_delay_alu instid0(VALU_DEP_1)
	v_dual_fma_f32 v29, v27, v29, -v32 :: v_dual_fmac_f32 v31, v27, v30
	s_clause 0x1
	flat_store_b32 v9, v31, s[36:37] scale_offset
	flat_store_b32 v7, v29, s[36:37] scale_offset
.LBB14_55:                              ;   in Loop: Header=BB14_51 Depth=5
	s_wait_xcnt 0x0
	s_or_b32 exec_lo, exec_lo, s62
.LBB14_56:                              ;   in Loop: Header=BB14_51 Depth=5
	v_dual_mov_b32 v9, v1 :: v_dual_mov_b32 v7, v1
	s_delay_alu instid0(VALU_DEP_1) | instskip(NEXT) | instid1(VALU_DEP_2)
	v_mul_u64_e32 v[8:9], s[18:19], v[8:9]
	v_mul_u64_e32 v[6:7], s[18:19], v[6:7]
	s_delay_alu instid0(VALU_DEP_2) | instskip(NEXT) | instid1(VALU_DEP_2)
	v_lshl_add_u64 v[8:9], v[8:9], 2, s[30:31]
	v_lshl_add_u64 v[6:7], v[6:7], 2, s[30:31]
	s_delay_alu instid0(VALU_DEP_2) | instskip(NEXT) | instid1(VALU_DEP_2)
	v_add_nc_u64_e32 v[30:31], v[8:9], v[2:3]
	v_add_nc_u64_e32 v[32:33], v[6:7], v[2:3]
	s_clause 0x1
	global_load_b32 v29, v[30:31], off
	global_load_b32 v34, v[32:33], off
	s_wait_loadcnt_dscnt 0x0
	v_dual_mul_f32 v35, v28, v29 :: v_dual_mul_f32 v36, v28, v34
	s_delay_alu instid0(VALU_DEP_1)
	v_dual_fmac_f32 v35, v27, v34 :: v_dual_fma_f32 v29, v27, v29, -v36
	s_clause 0x1
	global_store_b32 v[32:33], v35, off
	global_store_b32 v[30:31], v29, off
	s_wait_xcnt 0x0
	s_and_b32 exec_lo, exec_lo, s2
	s_cbranch_execz .LBB14_50
; %bb.57:                               ;   in Loop: Header=BB14_51 Depth=5
	v_add_nc_u64_e32 v[8:9], v[8:9], v[4:5]
	v_add_nc_u64_e32 v[6:7], v[6:7], v[4:5]
	s_clause 0x1
	global_load_b32 v29, v[8:9], off
	global_load_b32 v30, v[6:7], off
	s_wait_loadcnt 0x0
	v_dual_mul_f32 v31, v28, v29 :: v_dual_mul_f32 v28, v28, v30
	s_delay_alu instid0(VALU_DEP_1)
	v_dual_fmac_f32 v31, v27, v30 :: v_dual_fma_f32 v27, v27, v29, -v28
	s_clause 0x1
	global_store_b32 v[6:7], v31, off
	global_store_b32 v[8:9], v27, off
	s_branch .LBB14_50
.LBB14_58:                              ;   in Loop: Header=BB14_23 Depth=3
	s_or_b32 exec_lo, exec_lo, s3
	s_wait_storecnt 0x0
	s_barrier_signal -1
	s_barrier_wait -1
	s_and_saveexec_b32 s3, s0
	s_cbranch_execz .LBB14_67
; %bb.59:                               ;   in Loop: Header=BB14_23 Depth=3
	v_mov_b32_e32 v21, v11
	s_mov_b32 s57, 0
	s_branch .LBB14_61
.LBB14_60:                              ;   in Loop: Header=BB14_61 Depth=4
	s_or_b32 exec_lo, exec_lo, s58
	v_add_nc_u32_e32 v21, s42, v21
	s_delay_alu instid0(VALU_DEP_1) | instskip(SKIP_1) | instid1(SALU_CYCLE_1)
	v_cmp_le_u32_e32 vcc_lo, s20, v21
	s_or_b32 s57, vcc_lo, s57
	s_and_not1_b32 exec_lo, exec_lo, s57
	s_cbranch_execz .LBB14_67
.LBB14_61:                              ;   Parent Loop BB14_3 Depth=1
                                        ;     Parent Loop BB14_8 Depth=2
                                        ;       Parent Loop BB14_23 Depth=3
                                        ; =>      This Loop Header: Depth=4
                                        ;           Child Loop BB14_64 Depth 5
	s_and_saveexec_b32 s58, s1
	s_cbranch_execz .LBB14_60
; %bb.62:                               ;   in Loop: Header=BB14_61 Depth=4
	v_dual_add_nc_u32 v2, s55, v21 :: v_dual_add_nc_u32 v0, v21, v18
	v_dual_mov_b32 v3, v1 :: v_dual_mov_b32 v22, v14
	s_mov_b32 s59, 0
	s_delay_alu instid0(VALU_DEP_2) | instskip(NEXT) | instid1(VALU_DEP_3)
	v_cmp_gt_u32_e32 vcc_lo, s21, v2
	v_mul_u64_e32 v[4:5], s[18:19], v[0:1]
	s_delay_alu instid0(VALU_DEP_3) | instskip(SKIP_1) | instid1(VALU_DEP_2)
	v_mul_u64_e32 v[6:7], s[18:19], v[2:3]
	s_mov_b32 s60, 0
	v_lshl_add_u64 v[2:3], v[4:5], 2, s[30:31]
	s_delay_alu instid0(VALU_DEP_2)
	v_lshl_add_u64 v[4:5], v[6:7], 2, s[30:31]
	v_mov_b32_e32 v6, v20
	s_branch .LBB14_64
.LBB14_63:                              ;   in Loop: Header=BB14_64 Depth=5
	s_wait_xcnt 0x0
	s_or_b32 exec_lo, exec_lo, s61
	s_add_co_i32 s60, s60, s27
	v_add_nc_u32_e32 v6, s27, v6
	v_add_nc_u32_e32 v0, s60, v10
	;; [unrolled: 1-line block ×3, first 2 shown]
	s_delay_alu instid0(VALU_DEP_2) | instskip(SKIP_1) | instid1(SALU_CYCLE_1)
	v_cmp_le_u32_e64 s2, s20, v0
	s_or_b32 s59, s2, s59
	s_and_not1_b32 exec_lo, exec_lo, s59
	s_cbranch_execz .LBB14_60
.LBB14_64:                              ;   Parent Loop BB14_3 Depth=1
                                        ;     Parent Loop BB14_8 Depth=2
                                        ;       Parent Loop BB14_23 Depth=3
                                        ;         Parent Loop BB14_61 Depth=4
                                        ; =>        This Inner Loop Header: Depth=5
	v_mov_b32_e32 v7, v1
	s_mov_b32 s61, exec_lo
	s_delay_alu instid0(VALU_DEP_1) | instskip(SKIP_1) | instid1(VALU_DEP_2)
	v_mul_u64_e32 v[8:9], s[14:15], v[6:7]
	v_add_nc_u32_e32 v8, s60, v10
	v_mul_lo_u32 v0, s20, v9
	v_not_b32_e32 v7, v9
	s_delay_alu instid0(VALU_DEP_1) | instskip(NEXT) | instid1(VALU_DEP_3)
	v_mul_lo_u32 v7, s20, v7
	v_sub_nc_u32_e32 v0, s56, v0
	s_delay_alu instid0(VALU_DEP_1) | instskip(NEXT) | instid1(VALU_DEP_3)
	v_add_nc_u32_e32 v0, v8, v0
	v_add3_u32 v7, s56, v7, v8
	s_delay_alu instid0(VALU_DEP_2) | instskip(NEXT) | instid1(VALU_DEP_1)
	v_cmp_le_u32_e64 s2, s20, v0
	v_cndmask_b32_e64 v0, v0, v7, s2
	s_delay_alu instid0(VALU_DEP_1) | instskip(SKIP_1) | instid1(VALU_DEP_1)
	v_subrev_nc_u32_e32 v7, s20, v0
	v_cmp_le_u32_e64 s2, s20, v0
	v_cndmask_b32_e64 v7, v0, v7, s2
	v_add_nc_u32_e32 v0, s60, v19
	s_delay_alu instid0(VALU_DEP_2) | instskip(NEXT) | instid1(VALU_DEP_1)
	v_add_nc_u32_e32 v8, s55, v7
	v_max_u32_e32 v7, v0, v8
	s_delay_alu instid0(VALU_DEP_1)
	v_cmpx_gt_u32_e64 s21, v7
	s_cbranch_execz .LBB14_63
; %bb.65:                               ;   in Loop: Header=BB14_64 Depth=5
	v_dual_mov_b32 v9, v1 :: v_dual_add_nc_u32 v7, s43, v22
	v_lshl_add_u64 v[26:27], v[0:1], 2, v[2:3]
	s_delay_alu instid0(VALU_DEP_2)
	v_lshl_add_u64 v[24:25], v[8:9], 2, v[2:3]
	s_clause 0x1
	global_load_b32 v28, v[24:25], off
	global_load_b32 v29, v[26:27], off
	ds_load_b32 v23, v7
	ds_load_b32 v7, v22
	s_wait_loadcnt_dscnt 0x1
	v_dual_mul_f32 v30, v23, v28 :: v_dual_mul_f32 v31, v23, v29
	s_wait_dscnt 0x0
	s_delay_alu instid0(VALU_DEP_1)
	v_dual_fmac_f32 v30, v7, v29 :: v_dual_fma_f32 v28, v7, v28, -v31
	s_clause 0x1
	global_store_b32 v[26:27], v30, off
	global_store_b32 v[24:25], v28, off
	s_wait_xcnt 0x0
	s_and_b32 exec_lo, exec_lo, vcc_lo
	s_cbranch_execz .LBB14_63
; %bb.66:                               ;   in Loop: Header=BB14_64 Depth=5
	v_lshl_add_u64 v[8:9], v[8:9], 2, v[4:5]
	v_lshl_add_u64 v[24:25], v[0:1], 2, v[4:5]
	s_clause 0x1
	global_load_b32 v0, v[8:9], off
	global_load_b32 v26, v[24:25], off
	s_wait_loadcnt 0x0
	v_dual_mul_f32 v27, v23, v0 :: v_dual_mul_f32 v23, v23, v26
	s_delay_alu instid0(VALU_DEP_1) | instskip(NEXT) | instid1(VALU_DEP_2)
	v_fmac_f32_e32 v27, v7, v26
	v_fma_f32 v0, v7, v0, -v23
	s_clause 0x1
	global_store_b32 v[24:25], v27, off
	global_store_b32 v[8:9], v0, off
	s_branch .LBB14_63
.LBB14_67:                              ;   in Loop: Header=BB14_23 Depth=3
	s_or_b32 exec_lo, exec_lo, s3
	s_wait_storecnt 0x0
	s_barrier_signal -1
	s_barrier_wait -1
	s_and_saveexec_b32 s3, s0
	s_cbranch_execz .LBB14_22
; %bb.68:                               ;   in Loop: Header=BB14_23 Depth=3
	v_mov_b32_e32 v4, v11
	s_mov_b32 s57, 0
	s_branch .LBB14_70
.LBB14_69:                              ;   in Loop: Header=BB14_70 Depth=4
	s_or_b32 exec_lo, exec_lo, s58
	v_add_nc_u32_e32 v4, s42, v4
	s_delay_alu instid0(VALU_DEP_1) | instskip(SKIP_1) | instid1(SALU_CYCLE_1)
	v_cmp_le_u32_e32 vcc_lo, s20, v4
	s_or_b32 s57, vcc_lo, s57
	s_and_not1_b32 exec_lo, exec_lo, s57
	s_cbranch_execz .LBB14_22
.LBB14_70:                              ;   Parent Loop BB14_3 Depth=1
                                        ;     Parent Loop BB14_8 Depth=2
                                        ;       Parent Loop BB14_23 Depth=3
                                        ; =>      This Loop Header: Depth=4
                                        ;           Child Loop BB14_73 Depth 5
	s_and_saveexec_b32 s58, s1
	s_cbranch_execz .LBB14_69
; %bb.71:                               ;   in Loop: Header=BB14_70 Depth=4
	v_dual_mov_b32 v0, v20 :: v_dual_mov_b32 v5, v10
	s_mov_b32 s59, 0
	v_cmp_eq_u32_e32 vcc_lo, 0, v4
	s_branch .LBB14_73
.LBB14_72:                              ;   in Loop: Header=BB14_73 Depth=5
	s_wait_xcnt 0x0
	s_or_b32 exec_lo, exec_lo, s2
	v_dual_add_nc_u32 v5, s27, v5 :: v_dual_add_nc_u32 v0, s27, v0
	s_delay_alu instid0(VALU_DEP_1) | instskip(SKIP_1) | instid1(SALU_CYCLE_1)
	v_cmp_le_u32_e64 s2, s20, v5
	s_or_b32 s59, s2, s59
	s_and_not1_b32 exec_lo, exec_lo, s59
	s_cbranch_execz .LBB14_69
.LBB14_73:                              ;   Parent Loop BB14_3 Depth=1
                                        ;     Parent Loop BB14_8 Depth=2
                                        ;       Parent Loop BB14_23 Depth=3
                                        ;         Parent Loop BB14_70 Depth=4
                                        ; =>        This Inner Loop Header: Depth=5
	s_delay_alu instid0(VALU_DEP_2) | instskip(SKIP_1) | instid1(VALU_DEP_2)
	v_mul_u64_e32 v[2:3], s[14:15], v[0:1]
	v_add_nc_u32_e32 v2, s56, v5
	v_not_b32_e32 v6, v3
	s_delay_alu instid0(VALU_DEP_2) | instskip(NEXT) | instid1(VALU_DEP_2)
	v_mad_u32 v3, s51, v3, v2
	v_mad_u32 v2, s20, v6, v2
	s_delay_alu instid0(VALU_DEP_2) | instskip(NEXT) | instid1(VALU_DEP_1)
	v_cmp_le_u32_e64 s2, s20, v3
	v_cndmask_b32_e64 v2, v3, v2, s2
	s_delay_alu instid0(VALU_DEP_1) | instskip(SKIP_1) | instid1(VALU_DEP_1)
	v_subrev_nc_u32_e32 v3, s20, v2
	v_cmp_le_u32_e64 s2, s20, v2
	v_cndmask_b32_e64 v2, v2, v3, s2
	s_delay_alu instid0(VALU_DEP_1) | instskip(NEXT) | instid1(VALU_DEP_1)
	v_add_nc_u32_e32 v2, s55, v2
	v_cmp_gt_u32_e64 s2, s21, v2
	s_and_b32 s60, vcc_lo, s2
	s_delay_alu instid0(SALU_CYCLE_1)
	s_and_saveexec_b32 s2, s60
	s_cbranch_execz .LBB14_72
; %bb.74:                               ;   in Loop: Header=BB14_73 Depth=5
	v_dual_mov_b32 v3, v1 :: v_dual_add_nc_u32 v6, v18, v5
	v_mov_b32_e32 v7, v1
	s_delay_alu instid0(VALU_DEP_2) | instskip(NEXT) | instid1(VALU_DEP_2)
	v_mul_u64_e32 v[8:9], s[18:19], v[2:3]
	v_mul_u64_e32 v[22:23], s[18:19], v[6:7]
	s_delay_alu instid0(VALU_DEP_2) | instskip(NEXT) | instid1(VALU_DEP_2)
	v_lshl_add_u64 v[8:9], v[8:9], 2, s[30:31]
	v_lshl_add_u64 v[22:23], v[22:23], 2, s[30:31]
	s_delay_alu instid0(VALU_DEP_2) | instskip(NEXT) | instid1(VALU_DEP_2)
	v_lshl_add_u64 v[6:7], v[6:7], 2, v[8:9]
	v_lshl_add_u64 v[2:3], v[2:3], 2, v[22:23]
	s_clause 0x1
	global_store_b32 v[6:7], v1, off
	global_store_b32 v[2:3], v1, off
	s_branch .LBB14_72
.LBB14_75:                              ;   in Loop: Header=BB14_8 Depth=2
	s_and_b32 s2, s24, s45
	s_delay_alu instid0(SALU_CYCLE_1)
	s_and_b32 vcc_lo, exec_lo, s2
	s_cbranch_vccz .LBB14_7
; %bb.76:                               ;   in Loop: Header=BB14_8 Depth=2
	s_mov_b32 s3, exec_lo
	s_wait_storecnt 0x0
	s_barrier_signal -1
	s_barrier_wait -1
	s_wait_xcnt 0x0
	v_cmpx_lt_u32_e64 v11, v17
	s_cbranch_execz .LBB14_6
; %bb.77:                               ;   in Loop: Header=BB14_8 Depth=2
	v_dual_mov_b32 v0, v13 :: v_dual_mov_b32 v2, v11
	s_mov_b32 s24, 0
	v_cmp_lt_u32_e32 vcc_lo, v10, v17
	s_branch .LBB14_79
.LBB14_78:                              ;   in Loop: Header=BB14_79 Depth=3
	s_or_b32 exec_lo, exec_lo, s55
	v_dual_add_nc_u32 v2, s42, v2 :: v_dual_add_nc_u32 v0, s52, v0
	s_delay_alu instid0(VALU_DEP_1) | instskip(SKIP_1) | instid1(SALU_CYCLE_1)
	v_cmp_ge_u32_e64 s2, v2, v17
	s_or_b32 s24, s2, s24
	s_and_not1_b32 exec_lo, exec_lo, s24
	s_cbranch_execz .LBB14_6
.LBB14_79:                              ;   Parent Loop BB14_3 Depth=1
                                        ;     Parent Loop BB14_8 Depth=2
                                        ; =>    This Loop Header: Depth=3
                                        ;         Child Loop BB14_81 Depth 4
	s_and_saveexec_b32 s55, vcc_lo
	s_cbranch_execz .LBB14_78
; %bb.80:                               ;   in Loop: Header=BB14_79 Depth=3
	v_mov_b32_e32 v3, v10
	s_mov_b32 s56, 0
.LBB14_81:                              ;   Parent Loop BB14_3 Depth=1
                                        ;     Parent Loop BB14_8 Depth=2
                                        ;       Parent Loop BB14_79 Depth=3
                                        ; =>      This Inner Loop Header: Depth=4
	s_delay_alu instid0(VALU_DEP_1)
	v_dual_add_nc_u32 v4, v0, v3 :: v_dual_add_nc_u32 v3, s27, v3
	flat_load_b32 v5, v4, s[36:37] scale_offset
	v_cmp_ge_u32_e64 s2, v3, v17
	s_or_b32 s56, s2, s56
	s_wait_loadcnt_dscnt 0x0
	global_store_b32 v4, v5, s[34:35] scale_offset
	s_wait_xcnt 0x0
	s_and_not1_b32 exec_lo, exec_lo, s56
	s_cbranch_execnz .LBB14_81
	s_branch .LBB14_78
.LBB14_82:
	s_endpgm
	.section	.rodata,"a",@progbits
	.p2align	6, 0x0
	.amdhsa_kernel _ZN9rocsolver6v33100L17syevj_offd_kernelIffPfEEviiT1_iilT0_PT_PiS7_S7_i
		.amdhsa_group_segment_fixed_size 0
		.amdhsa_private_segment_fixed_size 0
		.amdhsa_kernarg_size 336
		.amdhsa_user_sgpr_count 2
		.amdhsa_user_sgpr_dispatch_ptr 0
		.amdhsa_user_sgpr_queue_ptr 0
		.amdhsa_user_sgpr_kernarg_segment_ptr 1
		.amdhsa_user_sgpr_dispatch_id 0
		.amdhsa_user_sgpr_kernarg_preload_length 0
		.amdhsa_user_sgpr_kernarg_preload_offset 0
		.amdhsa_user_sgpr_private_segment_size 0
		.amdhsa_wavefront_size32 1
		.amdhsa_uses_dynamic_stack 0
		.amdhsa_enable_private_segment 0
		.amdhsa_system_sgpr_workgroup_id_x 1
		.amdhsa_system_sgpr_workgroup_id_y 0
		.amdhsa_system_sgpr_workgroup_id_z 1
		.amdhsa_system_sgpr_workgroup_info 0
		.amdhsa_system_vgpr_workitem_id 1
		.amdhsa_next_free_vgpr 37
		.amdhsa_next_free_sgpr 67
		.amdhsa_named_barrier_count 0
		.amdhsa_reserve_vcc 1
		.amdhsa_float_round_mode_32 0
		.amdhsa_float_round_mode_16_64 0
		.amdhsa_float_denorm_mode_32 3
		.amdhsa_float_denorm_mode_16_64 3
		.amdhsa_fp16_overflow 0
		.amdhsa_memory_ordered 1
		.amdhsa_forward_progress 1
		.amdhsa_inst_pref_size 37
		.amdhsa_round_robin_scheduling 0
		.amdhsa_exception_fp_ieee_invalid_op 0
		.amdhsa_exception_fp_denorm_src 0
		.amdhsa_exception_fp_ieee_div_zero 0
		.amdhsa_exception_fp_ieee_overflow 0
		.amdhsa_exception_fp_ieee_underflow 0
		.amdhsa_exception_fp_ieee_inexact 0
		.amdhsa_exception_int_div_zero 0
	.end_amdhsa_kernel
	.section	.text._ZN9rocsolver6v33100L17syevj_offd_kernelIffPfEEviiT1_iilT0_PT_PiS7_S7_i,"axG",@progbits,_ZN9rocsolver6v33100L17syevj_offd_kernelIffPfEEviiT1_iilT0_PT_PiS7_S7_i,comdat
.Lfunc_end14:
	.size	_ZN9rocsolver6v33100L17syevj_offd_kernelIffPfEEviiT1_iilT0_PT_PiS7_S7_i, .Lfunc_end14-_ZN9rocsolver6v33100L17syevj_offd_kernelIffPfEEviiT1_iilT0_PT_PiS7_S7_i
                                        ; -- End function
	.set _ZN9rocsolver6v33100L17syevj_offd_kernelIffPfEEviiT1_iilT0_PT_PiS7_S7_i.num_vgpr, 37
	.set _ZN9rocsolver6v33100L17syevj_offd_kernelIffPfEEviiT1_iilT0_PT_PiS7_S7_i.num_agpr, 0
	.set _ZN9rocsolver6v33100L17syevj_offd_kernelIffPfEEviiT1_iilT0_PT_PiS7_S7_i.numbered_sgpr, 67
	.set _ZN9rocsolver6v33100L17syevj_offd_kernelIffPfEEviiT1_iilT0_PT_PiS7_S7_i.num_named_barrier, 0
	.set _ZN9rocsolver6v33100L17syevj_offd_kernelIffPfEEviiT1_iilT0_PT_PiS7_S7_i.private_seg_size, 0
	.set _ZN9rocsolver6v33100L17syevj_offd_kernelIffPfEEviiT1_iilT0_PT_PiS7_S7_i.uses_vcc, 1
	.set _ZN9rocsolver6v33100L17syevj_offd_kernelIffPfEEviiT1_iilT0_PT_PiS7_S7_i.uses_flat_scratch, 1
	.set _ZN9rocsolver6v33100L17syevj_offd_kernelIffPfEEviiT1_iilT0_PT_PiS7_S7_i.has_dyn_sized_stack, 0
	.set _ZN9rocsolver6v33100L17syevj_offd_kernelIffPfEEviiT1_iilT0_PT_PiS7_S7_i.has_recursion, 0
	.set _ZN9rocsolver6v33100L17syevj_offd_kernelIffPfEEviiT1_iilT0_PT_PiS7_S7_i.has_indirect_call, 0
	.section	.AMDGPU.csdata,"",@progbits
; Kernel info:
; codeLenInByte = 4732
; TotalNumSgprs: 69
; NumVgprs: 37
; ScratchSize: 0
; MemoryBound: 0
; FloatMode: 240
; IeeeMode: 1
; LDSByteSize: 0 bytes/workgroup (compile time only)
; SGPRBlocks: 0
; VGPRBlocks: 2
; NumSGPRsForWavesPerEU: 69
; NumVGPRsForWavesPerEU: 37
; NamedBarCnt: 0
; Occupancy: 16
; WaveLimiterHint : 1
; COMPUTE_PGM_RSRC2:SCRATCH_EN: 0
; COMPUTE_PGM_RSRC2:USER_SGPR: 2
; COMPUTE_PGM_RSRC2:TRAP_HANDLER: 0
; COMPUTE_PGM_RSRC2:TGID_X_EN: 1
; COMPUTE_PGM_RSRC2:TGID_Y_EN: 0
; COMPUTE_PGM_RSRC2:TGID_Z_EN: 1
; COMPUTE_PGM_RSRC2:TIDIG_COMP_CNT: 1
	.section	.text._ZN9rocsolver6v33100L21syevj_offd_rotate_orgILb0EffPfEEvbiiT2_iilPT0_PiS6_S6_,"axG",@progbits,_ZN9rocsolver6v33100L21syevj_offd_rotate_orgILb0EffPfEEvbiiT2_iilPT0_PiS6_S6_,comdat
	.globl	_ZN9rocsolver6v33100L21syevj_offd_rotate_orgILb0EffPfEEvbiiT2_iilPT0_PiS6_S6_ ; -- Begin function _ZN9rocsolver6v33100L21syevj_offd_rotate_orgILb0EffPfEEvbiiT2_iilPT0_PiS6_S6_
	.p2align	8
	.type	_ZN9rocsolver6v33100L21syevj_offd_rotate_orgILb0EffPfEEvbiiT2_iilPT0_PiS6_S6_,@function
_ZN9rocsolver6v33100L21syevj_offd_rotate_orgILb0EffPfEEvbiiT2_iilPT0_PiS6_S6_: ; @_ZN9rocsolver6v33100L21syevj_offd_rotate_orgILb0EffPfEEvbiiT2_iilPT0_PiS6_S6_
; %bb.0:
	s_load_b64 s[4:5], s[0:1], 0x40
	s_bfe_u32 s2, ttmp6, 0x40014
	s_lshr_b32 s3, ttmp7, 16
	s_add_co_i32 s2, s2, 1
	s_bfe_u32 s6, ttmp6, 0x40008
	s_mul_i32 s2, s3, s2
	s_getreg_b32 s18, hwreg(HW_REG_IB_STS2, 6, 4)
	s_add_co_i32 s6, s6, s2
	s_cmp_eq_u32 s18, 0
	s_cselect_b32 s2, s3, s6
	s_wait_kmcnt 0x0
	s_load_b32 s3, s[4:5], s2 offset:0x4 scale_offset
	s_wait_kmcnt 0x0
	s_cmp_lg_u32 s3, 0
	s_mov_b32 s3, 0
	s_cbranch_scc0 .LBB15_2
.LBB15_1:
	s_endpgm
.LBB15_2:
	s_load_b256 s[4:11], s[0:1], 0x20
	s_bfe_u32 s12, ttmp6, 0x4000c
	s_and_b32 s13, ttmp6, 15
	s_add_co_i32 s12, s12, 1
	s_delay_alu instid0(SALU_CYCLE_1) | instskip(NEXT) | instid1(SALU_CYCLE_1)
	s_mul_i32 s12, ttmp9, s12
	s_add_co_i32 s13, s13, s12
	s_cmp_eq_u32 s18, 0
	s_cselect_b32 s16, ttmp9, s13
	s_delay_alu instid0(SALU_CYCLE_1) | instskip(NEXT) | instid1(SALU_CYCLE_1)
	s_ashr_i32 s17, s16, 31
	s_lshl_b64 s[12:13], s[16:17], 2
	s_wait_kmcnt 0x0
	s_add_nc_u64 s[20:21], s[8:9], s[12:13]
	s_add_nc_u64 s[10:11], s[10:11], s[12:13]
	s_load_b32 s8, s[20:21], 0x0
	s_load_b32 s9, s[10:11], 0x0
	s_load_b96 s[12:14], s[0:1], 0x0
	s_wait_kmcnt 0x0
	s_max_i32 s15, s8, s9
	s_delay_alu instid0(SALU_CYCLE_1)
	s_cmp_ge_i32 s15, s13
	s_cbranch_scc1 .LBB15_1
; %bb.3:
	s_bitcmp1_b32 s12, 0
	s_cselect_b32 s10, -1, 0
	s_bfe_u32 s11, ttmp6, 0x40010
	s_and_b32 s12, ttmp7, 0xffff
	s_add_co_i32 s11, s11, 1
	s_bfe_u32 s13, ttmp6, 0x40004
	s_mul_i32 s11, s12, s11
	s_xor_b32 s10, s10, -1
	s_add_co_i32 s13, s13, s11
	s_cmp_eq_u32 s18, 0
	s_cselect_b32 s13, s12, s13
	s_and_b32 vcc_lo, exec_lo, s10
	s_min_i32 s18, s8, s9
	s_cbranch_vccnz .LBB15_5
; %bb.4:
	s_lshr_b32 s8, s13, 1
	s_delay_alu instid0(SALU_CYCLE_1) | instskip(SKIP_3) | instid1(SALU_CYCLE_1)
	s_cmp_lg_u32 s8, s18
	s_cselect_b32 s9, -1, 0
	s_cmp_lg_u32 s8, s15
	s_cselect_b32 s8, -1, 0
	s_and_b32 s10, s9, s8
.LBB15_5:
	s_delay_alu instid0(SALU_CYCLE_1)
	s_and_not1_b32 vcc_lo, exec_lo, s10
	s_cbranch_vccnz .LBB15_1
; %bb.6:
	s_add_nc_u64 s[8:9], s[0:1], 0x48
	v_and_b32_e32 v2, 0x3ff, v0
	s_load_b32 s19, s[8:9], 0xc
	v_bfe_u32 v3, v0, 10, 10
	s_wait_kmcnt 0x0
	s_bfe_u32 s12, s19, 0xf0001
	s_delay_alu instid0(SALU_CYCLE_1) | instskip(SKIP_3) | instid1(SALU_CYCLE_1)
	s_mul_i32 s8, s18, s12
	v_cmp_gt_u32_e32 vcc_lo, s12, v2
	v_mov_b32_e32 v1, s8
	s_mul_i32 s17, s15, s12
	s_sub_co_i32 s8, s17, s12
	s_delay_alu instid0(VALU_DEP_1) | instid1(SALU_CYCLE_1)
	v_cndmask_b32_e32 v1, s8, v1, vcc_lo
	s_lshr_b32 s8, s19, 16
	s_delay_alu instid0(SALU_CYCLE_1) | instskip(SKIP_1) | instid1(VALU_DEP_1)
	s_mul_i32 s13, s13, s8
	s_mov_b32 s8, exec_lo
	v_dual_add_nc_u32 v0, v1, v2 :: v_dual_add_nc_u32 v1, s13, v3
	s_delay_alu instid0(VALU_DEP_1) | instskip(NEXT) | instid1(VALU_DEP_1)
	v_max_i32_e32 v4, v0, v1
	v_cmpx_gt_i32_e64 s14, v4
	s_cbranch_execz .LBB15_1
; %bb.7:
	s_clause 0x1
	s_load_b32 s20, s[0:1], 0x48
	s_load_b128 s[8:11], s[0:1], 0x10
	s_wait_xcnt 0x0
	s_mul_u64 s[0:1], s[4:5], s[2:3]
	v_mov_b32_e32 v4, 0
	s_lshl_b64 s[0:1], s[0:1], 2
	s_lshl_b32 s4, s12, 1
	s_wait_kmcnt 0x0
	s_mul_i32 s2, s20, s2
	s_ashr_i32 s3, s10, 31
	s_add_co_i32 s5, s2, s16
	s_mov_b32 s2, s10
	s_mul_i32 s5, s5, s12
	s_add_nc_u64 s[0:1], s[8:9], s[0:1]
	s_mul_i32 s5, s5, s12
	s_lshl_b64 s[2:3], s[2:3], 2
	s_lshl_b32 s8, s5, 2
	s_add_nc_u64 s[0:1], s[0:1], s[2:3]
	s_ashr_i32 s9, s8, 31
	s_and_b32 s5, 0xffff, s19
	s_lshl_b64 s[2:3], s[8:9], 2
	s_cmp_lt_u32 s5, 2
	s_add_nc_u64 s[2:3], s[6:7], s[2:3]
	s_cbranch_scc1 .LBB15_10
; %bb.8:
	s_mul_i32 s5, s11, s18
	v_dual_mov_b32 v4, 0 :: v_dual_mov_b32 v6, v2
	s_mul_i32 s5, s5, s12
	s_delay_alu instid0(SALU_CYCLE_1)
	v_add3_u32 v5, s13, s5, v3
	s_mov_b32 s5, s12
.LBB15_9:                               ; =>This Inner Loop Header: Depth=1
	global_load_b32 v7, v6, s[2:3] scale_offset
	global_load_b32 v8, v5, s[0:1] scale_offset
	s_wait_xcnt 0x0
	v_dual_add_nc_u32 v5, s11, v5 :: v_dual_add_nc_u32 v6, s4, v6
	s_add_co_i32 s5, s5, -1
	s_delay_alu instid0(SALU_CYCLE_1)
	s_cmp_eq_u32 s5, 0
	s_wait_loadcnt 0x0
	v_fmac_f32_e32 v4, v7, v8
	s_cbranch_scc0 .LBB15_9
.LBB15_10:
	s_sub_co_i32 s5, s14, s17
	s_delay_alu instid0(SALU_CYCLE_1) | instskip(NEXT) | instid1(SALU_CYCLE_1)
	s_min_i32 s5, s5, s12
	s_cmp_lt_i32 s5, 1
	s_cbranch_scc1 .LBB15_13
; %bb.11:
	s_mul_i32 s6, s11, s15
	s_delay_alu instid0(SALU_CYCLE_1)
	s_mul_i32 s6, s6, s12
	s_mul_i32 s12, s12, s12
	v_add3_u32 v3, s13, s6, v3
	v_lshl_add_u32 v2, s12, 1, v2
.LBB15_12:                              ; =>This Inner Loop Header: Depth=1
	global_load_b32 v5, v2, s[2:3] scale_offset
	global_load_b32 v6, v3, s[0:1] scale_offset
	s_wait_xcnt 0x0
	v_dual_add_nc_u32 v3, s11, v3 :: v_dual_add_nc_u32 v2, s4, v2
	s_add_co_i32 s5, s5, -1
	s_delay_alu instid0(SALU_CYCLE_1)
	s_cmp_lg_u32 s5, 0
	s_wait_loadcnt 0x0
	v_fmac_f32_e32 v4, v5, v6
	s_cbranch_scc1 .LBB15_12
.LBB15_13:
	v_mad_u32 v0, v0, s11, v1
	s_barrier_signal -1
	s_barrier_wait -1
	global_store_b32 v0, v4, s[0:1] scale_offset
	s_endpgm
	.section	.rodata,"a",@progbits
	.p2align	6, 0x0
	.amdhsa_kernel _ZN9rocsolver6v33100L21syevj_offd_rotate_orgILb0EffPfEEvbiiT2_iilPT0_PiS6_S6_
		.amdhsa_group_segment_fixed_size 0
		.amdhsa_private_segment_fixed_size 0
		.amdhsa_kernarg_size 328
		.amdhsa_user_sgpr_count 2
		.amdhsa_user_sgpr_dispatch_ptr 0
		.amdhsa_user_sgpr_queue_ptr 0
		.amdhsa_user_sgpr_kernarg_segment_ptr 1
		.amdhsa_user_sgpr_dispatch_id 0
		.amdhsa_user_sgpr_kernarg_preload_length 0
		.amdhsa_user_sgpr_kernarg_preload_offset 0
		.amdhsa_user_sgpr_private_segment_size 0
		.amdhsa_wavefront_size32 1
		.amdhsa_uses_dynamic_stack 0
		.amdhsa_enable_private_segment 0
		.amdhsa_system_sgpr_workgroup_id_x 1
		.amdhsa_system_sgpr_workgroup_id_y 1
		.amdhsa_system_sgpr_workgroup_id_z 1
		.amdhsa_system_sgpr_workgroup_info 0
		.amdhsa_system_vgpr_workitem_id 1
		.amdhsa_next_free_vgpr 9
		.amdhsa_next_free_sgpr 22
		.amdhsa_named_barrier_count 0
		.amdhsa_reserve_vcc 1
		.amdhsa_float_round_mode_32 0
		.amdhsa_float_round_mode_16_64 0
		.amdhsa_float_denorm_mode_32 3
		.amdhsa_float_denorm_mode_16_64 3
		.amdhsa_fp16_overflow 0
		.amdhsa_memory_ordered 1
		.amdhsa_forward_progress 1
		.amdhsa_inst_pref_size 7
		.amdhsa_round_robin_scheduling 0
		.amdhsa_exception_fp_ieee_invalid_op 0
		.amdhsa_exception_fp_denorm_src 0
		.amdhsa_exception_fp_ieee_div_zero 0
		.amdhsa_exception_fp_ieee_overflow 0
		.amdhsa_exception_fp_ieee_underflow 0
		.amdhsa_exception_fp_ieee_inexact 0
		.amdhsa_exception_int_div_zero 0
	.end_amdhsa_kernel
	.section	.text._ZN9rocsolver6v33100L21syevj_offd_rotate_orgILb0EffPfEEvbiiT2_iilPT0_PiS6_S6_,"axG",@progbits,_ZN9rocsolver6v33100L21syevj_offd_rotate_orgILb0EffPfEEvbiiT2_iilPT0_PiS6_S6_,comdat
.Lfunc_end15:
	.size	_ZN9rocsolver6v33100L21syevj_offd_rotate_orgILb0EffPfEEvbiiT2_iilPT0_PiS6_S6_, .Lfunc_end15-_ZN9rocsolver6v33100L21syevj_offd_rotate_orgILb0EffPfEEvbiiT2_iilPT0_PiS6_S6_
                                        ; -- End function
	.set _ZN9rocsolver6v33100L21syevj_offd_rotate_orgILb0EffPfEEvbiiT2_iilPT0_PiS6_S6_.num_vgpr, 9
	.set _ZN9rocsolver6v33100L21syevj_offd_rotate_orgILb0EffPfEEvbiiT2_iilPT0_PiS6_S6_.num_agpr, 0
	.set _ZN9rocsolver6v33100L21syevj_offd_rotate_orgILb0EffPfEEvbiiT2_iilPT0_PiS6_S6_.numbered_sgpr, 22
	.set _ZN9rocsolver6v33100L21syevj_offd_rotate_orgILb0EffPfEEvbiiT2_iilPT0_PiS6_S6_.num_named_barrier, 0
	.set _ZN9rocsolver6v33100L21syevj_offd_rotate_orgILb0EffPfEEvbiiT2_iilPT0_PiS6_S6_.private_seg_size, 0
	.set _ZN9rocsolver6v33100L21syevj_offd_rotate_orgILb0EffPfEEvbiiT2_iilPT0_PiS6_S6_.uses_vcc, 1
	.set _ZN9rocsolver6v33100L21syevj_offd_rotate_orgILb0EffPfEEvbiiT2_iilPT0_PiS6_S6_.uses_flat_scratch, 0
	.set _ZN9rocsolver6v33100L21syevj_offd_rotate_orgILb0EffPfEEvbiiT2_iilPT0_PiS6_S6_.has_dyn_sized_stack, 0
	.set _ZN9rocsolver6v33100L21syevj_offd_rotate_orgILb0EffPfEEvbiiT2_iilPT0_PiS6_S6_.has_recursion, 0
	.set _ZN9rocsolver6v33100L21syevj_offd_rotate_orgILb0EffPfEEvbiiT2_iilPT0_PiS6_S6_.has_indirect_call, 0
	.section	.AMDGPU.csdata,"",@progbits
; Kernel info:
; codeLenInByte = 788
; TotalNumSgprs: 24
; NumVgprs: 9
; ScratchSize: 0
; MemoryBound: 0
; FloatMode: 240
; IeeeMode: 1
; LDSByteSize: 0 bytes/workgroup (compile time only)
; SGPRBlocks: 0
; VGPRBlocks: 0
; NumSGPRsForWavesPerEU: 24
; NumVGPRsForWavesPerEU: 9
; NamedBarCnt: 0
; Occupancy: 16
; WaveLimiterHint : 0
; COMPUTE_PGM_RSRC2:SCRATCH_EN: 0
; COMPUTE_PGM_RSRC2:USER_SGPR: 2
; COMPUTE_PGM_RSRC2:TRAP_HANDLER: 0
; COMPUTE_PGM_RSRC2:TGID_X_EN: 1
; COMPUTE_PGM_RSRC2:TGID_Y_EN: 1
; COMPUTE_PGM_RSRC2:TGID_Z_EN: 1
; COMPUTE_PGM_RSRC2:TIDIG_COMP_CNT: 1
	.section	.text._ZN9rocsolver6v33100L17syevj_offd_rotateILb0EffPfEEvbiiT2_iilPT0_PiS6_S6_i,"axG",@progbits,_ZN9rocsolver6v33100L17syevj_offd_rotateILb0EffPfEEvbiiT2_iilPT0_PiS6_S6_i,comdat
	.globl	_ZN9rocsolver6v33100L17syevj_offd_rotateILb0EffPfEEvbiiT2_iilPT0_PiS6_S6_i ; -- Begin function _ZN9rocsolver6v33100L17syevj_offd_rotateILb0EffPfEEvbiiT2_iilPT0_PiS6_S6_i
	.p2align	8
	.type	_ZN9rocsolver6v33100L17syevj_offd_rotateILb0EffPfEEvbiiT2_iilPT0_PiS6_S6_i,@function
_ZN9rocsolver6v33100L17syevj_offd_rotateILb0EffPfEEvbiiT2_iilPT0_PiS6_S6_i: ; @_ZN9rocsolver6v33100L17syevj_offd_rotateILb0EffPfEEvbiiT2_iilPT0_PiS6_S6_i
; %bb.0:
	s_clause 0x1
	s_load_b96 s[20:22], s[0:1], 0x0
	s_load_b32 s30, s[0:1], 0x48
	s_bfe_u32 s4, ttmp6, 0x40014
	s_lshr_b32 s3, ttmp7, 16
	s_add_co_i32 s4, s4, 1
	s_delay_alu instid0(SALU_CYCLE_1) | instskip(SKIP_3) | instid1(SALU_CYCLE_1)
	s_mul_i32 s6, s3, s4
	s_getreg_b32 s4, hwreg(HW_REG_IB_STS2, 6, 4)
	s_wait_kmcnt 0x0
	s_abs_i32 s5, s21
	s_cvt_f32_u32 s2, s5
	s_delay_alu instid0(SALU_CYCLE_3) | instskip(SKIP_1) | instid1(SALU_CYCLE_1)
	v_rcp_iflag_f32_e32 v1, s2
	s_bfe_u32 s2, ttmp6, 0x40008
	s_add_co_i32 s6, s2, s6
	s_cmp_eq_u32 s4, 0
	s_cselect_b32 s24, s3, s6
	v_nop
	s_delay_alu instid0(TRANS32_DEP_1)
	v_readfirstlane_b32 s2, v1
	s_cmp_ge_u32 s24, s30
	s_mov_b32 s3, 0
	s_cbranch_scc1 .LBB16_35
; %bb.1:
	s_mul_f32 s2, s2, 0x4f7ffffe
	s_add_co_i32 s6, s22, -1
	s_ashr_i32 s8, s21, 31
	s_mov_b32 s7, s3
	s_cvt_u32_f32 s9, s2
	s_sub_co_i32 s2, 0, s5
	s_ashr_i32 s10, s6, 31
	s_clause 0x1
	s_load_b128 s[12:15], s[0:1], 0x50
	s_load_b64 s[26:27], s[0:1], 0x40
	s_mul_i32 s2, s2, s9
	s_load_b128 s[16:19], s[0:1], 0x10
	s_mul_hi_u32 s11, s9, s2
	s_abs_i32 s2, s6
	s_add_co_i32 s6, s9, s11
	s_bitcmp1_b32 s20, 0
	s_mul_u64 s[6:7], s[2:3], s[6:7]
	s_cselect_b32 s6, -1, 0
	s_xor_b32 s8, s10, s8
	v_cndmask_b32_e64 v4, 0, 1, s6
	s_xor_b32 s20, s6, -1
	s_mul_i32 s6, s7, s5
	v_and_b32_e32 v5, 0x3ff, v0
	s_sub_co_i32 s2, s2, s6
	s_add_co_i32 s6, s7, 1
	s_sub_co_i32 s9, s2, s5
	s_cmp_ge_u32 s2, s5
	v_bfe_u32 v6, v0, 10, 10
	s_cselect_b32 s6, s6, s7
	s_cselect_b32 s2, s9, s2
	s_add_co_i32 s7, s6, 1
	s_cmp_ge_u32 s2, s5
	s_mov_b64 s[28:29], src_shared_base
	s_cselect_b32 s2, s7, s6
	s_bfe_u32 s5, ttmp6, 0x40010
	s_xor_b32 s2, s2, s8
	s_bfe_u32 s7, ttmp6, 0x4000c
	s_sub_co_i32 s31, s2, s8
	s_and_b32 s23, ttmp7, 0xffff
	s_add_co_i32 s34, s31, 1
	s_add_co_i32 s5, s5, 1
	s_lshr_b32 s2, s34, 31
	s_add_co_i32 s7, s7, 1
	s_add_co_i32 s2, s34, s2
	s_bfe_u32 s6, ttmp6, 0x40004
	s_and_b32 s2, s2, -2
	s_mul_i32 s5, s23, s5
	s_sub_co_i32 s2, s34, s2
	s_mul_i32 s7, ttmp9, s7
	s_add_co_i32 s2, s2, s34
	s_wait_kmcnt 0x0
	s_lshr_b32 s33, s15, 16
	s_lshr_b32 s8, s2, 31
	s_and_b32 s15, s15, 0xffff
	s_add_co_i32 s2, s2, s8
	s_add_co_i32 s25, s6, s5
	s_ashr_i32 s35, s2, 1
	s_and_b32 s2, ttmp6, 15
	v_mad_u32_u24 v7, v6, s15, v5
	s_add_co_i32 s2, s2, s7
	s_cmp_eq_u32 s4, 0
	s_load_b256 s[4:11], s[0:1], 0x20
	s_cselect_b32 s36, ttmp9, s2
	s_cselect_b32 s37, s23, s25
	s_lshl_b32 s38, s21, 1
	s_mov_b32 s40, s29
	s_wait_xcnt 0x0
	s_mul_i32 s0, s38, s21
	v_dual_lshlrev_b32 v0, 2, v7 :: v_dual_lshlrev_b32 v10, 2, v6
	s_lshl_b32 s1, s0, 2
	s_mul_i32 s0, s0, 3
	s_add_co_i32 s39, s1, 0
	s_cmp_lt_u32 s0, 0x4001
	s_mul_i32 s1, s21, s21
	s_cselect_b32 s41, -1, 0
	s_ashr_i32 s29, s18, 31
	s_lshl_b32 s42, s1, 2
	s_cmp_lt_u32 s36, s35
	s_mul_i32 s0, s31, s21
	s_cselect_b32 s43, -1, 0
	s_sub_co_i32 s44, s22, s0
	s_cmp_lt_u32 s37, s34
	s_mov_b32 s28, s18
	s_cselect_b32 s46, -1, 0
	s_lshl_b32 s1, s1, 3
	v_cmp_gt_u32_e64 s0, s42, v7
	v_add3_u32 v8, 0, s1, v0
	v_lshl_add_u32 v9, v5, 2, 0
	v_mov_b32_e32 v1, 0
	s_mul_i32 s45, s33, s15
	s_ashr_i32 s23, s19, 31
	s_mov_b32 s22, s19
	s_lshl_b64 s[18:19], s[28:29], 2
	s_lshl_b32 s47, s45, 2
	s_add_nc_u64 s[16:17], s[16:17], s[18:19]
	s_lshl_b32 s48, s33, 2
	s_lshl_b32 s49, s15, 2
	s_mul_i32 s50, s37, s21
	s_mul_i32 s51, s13, s21
	s_branch .LBB16_3
.LBB16_2:                               ;   in Loop: Header=BB16_3 Depth=1
	s_add_co_i32 s24, s24, s14
	s_delay_alu instid0(SALU_CYCLE_1)
	s_cmp_ge_u32 s24, s30
	s_cbranch_scc1 .LBB16_35
.LBB16_3:                               ; =>This Loop Header: Depth=1
                                        ;     Child Loop BB16_7 Depth 2
                                        ;       Child Loop BB16_11 Depth 3
                                        ;       Child Loop BB16_17 Depth 3
                                        ;         Child Loop BB16_23 Depth 4
                                        ;           Child Loop BB16_25 Depth 5
                                        ;         Child Loop BB16_29 Depth 4
                                        ;           Child Loop BB16_32 Depth 5
                                        ;             Child Loop BB16_34 Depth 6
	s_load_b32 s1, s[26:27], s24 offset:0x4 scale_offset
	s_wait_kmcnt 0x0
	s_cmp_lg_u32 s1, 0
	s_cbranch_scc1 .LBB16_2
; %bb.4:                                ;   in Loop: Header=BB16_3 Depth=1
	s_and_not1_b32 vcc_lo, exec_lo, s43
	s_cbranch_vccnz .LBB16_2
; %bb.5:                                ;   in Loop: Header=BB16_3 Depth=1
	s_mov_b32 s25, s3
	s_mov_b32 s52, s36
	s_mul_u64 s[18:19], s[4:5], s[24:25]
	s_mul_i32 s25, s24, s35
	s_lshl_b64 s[18:19], s[18:19], 2
	s_delay_alu instid0(SALU_CYCLE_1)
	s_add_nc_u64 s[18:19], s[16:17], s[18:19]
	s_branch .LBB16_7
.LBB16_6:                               ;   in Loop: Header=BB16_7 Depth=2
	s_add_co_i32 s52, s52, s12
	s_delay_alu instid0(SALU_CYCLE_1)
	s_cmp_lt_u32 s52, s35
	s_cbranch_scc0 .LBB16_2
.LBB16_7:                               ;   Parent Loop BB16_3 Depth=1
                                        ; =>  This Loop Header: Depth=2
                                        ;       Child Loop BB16_11 Depth 3
                                        ;       Child Loop BB16_17 Depth 3
                                        ;         Child Loop BB16_23 Depth 4
                                        ;           Child Loop BB16_25 Depth 5
                                        ;         Child Loop BB16_29 Depth 4
                                        ;           Child Loop BB16_32 Depth 5
                                        ;             Child Loop BB16_34 Depth 6
	s_load_b32 s1, s[10:11], s52 offset:0x0 scale_offset
	s_load_b32 s54, s[8:9], s52 offset:0x0 scale_offset
	s_wait_kmcnt 0x0
	s_max_i32 s53, s54, s1
	s_delay_alu instid0(SALU_CYCLE_1)
	s_cmp_gt_i32 s53, s31
	s_cbranch_scc1 .LBB16_6
; %bb.8:                                ;   in Loop: Header=BB16_7 Depth=2
	s_add_co_i32 s2, s52, s25
	s_and_not1_b32 vcc_lo, exec_lo, s41
	s_mul_i32 s2, s42, s2
	s_delay_alu instid0(SALU_CYCLE_1) | instskip(NEXT) | instid1(SALU_CYCLE_1)
	s_lshl_b64 s[28:29], s[2:3], 2
	s_add_nc_u64 s[28:29], s[6:7], s[28:29]
	s_cbranch_vccnz .LBB16_13
; %bb.9:                                ;   in Loop: Header=BB16_7 Depth=2
	s_barrier_signal -1
	s_barrier_wait -1
	s_and_saveexec_b32 s2, s0
	s_cbranch_execz .LBB16_12
; %bb.10:                               ;   in Loop: Header=BB16_7 Depth=2
	v_dual_mov_b32 v0, v8 :: v_dual_mov_b32 v2, v7
	s_mov_b32 s55, 0
.LBB16_11:                              ;   Parent Loop BB16_3 Depth=1
                                        ;     Parent Loop BB16_7 Depth=2
                                        ; =>    This Inner Loop Header: Depth=3
	global_load_b32 v3, v2, s[28:29] scale_offset
	s_wait_xcnt 0x0
	v_add_nc_u32_e32 v2, s45, v2
	s_wait_loadcnt 0x0
	ds_store_b32 v0, v3
	v_add_nc_u32_e32 v0, s47, v0
	v_cmp_le_u32_e32 vcc_lo, s42, v2
	s_or_b32 s55, vcc_lo, s55
	s_delay_alu instid0(SALU_CYCLE_1)
	s_and_not1_b32 exec_lo, exec_lo, s55
	s_cbranch_execnz .LBB16_11
.LBB16_12:                              ;   in Loop: Header=BB16_7 Depth=2
	s_or_b32 exec_lo, exec_lo, s2
	s_wait_dscnt 0x0
	s_barrier_signal -1
	s_barrier_wait -1
.LBB16_13:                              ;   in Loop: Header=BB16_7 Depth=2
	s_and_not1_b32 vcc_lo, exec_lo, s46
	s_cbranch_vccnz .LBB16_6
; %bb.14:                               ;   in Loop: Header=BB16_7 Depth=2
	s_min_i32 s54, s1, s54
	s_mul_i32 s2, s53, s21
	s_cmp_eq_u32 s54, s31
	s_mul_i32 s59, s54, s21
	s_cselect_b32 s55, s44, s21
	s_cmp_eq_u32 s53, s31
	s_mov_b32 s60, s50
	s_cselect_b32 s1, s44, s21
	s_mov_b32 s61, s37
	s_add_co_i32 s56, s55, s1
	s_and_b32 s1, s41, exec_lo
	s_cselect_b32 s29, s40, s29
	s_cselect_b32 s28, s39, s28
	s_sub_co_i32 s57, s2, s55
	v_cmp_gt_u32_e64 s1, s56, v6
	s_cmp_gt_i32 s56, 0
	s_cselect_b32 s58, -1, 0
	s_branch .LBB16_17
.LBB16_15:                              ;   in Loop: Header=BB16_17 Depth=3
	s_or_b32 exec_lo, exec_lo, s63
	s_wait_storecnt 0x0
	s_barrier_signal -1
	s_barrier_wait -1
.LBB16_16:                              ;   in Loop: Header=BB16_17 Depth=3
	s_add_co_i32 s61, s61, s13
	s_add_co_i32 s60, s60, s51
	s_cmp_lt_u32 s61, s34
	s_cbranch_scc0 .LBB16_6
.LBB16_17:                              ;   Parent Loop BB16_3 Depth=1
                                        ;     Parent Loop BB16_7 Depth=2
                                        ; =>    This Loop Header: Depth=3
                                        ;         Child Loop BB16_23 Depth 4
                                        ;           Child Loop BB16_25 Depth 5
                                        ;         Child Loop BB16_29 Depth 4
                                        ;           Child Loop BB16_32 Depth 5
                                        ;             Child Loop BB16_34 Depth 6
	v_cmp_ne_u32_e32 vcc_lo, 1, v4
	s_mov_b32 s2, s20
	s_cbranch_vccz .LBB16_19
; %bb.18:                               ;   in Loop: Header=BB16_17 Depth=3
	s_and_not1_b32 vcc_lo, exec_lo, s2
	s_cbranch_vccnz .LBB16_16
	s_branch .LBB16_20
.LBB16_19:                              ;   in Loop: Header=BB16_17 Depth=3
	s_cmp_lg_u32 s61, s54
	s_cselect_b32 s2, -1, 0
	s_cmp_lg_u32 s61, s53
	s_cselect_b32 s62, -1, 0
	s_delay_alu instid0(SALU_CYCLE_1) | instskip(NEXT) | instid1(SALU_CYCLE_1)
	s_and_b32 s2, s2, s62
	s_and_not1_b32 vcc_lo, exec_lo, s2
	s_cbranch_vccnz .LBB16_16
.LBB16_20:                              ;   in Loop: Header=BB16_17 Depth=3
	s_cmp_eq_u32 s61, s31
	s_cselect_b32 s62, s44, s21
	s_barrier_signal -1
	s_barrier_wait -1
	s_and_saveexec_b32 s63, s1
	s_cbranch_execz .LBB16_26
; %bb.21:                               ;   in Loop: Header=BB16_17 Depth=3
	v_mad_u32 v11, v10, s62, v9
	v_mov_b32_e32 v12, v6
	s_mul_i32 s64, s48, s62
	s_mov_b32 s65, 0
	v_cmp_gt_u32_e32 vcc_lo, s62, v5
	s_branch .LBB16_23
.LBB16_22:                              ;   in Loop: Header=BB16_23 Depth=4
	s_or_b32 exec_lo, exec_lo, s66
	s_delay_alu instid0(VALU_DEP_3) | instskip(NEXT) | instid1(VALU_DEP_1)
	v_dual_add_nc_u32 v12, s33, v12 :: v_dual_add_nc_u32 v11, s64, v11
	v_cmp_le_u32_e64 s2, s56, v12
	s_or_b32 s65, s2, s65
	s_delay_alu instid0(SALU_CYCLE_1)
	s_and_not1_b32 exec_lo, exec_lo, s65
	s_cbranch_execz .LBB16_26
.LBB16_23:                              ;   Parent Loop BB16_3 Depth=1
                                        ;     Parent Loop BB16_7 Depth=2
                                        ;       Parent Loop BB16_17 Depth=3
                                        ; =>      This Loop Header: Depth=4
                                        ;           Child Loop BB16_25 Depth 5
	s_and_saveexec_b32 s66, vcc_lo
	s_cbranch_execz .LBB16_22
; %bb.24:                               ;   in Loop: Header=BB16_23 Depth=4
	s_delay_alu instid0(VALU_DEP_3) | instskip(SKIP_3) | instid1(VALU_DEP_1)
	v_dual_mov_b32 v0, s59 :: v_dual_mov_b32 v13, v11
	v_cmp_gt_u32_e64 s2, s55, v12
	s_mov_b32 s67, 0
	v_dual_mov_b32 v14, v5 :: v_dual_cndmask_b32 v0, s57, v0, s2
	v_add_nc_u32_e32 v0, v12, v0
	s_delay_alu instid0(VALU_DEP_1) | instskip(NEXT) | instid1(VALU_DEP_1)
	v_mul_u64_e32 v[2:3], s[22:23], v[0:1]
	v_lshl_add_u64 v[2:3], v[2:3], 2, s[18:19]
.LBB16_25:                              ;   Parent Loop BB16_3 Depth=1
                                        ;     Parent Loop BB16_7 Depth=2
                                        ;       Parent Loop BB16_17 Depth=3
                                        ;         Parent Loop BB16_23 Depth=4
                                        ; =>        This Inner Loop Header: Depth=5
	s_delay_alu instid0(VALU_DEP_4) | instskip(NEXT) | instid1(VALU_DEP_1)
	v_dual_add_nc_u32 v0, s60, v14 :: v_dual_add_nc_u32 v14, s15, v14
	v_lshl_add_u64 v[16:17], v[0:1], 2, v[2:3]
	s_delay_alu instid0(VALU_DEP_2)
	v_cmp_le_u32_e64 s2, s62, v14
	global_load_b32 v0, v[16:17], off
	s_or_b32 s67, s2, s67
	s_wait_loadcnt 0x0
	ds_store_b32 v13, v0
	v_add_nc_u32_e32 v13, s49, v13
	s_wait_xcnt 0x0
	s_and_not1_b32 exec_lo, exec_lo, s67
	s_cbranch_execnz .LBB16_25
	s_branch .LBB16_22
.LBB16_26:                              ;   in Loop: Header=BB16_17 Depth=3
	s_or_b32 exec_lo, exec_lo, s63
	s_wait_dscnt 0x0
	s_barrier_signal -1
	s_barrier_wait -1
	s_and_saveexec_b32 s63, s1
	s_cbranch_execz .LBB16_15
; %bb.27:                               ;   in Loop: Header=BB16_17 Depth=3
	v_cmp_gt_u32_e64 s2, s62, v5
	v_mov_b32_e32 v11, v6
	s_mul_i32 s64, s61, s21
	s_lshl_b32 s65, s62, 2
	s_mov_b32 s66, 0
	s_branch .LBB16_29
.LBB16_28:                              ;   in Loop: Header=BB16_29 Depth=4
	s_or_b32 exec_lo, exec_lo, s67
	v_add_nc_u32_e32 v11, s33, v11
	s_delay_alu instid0(VALU_DEP_1) | instskip(SKIP_1) | instid1(SALU_CYCLE_1)
	v_cmp_le_u32_e32 vcc_lo, s56, v11
	s_or_b32 s66, vcc_lo, s66
	s_and_not1_b32 exec_lo, exec_lo, s66
	s_cbranch_execz .LBB16_15
.LBB16_29:                              ;   Parent Loop BB16_3 Depth=1
                                        ;     Parent Loop BB16_7 Depth=2
                                        ;       Parent Loop BB16_17 Depth=3
                                        ; =>      This Loop Header: Depth=4
                                        ;           Child Loop BB16_32 Depth 5
                                        ;             Child Loop BB16_34 Depth 6
	s_and_saveexec_b32 s67, s2
	s_cbranch_execz .LBB16_28
; %bb.30:                               ;   in Loop: Header=BB16_29 Depth=4
	v_dual_mov_b32 v0, s59 :: v_dual_mov_b32 v12, v9
	v_cmp_gt_u32_e32 vcc_lo, s55, v11
	s_mov_b32 s68, 0
	s_delay_alu instid0(VALU_DEP_2) | instskip(NEXT) | instid1(VALU_DEP_1)
	v_dual_mov_b32 v13, v5 :: v_dual_cndmask_b32 v0, s57, v0
	v_add_nc_u32_e32 v0, v11, v0
	s_delay_alu instid0(VALU_DEP_1) | instskip(NEXT) | instid1(VALU_DEP_1)
	v_mul_u64_e32 v[2:3], s[22:23], v[0:1]
	v_lshl_add_u64 v[2:3], v[2:3], 2, s[18:19]
	s_branch .LBB16_32
.LBB16_31:                              ;   in Loop: Header=BB16_32 Depth=5
	v_dual_add_nc_u32 v0, s64, v13 :: v_dual_add_nc_u32 v13, s15, v13
	v_add_nc_u32_e32 v12, s49, v12
	s_delay_alu instid0(VALU_DEP_2) | instskip(NEXT) | instid1(VALU_DEP_3)
	v_lshl_add_u64 v[16:17], v[0:1], 2, v[2:3]
	v_cmp_le_u32_e32 vcc_lo, s62, v13
	global_store_b32 v[16:17], v14, off
	s_or_b32 s68, vcc_lo, s68
	s_wait_xcnt 0x0
	s_and_not1_b32 exec_lo, exec_lo, s68
	s_cbranch_execz .LBB16_28
.LBB16_32:                              ;   Parent Loop BB16_3 Depth=1
                                        ;     Parent Loop BB16_7 Depth=2
                                        ;       Parent Loop BB16_17 Depth=3
                                        ;         Parent Loop BB16_29 Depth=4
                                        ; =>        This Loop Header: Depth=5
                                        ;             Child Loop BB16_34 Depth 6
	v_mov_b32_e32 v14, 0
	s_and_not1_b32 vcc_lo, exec_lo, s58
	s_cbranch_vccnz .LBB16_31
; %bb.33:                               ;   in Loop: Header=BB16_32 Depth=5
	v_dual_mov_b32 v0, v11 :: v_dual_mov_b32 v15, v12
	s_mov_b32 s69, s56
.LBB16_34:                              ;   Parent Loop BB16_3 Depth=1
                                        ;     Parent Loop BB16_7 Depth=2
                                        ;       Parent Loop BB16_17 Depth=3
                                        ;         Parent Loop BB16_29 Depth=4
                                        ;           Parent Loop BB16_32 Depth=5
                                        ; =>          This Inner Loop Header: Depth=6
	flat_load_b32 v16, v0, s[28:29] scale_offset
	ds_load_b32 v17, v15
	s_wait_xcnt 0x0
	v_dual_add_nc_u32 v15, s65, v15 :: v_dual_add_nc_u32 v0, s38, v0
	s_add_co_i32 s69, s69, -1
	s_delay_alu instid0(SALU_CYCLE_1)
	s_cmp_eq_u32 s69, 0
	s_wait_loadcnt_dscnt 0x0
	v_fmac_f32_e32 v14, v17, v16
	s_cbranch_scc0 .LBB16_34
	s_branch .LBB16_31
.LBB16_35:
	s_endpgm
	.section	.rodata,"a",@progbits
	.p2align	6, 0x0
	.amdhsa_kernel _ZN9rocsolver6v33100L17syevj_offd_rotateILb0EffPfEEvbiiT2_iilPT0_PiS6_S6_i
		.amdhsa_group_segment_fixed_size 0
		.amdhsa_private_segment_fixed_size 0
		.amdhsa_kernarg_size 336
		.amdhsa_user_sgpr_count 2
		.amdhsa_user_sgpr_dispatch_ptr 0
		.amdhsa_user_sgpr_queue_ptr 0
		.amdhsa_user_sgpr_kernarg_segment_ptr 1
		.amdhsa_user_sgpr_dispatch_id 0
		.amdhsa_user_sgpr_kernarg_preload_length 0
		.amdhsa_user_sgpr_kernarg_preload_offset 0
		.amdhsa_user_sgpr_private_segment_size 0
		.amdhsa_wavefront_size32 1
		.amdhsa_uses_dynamic_stack 0
		.amdhsa_enable_private_segment 0
		.amdhsa_system_sgpr_workgroup_id_x 1
		.amdhsa_system_sgpr_workgroup_id_y 1
		.amdhsa_system_sgpr_workgroup_id_z 1
		.amdhsa_system_sgpr_workgroup_info 0
		.amdhsa_system_vgpr_workitem_id 1
		.amdhsa_next_free_vgpr 18
		.amdhsa_next_free_sgpr 70
		.amdhsa_named_barrier_count 0
		.amdhsa_reserve_vcc 1
		.amdhsa_float_round_mode_32 0
		.amdhsa_float_round_mode_16_64 0
		.amdhsa_float_denorm_mode_32 3
		.amdhsa_float_denorm_mode_16_64 3
		.amdhsa_fp16_overflow 0
		.amdhsa_memory_ordered 1
		.amdhsa_forward_progress 1
		.amdhsa_inst_pref_size 13
		.amdhsa_round_robin_scheduling 0
		.amdhsa_exception_fp_ieee_invalid_op 0
		.amdhsa_exception_fp_denorm_src 0
		.amdhsa_exception_fp_ieee_div_zero 0
		.amdhsa_exception_fp_ieee_overflow 0
		.amdhsa_exception_fp_ieee_underflow 0
		.amdhsa_exception_fp_ieee_inexact 0
		.amdhsa_exception_int_div_zero 0
	.end_amdhsa_kernel
	.section	.text._ZN9rocsolver6v33100L17syevj_offd_rotateILb0EffPfEEvbiiT2_iilPT0_PiS6_S6_i,"axG",@progbits,_ZN9rocsolver6v33100L17syevj_offd_rotateILb0EffPfEEvbiiT2_iilPT0_PiS6_S6_i,comdat
.Lfunc_end16:
	.size	_ZN9rocsolver6v33100L17syevj_offd_rotateILb0EffPfEEvbiiT2_iilPT0_PiS6_S6_i, .Lfunc_end16-_ZN9rocsolver6v33100L17syevj_offd_rotateILb0EffPfEEvbiiT2_iilPT0_PiS6_S6_i
                                        ; -- End function
	.set _ZN9rocsolver6v33100L17syevj_offd_rotateILb0EffPfEEvbiiT2_iilPT0_PiS6_S6_i.num_vgpr, 18
	.set _ZN9rocsolver6v33100L17syevj_offd_rotateILb0EffPfEEvbiiT2_iilPT0_PiS6_S6_i.num_agpr, 0
	.set _ZN9rocsolver6v33100L17syevj_offd_rotateILb0EffPfEEvbiiT2_iilPT0_PiS6_S6_i.numbered_sgpr, 70
	.set _ZN9rocsolver6v33100L17syevj_offd_rotateILb0EffPfEEvbiiT2_iilPT0_PiS6_S6_i.num_named_barrier, 0
	.set _ZN9rocsolver6v33100L17syevj_offd_rotateILb0EffPfEEvbiiT2_iilPT0_PiS6_S6_i.private_seg_size, 0
	.set _ZN9rocsolver6v33100L17syevj_offd_rotateILb0EffPfEEvbiiT2_iilPT0_PiS6_S6_i.uses_vcc, 1
	.set _ZN9rocsolver6v33100L17syevj_offd_rotateILb0EffPfEEvbiiT2_iilPT0_PiS6_S6_i.uses_flat_scratch, 0
	.set _ZN9rocsolver6v33100L17syevj_offd_rotateILb0EffPfEEvbiiT2_iilPT0_PiS6_S6_i.has_dyn_sized_stack, 0
	.set _ZN9rocsolver6v33100L17syevj_offd_rotateILb0EffPfEEvbiiT2_iilPT0_PiS6_S6_i.has_recursion, 0
	.set _ZN9rocsolver6v33100L17syevj_offd_rotateILb0EffPfEEvbiiT2_iilPT0_PiS6_S6_i.has_indirect_call, 0
	.section	.AMDGPU.csdata,"",@progbits
; Kernel info:
; codeLenInByte = 1564
; TotalNumSgprs: 72
; NumVgprs: 18
; ScratchSize: 0
; MemoryBound: 0
; FloatMode: 240
; IeeeMode: 1
; LDSByteSize: 0 bytes/workgroup (compile time only)
; SGPRBlocks: 0
; VGPRBlocks: 1
; NumSGPRsForWavesPerEU: 72
; NumVGPRsForWavesPerEU: 18
; NamedBarCnt: 0
; Occupancy: 16
; WaveLimiterHint : 1
; COMPUTE_PGM_RSRC2:SCRATCH_EN: 0
; COMPUTE_PGM_RSRC2:USER_SGPR: 2
; COMPUTE_PGM_RSRC2:TRAP_HANDLER: 0
; COMPUTE_PGM_RSRC2:TGID_X_EN: 1
; COMPUTE_PGM_RSRC2:TGID_Y_EN: 1
; COMPUTE_PGM_RSRC2:TGID_Z_EN: 1
; COMPUTE_PGM_RSRC2:TIDIG_COMP_CNT: 1
	.section	.text._ZN9rocsolver6v33100L21syevj_offd_rotate_orgILb1EffPfEEvbiiT2_iilPT0_PiS6_S6_,"axG",@progbits,_ZN9rocsolver6v33100L21syevj_offd_rotate_orgILb1EffPfEEvbiiT2_iilPT0_PiS6_S6_,comdat
	.globl	_ZN9rocsolver6v33100L21syevj_offd_rotate_orgILb1EffPfEEvbiiT2_iilPT0_PiS6_S6_ ; -- Begin function _ZN9rocsolver6v33100L21syevj_offd_rotate_orgILb1EffPfEEvbiiT2_iilPT0_PiS6_S6_
	.p2align	8
	.type	_ZN9rocsolver6v33100L21syevj_offd_rotate_orgILb1EffPfEEvbiiT2_iilPT0_PiS6_S6_,@function
_ZN9rocsolver6v33100L21syevj_offd_rotate_orgILb1EffPfEEvbiiT2_iilPT0_PiS6_S6_: ; @_ZN9rocsolver6v33100L21syevj_offd_rotate_orgILb1EffPfEEvbiiT2_iilPT0_PiS6_S6_
; %bb.0:
	s_load_b64 s[4:5], s[0:1], 0x40
	s_bfe_u32 s2, ttmp6, 0x40014
	s_lshr_b32 s3, ttmp7, 16
	s_add_co_i32 s2, s2, 1
	s_bfe_u32 s6, ttmp6, 0x40008
	s_mul_i32 s2, s3, s2
	s_getreg_b32 s15, hwreg(HW_REG_IB_STS2, 6, 4)
	s_add_co_i32 s6, s6, s2
	s_cmp_eq_u32 s15, 0
	s_cselect_b32 s2, s3, s6
	s_wait_kmcnt 0x0
	s_load_b32 s3, s[4:5], s2 offset:0x4 scale_offset
	s_wait_kmcnt 0x0
	s_cmp_lg_u32 s3, 0
	s_mov_b32 s3, 0
	s_cbranch_scc0 .LBB17_2
.LBB17_1:
	s_endpgm
.LBB17_2:
	s_load_b256 s[4:11], s[0:1], 0x20
	s_bfe_u32 s12, ttmp6, 0x4000c
	s_and_b32 s13, ttmp6, 15
	s_add_co_i32 s12, s12, 1
	s_delay_alu instid0(SALU_CYCLE_1) | instskip(NEXT) | instid1(SALU_CYCLE_1)
	s_mul_i32 s12, ttmp9, s12
	s_add_co_i32 s13, s13, s12
	s_cmp_eq_u32 s15, 0
	s_cselect_b32 s16, ttmp9, s13
	s_delay_alu instid0(SALU_CYCLE_1) | instskip(NEXT) | instid1(SALU_CYCLE_1)
	s_ashr_i32 s17, s16, 31
	s_lshl_b64 s[12:13], s[16:17], 2
	s_wait_kmcnt 0x0
	s_add_nc_u64 s[8:9], s[8:9], s[12:13]
	s_add_nc_u64 s[18:19], s[10:11], s[12:13]
	s_load_b32 s10, s[8:9], 0x0
	s_load_b32 s11, s[18:19], 0x0
	s_load_b96 s[12:14], s[0:1], 0x0
	s_wait_kmcnt 0x0
	s_max_i32 s8, s10, s11
	s_delay_alu instid0(SALU_CYCLE_1)
	s_cmp_ge_i32 s8, s13
	s_cbranch_scc1 .LBB17_1
; %bb.3:
	s_bitcmp1_b32 s12, 0
	s_cselect_b32 s9, -1, 0
	s_bfe_u32 s12, ttmp6, 0x40010
	s_and_b32 s13, ttmp7, 0xffff
	s_add_co_i32 s12, s12, 1
	s_bfe_u32 s17, ttmp6, 0x40004
	s_mul_i32 s18, s13, s12
	s_xor_b32 s12, s9, -1
	s_add_co_i32 s17, s17, s18
	s_cmp_eq_u32 s15, 0
	s_cselect_b32 s9, s13, s17
	s_and_b32 vcc_lo, exec_lo, s12
	s_min_i32 s15, s10, s11
	s_cbranch_vccnz .LBB17_5
; %bb.4:
	s_lshr_b32 s10, s9, 1
	s_delay_alu instid0(SALU_CYCLE_1) | instskip(SKIP_3) | instid1(SALU_CYCLE_1)
	s_cmp_lg_u32 s10, s15
	s_cselect_b32 s11, -1, 0
	s_cmp_lg_u32 s10, s8
	s_cselect_b32 s10, -1, 0
	s_and_b32 s12, s11, s10
.LBB17_5:
	s_delay_alu instid0(SALU_CYCLE_1)
	s_and_not1_b32 vcc_lo, exec_lo, s12
	s_cbranch_vccnz .LBB17_1
; %bb.6:
	s_add_nc_u64 s[10:11], s[0:1], 0x48
	v_and_b32_e32 v1, 0x3ff, v0
	s_load_b32 s17, s[10:11], 0xc
	v_bfe_u32 v0, v0, 10, 10
	s_wait_kmcnt 0x0
	s_bfe_u32 s12, s17, 0xf0001
	s_delay_alu instid0(SALU_CYCLE_1)
	s_mul_i32 s15, s15, s12
	v_cmp_gt_u32_e32 vcc_lo, s12, v1
	v_mov_b32_e32 v3, s15
	s_mul_i32 s13, s8, s12
	s_lshr_b32 s8, s17, 16
	s_sub_co_i32 s10, s13, s12
	v_mad_u32 v2, s9, s8, v0
	v_cndmask_b32_e32 v0, s10, v3, vcc_lo
	s_mov_b32 s8, exec_lo
	s_delay_alu instid0(VALU_DEP_1) | instskip(NEXT) | instid1(VALU_DEP_1)
	v_add_nc_u32_e32 v0, v0, v1
	v_max_i32_e32 v3, v0, v2
	s_delay_alu instid0(VALU_DEP_1)
	v_cmpx_gt_i32_e64 s14, v3
	s_cbranch_execz .LBB17_1
; %bb.7:
	s_clause 0x1
	s_load_b32 s18, s[0:1], 0x48
	s_load_b128 s[8:11], s[0:1], 0x10
	s_wait_xcnt 0x0
	s_mul_u64 s[0:1], s[4:5], s[2:3]
	s_lshl_b32 s4, s12, 1
	s_lshl_b64 s[0:1], s[0:1], 2
	s_wait_kmcnt 0x0
	s_mul_i32 s2, s18, s2
	v_mul_lo_u32 v4, v2, s11
	s_add_co_i32 s5, s2, s16
	s_ashr_i32 s3, s10, 31
	s_mul_i32 s5, s5, s12
	s_mov_b32 s2, s10
	s_mul_i32 s5, s5, s12
	s_add_nc_u64 s[0:1], s[8:9], s[0:1]
	s_lshl_b32 s8, s5, 2
	s_lshl_b64 s[2:3], s[2:3], 2
	s_ashr_i32 s9, s8, 31
	s_add_nc_u64 s[0:1], s[0:1], s[2:3]
	s_and_b32 s5, 0xffff, s17
	s_lshl_b64 s[2:3], s[8:9], 2
	s_cmp_gt_u32 s5, 1
	s_add_nc_u64 s[2:3], s[6:7], s[2:3]
	s_cbranch_scc0 .LBB17_11
; %bb.8:
	v_mul_lo_u32 v3, v2, s11
	v_dual_mov_b32 v2, 0 :: v_dual_mov_b32 v6, v1
	s_mov_b32 s5, s12
	s_delay_alu instid0(VALU_DEP_2)
	v_add_nc_u32_e32 v5, s15, v3
.LBB17_9:                               ; =>This Inner Loop Header: Depth=1
	global_load_b32 v7, v6, s[2:3] scale_offset
	global_load_b32 v8, v5, s[0:1] scale_offset
	s_wait_xcnt 0x0
	v_dual_add_nc_u32 v6, s4, v6 :: v_dual_add_nc_u32 v5, 1, v5
	s_add_co_i32 s5, s5, -1
	s_delay_alu instid0(SALU_CYCLE_1)
	s_cmp_eq_u32 s5, 0
	s_wait_loadcnt 0x0
	v_fmac_f32_e32 v2, v7, v8
	s_cbranch_scc0 .LBB17_9
; %bb.10:
	s_mov_b32 s5, 0
	s_branch .LBB17_12
.LBB17_11:
	s_mov_b32 s5, -1
                                        ; implicit-def: $vgpr2
                                        ; implicit-def: $vgpr3
.LBB17_12:
	s_delay_alu instid0(SALU_CYCLE_1)
	s_and_b32 vcc_lo, exec_lo, s5
	s_cbranch_vccz .LBB17_14
; %bb.13:
	v_dual_mov_b32 v2, 0 :: v_dual_mov_b32 v3, v4
.LBB17_14:
	s_sub_co_i32 s5, s14, s13
	s_delay_alu instid0(SALU_CYCLE_1) | instskip(NEXT) | instid1(SALU_CYCLE_1)
	s_min_i32 s5, s5, s12
	s_cmp_lt_i32 s5, 1
	s_cbranch_scc1 .LBB17_17
; %bb.15:
	s_mul_i32 s12, s12, s12
	v_add_nc_u32_e32 v4, s13, v3
	v_lshl_add_u32 v1, s12, 1, v1
.LBB17_16:                              ; =>This Inner Loop Header: Depth=1
	global_load_b32 v5, v1, s[2:3] scale_offset
	global_load_b32 v6, v4, s[0:1] scale_offset
	s_wait_xcnt 0x0
	v_dual_add_nc_u32 v1, s4, v1 :: v_dual_add_nc_u32 v4, 1, v4
	s_add_co_i32 s5, s5, -1
	s_delay_alu instid0(SALU_CYCLE_1)
	s_cmp_lg_u32 s5, 0
	s_wait_loadcnt 0x0
	v_fmac_f32_e32 v2, v5, v6
	s_cbranch_scc1 .LBB17_16
.LBB17_17:
	v_add_nc_u32_e32 v0, v0, v3
	s_barrier_signal -1
	s_barrier_wait -1
	global_store_b32 v0, v2, s[0:1] scale_offset
	s_endpgm
	.section	.rodata,"a",@progbits
	.p2align	6, 0x0
	.amdhsa_kernel _ZN9rocsolver6v33100L21syevj_offd_rotate_orgILb1EffPfEEvbiiT2_iilPT0_PiS6_S6_
		.amdhsa_group_segment_fixed_size 0
		.amdhsa_private_segment_fixed_size 0
		.amdhsa_kernarg_size 328
		.amdhsa_user_sgpr_count 2
		.amdhsa_user_sgpr_dispatch_ptr 0
		.amdhsa_user_sgpr_queue_ptr 0
		.amdhsa_user_sgpr_kernarg_segment_ptr 1
		.amdhsa_user_sgpr_dispatch_id 0
		.amdhsa_user_sgpr_kernarg_preload_length 0
		.amdhsa_user_sgpr_kernarg_preload_offset 0
		.amdhsa_user_sgpr_private_segment_size 0
		.amdhsa_wavefront_size32 1
		.amdhsa_uses_dynamic_stack 0
		.amdhsa_enable_private_segment 0
		.amdhsa_system_sgpr_workgroup_id_x 1
		.amdhsa_system_sgpr_workgroup_id_y 1
		.amdhsa_system_sgpr_workgroup_id_z 1
		.amdhsa_system_sgpr_workgroup_info 0
		.amdhsa_system_vgpr_workitem_id 1
		.amdhsa_next_free_vgpr 9
		.amdhsa_next_free_sgpr 20
		.amdhsa_named_barrier_count 0
		.amdhsa_reserve_vcc 1
		.amdhsa_float_round_mode_32 0
		.amdhsa_float_round_mode_16_64 0
		.amdhsa_float_denorm_mode_32 3
		.amdhsa_float_denorm_mode_16_64 3
		.amdhsa_fp16_overflow 0
		.amdhsa_memory_ordered 1
		.amdhsa_forward_progress 1
		.amdhsa_inst_pref_size 7
		.amdhsa_round_robin_scheduling 0
		.amdhsa_exception_fp_ieee_invalid_op 0
		.amdhsa_exception_fp_denorm_src 0
		.amdhsa_exception_fp_ieee_div_zero 0
		.amdhsa_exception_fp_ieee_overflow 0
		.amdhsa_exception_fp_ieee_underflow 0
		.amdhsa_exception_fp_ieee_inexact 0
		.amdhsa_exception_int_div_zero 0
	.end_amdhsa_kernel
	.section	.text._ZN9rocsolver6v33100L21syevj_offd_rotate_orgILb1EffPfEEvbiiT2_iilPT0_PiS6_S6_,"axG",@progbits,_ZN9rocsolver6v33100L21syevj_offd_rotate_orgILb1EffPfEEvbiiT2_iilPT0_PiS6_S6_,comdat
.Lfunc_end17:
	.size	_ZN9rocsolver6v33100L21syevj_offd_rotate_orgILb1EffPfEEvbiiT2_iilPT0_PiS6_S6_, .Lfunc_end17-_ZN9rocsolver6v33100L21syevj_offd_rotate_orgILb1EffPfEEvbiiT2_iilPT0_PiS6_S6_
                                        ; -- End function
	.set _ZN9rocsolver6v33100L21syevj_offd_rotate_orgILb1EffPfEEvbiiT2_iilPT0_PiS6_S6_.num_vgpr, 9
	.set _ZN9rocsolver6v33100L21syevj_offd_rotate_orgILb1EffPfEEvbiiT2_iilPT0_PiS6_S6_.num_agpr, 0
	.set _ZN9rocsolver6v33100L21syevj_offd_rotate_orgILb1EffPfEEvbiiT2_iilPT0_PiS6_S6_.numbered_sgpr, 20
	.set _ZN9rocsolver6v33100L21syevj_offd_rotate_orgILb1EffPfEEvbiiT2_iilPT0_PiS6_S6_.num_named_barrier, 0
	.set _ZN9rocsolver6v33100L21syevj_offd_rotate_orgILb1EffPfEEvbiiT2_iilPT0_PiS6_S6_.private_seg_size, 0
	.set _ZN9rocsolver6v33100L21syevj_offd_rotate_orgILb1EffPfEEvbiiT2_iilPT0_PiS6_S6_.uses_vcc, 1
	.set _ZN9rocsolver6v33100L21syevj_offd_rotate_orgILb1EffPfEEvbiiT2_iilPT0_PiS6_S6_.uses_flat_scratch, 0
	.set _ZN9rocsolver6v33100L21syevj_offd_rotate_orgILb1EffPfEEvbiiT2_iilPT0_PiS6_S6_.has_dyn_sized_stack, 0
	.set _ZN9rocsolver6v33100L21syevj_offd_rotate_orgILb1EffPfEEvbiiT2_iilPT0_PiS6_S6_.has_recursion, 0
	.set _ZN9rocsolver6v33100L21syevj_offd_rotate_orgILb1EffPfEEvbiiT2_iilPT0_PiS6_S6_.has_indirect_call, 0
	.section	.AMDGPU.csdata,"",@progbits
; Kernel info:
; codeLenInByte = 792
; TotalNumSgprs: 22
; NumVgprs: 9
; ScratchSize: 0
; MemoryBound: 0
; FloatMode: 240
; IeeeMode: 1
; LDSByteSize: 0 bytes/workgroup (compile time only)
; SGPRBlocks: 0
; VGPRBlocks: 0
; NumSGPRsForWavesPerEU: 22
; NumVGPRsForWavesPerEU: 9
; NamedBarCnt: 0
; Occupancy: 16
; WaveLimiterHint : 0
; COMPUTE_PGM_RSRC2:SCRATCH_EN: 0
; COMPUTE_PGM_RSRC2:USER_SGPR: 2
; COMPUTE_PGM_RSRC2:TRAP_HANDLER: 0
; COMPUTE_PGM_RSRC2:TGID_X_EN: 1
; COMPUTE_PGM_RSRC2:TGID_Y_EN: 1
; COMPUTE_PGM_RSRC2:TGID_Z_EN: 1
; COMPUTE_PGM_RSRC2:TIDIG_COMP_CNT: 1
	.section	.text._ZN9rocsolver6v33100L17syevj_offd_rotateILb1EffPfEEvbiiT2_iilPT0_PiS6_S6_i,"axG",@progbits,_ZN9rocsolver6v33100L17syevj_offd_rotateILb1EffPfEEvbiiT2_iilPT0_PiS6_S6_i,comdat
	.globl	_ZN9rocsolver6v33100L17syevj_offd_rotateILb1EffPfEEvbiiT2_iilPT0_PiS6_S6_i ; -- Begin function _ZN9rocsolver6v33100L17syevj_offd_rotateILb1EffPfEEvbiiT2_iilPT0_PiS6_S6_i
	.p2align	8
	.type	_ZN9rocsolver6v33100L17syevj_offd_rotateILb1EffPfEEvbiiT2_iilPT0_PiS6_S6_i,@function
_ZN9rocsolver6v33100L17syevj_offd_rotateILb1EffPfEEvbiiT2_iilPT0_PiS6_S6_i: ; @_ZN9rocsolver6v33100L17syevj_offd_rotateILb1EffPfEEvbiiT2_iilPT0_PiS6_S6_i
; %bb.0:
	s_clause 0x1
	s_load_b96 s[20:22], s[0:1], 0x0
	s_load_b32 s30, s[0:1], 0x48
	s_bfe_u32 s4, ttmp6, 0x40014
	s_lshr_b32 s3, ttmp7, 16
	s_add_co_i32 s4, s4, 1
	s_delay_alu instid0(SALU_CYCLE_1) | instskip(SKIP_3) | instid1(SALU_CYCLE_1)
	s_mul_i32 s6, s3, s4
	s_getreg_b32 s4, hwreg(HW_REG_IB_STS2, 6, 4)
	s_wait_kmcnt 0x0
	s_abs_i32 s5, s21
	s_cvt_f32_u32 s2, s5
	s_delay_alu instid0(SALU_CYCLE_3) | instskip(SKIP_1) | instid1(SALU_CYCLE_1)
	v_rcp_iflag_f32_e32 v1, s2
	s_bfe_u32 s2, ttmp6, 0x40008
	s_add_co_i32 s6, s2, s6
	s_cmp_eq_u32 s4, 0
	s_cselect_b32 s24, s3, s6
	v_nop
	s_delay_alu instid0(TRANS32_DEP_1)
	v_readfirstlane_b32 s2, v1
	s_cmp_ge_u32 s24, s30
	s_mov_b32 s3, 0
	s_cbranch_scc1 .LBB18_35
; %bb.1:
	s_mul_f32 s2, s2, 0x4f7ffffe
	s_add_co_i32 s6, s22, -1
	s_ashr_i32 s8, s21, 31
	s_mov_b32 s7, s3
	s_cvt_u32_f32 s9, s2
	s_sub_co_i32 s2, 0, s5
	s_ashr_i32 s10, s6, 31
	s_clause 0x1
	s_load_b128 s[12:15], s[0:1], 0x50
	s_load_b64 s[26:27], s[0:1], 0x40
	s_mul_i32 s2, s2, s9
	s_load_b128 s[16:19], s[0:1], 0x10
	s_mul_hi_u32 s11, s9, s2
	s_abs_i32 s2, s6
	s_add_co_i32 s6, s9, s11
	s_bitcmp1_b32 s20, 0
	s_mul_u64 s[6:7], s[2:3], s[6:7]
	s_cselect_b32 s6, -1, 0
	s_xor_b32 s8, s10, s8
	v_cndmask_b32_e64 v4, 0, 1, s6
	s_xor_b32 s20, s6, -1
	s_mul_i32 s6, s7, s5
	v_and_b32_e32 v5, 0x3ff, v0
	s_sub_co_i32 s2, s2, s6
	s_add_co_i32 s6, s7, 1
	s_sub_co_i32 s9, s2, s5
	s_cmp_ge_u32 s2, s5
	v_bfe_u32 v6, v0, 10, 10
	s_cselect_b32 s6, s6, s7
	s_cselect_b32 s2, s9, s2
	s_add_co_i32 s7, s6, 1
	s_cmp_ge_u32 s2, s5
	s_mov_b64 s[28:29], src_shared_base
	s_cselect_b32 s2, s7, s6
	s_bfe_u32 s5, ttmp6, 0x40010
	s_xor_b32 s2, s2, s8
	s_bfe_u32 s7, ttmp6, 0x4000c
	s_sub_co_i32 s31, s2, s8
	s_and_b32 s23, ttmp7, 0xffff
	s_add_co_i32 s34, s31, 1
	s_add_co_i32 s5, s5, 1
	s_lshr_b32 s2, s34, 31
	s_add_co_i32 s7, s7, 1
	s_add_co_i32 s2, s34, s2
	s_bfe_u32 s6, ttmp6, 0x40004
	s_and_b32 s2, s2, -2
	s_mul_i32 s5, s23, s5
	s_sub_co_i32 s2, s34, s2
	s_mul_i32 s7, ttmp9, s7
	s_add_co_i32 s2, s2, s34
	s_wait_kmcnt 0x0
	s_lshr_b32 s33, s15, 16
	s_lshr_b32 s8, s2, 31
	s_and_b32 s15, s15, 0xffff
	s_add_co_i32 s2, s2, s8
	s_add_co_i32 s25, s6, s5
	s_ashr_i32 s35, s2, 1
	s_and_b32 s2, ttmp6, 15
	v_mad_u32_u24 v7, v6, s15, v5
	s_add_co_i32 s2, s2, s7
	s_cmp_eq_u32 s4, 0
	s_load_b256 s[4:11], s[0:1], 0x20
	s_cselect_b32 s36, ttmp9, s2
	s_cselect_b32 s37, s23, s25
	s_lshl_b32 s38, s21, 1
	s_mov_b32 s40, s29
	s_wait_xcnt 0x0
	s_mul_i32 s0, s38, s21
	v_dual_lshlrev_b32 v0, 2, v7 :: v_dual_lshlrev_b32 v10, 2, v6
	s_lshl_b32 s1, s0, 2
	s_mul_i32 s0, s0, 3
	s_add_co_i32 s39, s1, 0
	s_cmp_lt_u32 s0, 0x4001
	s_mul_i32 s1, s21, s21
	s_cselect_b32 s41, -1, 0
	s_ashr_i32 s29, s18, 31
	s_lshl_b32 s42, s1, 2
	s_cmp_lt_u32 s36, s35
	s_mul_i32 s0, s31, s21
	s_cselect_b32 s43, -1, 0
	s_sub_co_i32 s44, s22, s0
	s_cmp_lt_u32 s37, s34
	s_mov_b32 s28, s18
	s_cselect_b32 s46, -1, 0
	s_lshl_b32 s1, s1, 3
	v_cmp_gt_u32_e64 s0, s42, v7
	v_add3_u32 v8, 0, s1, v0
	v_lshl_add_u32 v9, v5, 2, 0
	v_mov_b32_e32 v1, 0
	s_mul_i32 s45, s33, s15
	s_ashr_i32 s23, s19, 31
	s_mov_b32 s22, s19
	s_lshl_b64 s[18:19], s[28:29], 2
	s_lshl_b32 s47, s45, 2
	s_add_nc_u64 s[16:17], s[16:17], s[18:19]
	s_lshl_b32 s48, s33, 2
	s_lshl_b32 s49, s15, 2
	s_branch .LBB18_3
.LBB18_2:                               ;   in Loop: Header=BB18_3 Depth=1
	s_add_co_i32 s24, s24, s14
	s_delay_alu instid0(SALU_CYCLE_1)
	s_cmp_ge_u32 s24, s30
	s_cbranch_scc1 .LBB18_35
.LBB18_3:                               ; =>This Loop Header: Depth=1
                                        ;     Child Loop BB18_7 Depth 2
                                        ;       Child Loop BB18_11 Depth 3
                                        ;       Child Loop BB18_17 Depth 3
                                        ;         Child Loop BB18_23 Depth 4
                                        ;           Child Loop BB18_25 Depth 5
                                        ;         Child Loop BB18_29 Depth 4
                                        ;           Child Loop BB18_32 Depth 5
                                        ;             Child Loop BB18_34 Depth 6
	s_load_b32 s1, s[26:27], s24 offset:0x4 scale_offset
	s_wait_kmcnt 0x0
	s_cmp_lg_u32 s1, 0
	s_cbranch_scc1 .LBB18_2
; %bb.4:                                ;   in Loop: Header=BB18_3 Depth=1
	s_and_not1_b32 vcc_lo, exec_lo, s43
	s_cbranch_vccnz .LBB18_2
; %bb.5:                                ;   in Loop: Header=BB18_3 Depth=1
	s_mov_b32 s25, s3
	s_mov_b32 s50, s36
	s_mul_u64 s[18:19], s[4:5], s[24:25]
	s_mul_i32 s25, s24, s35
	s_lshl_b64 s[18:19], s[18:19], 2
	s_delay_alu instid0(SALU_CYCLE_1)
	s_add_nc_u64 s[18:19], s[16:17], s[18:19]
	s_branch .LBB18_7
.LBB18_6:                               ;   in Loop: Header=BB18_7 Depth=2
	s_add_co_i32 s50, s50, s12
	s_delay_alu instid0(SALU_CYCLE_1)
	s_cmp_lt_u32 s50, s35
	s_cbranch_scc0 .LBB18_2
.LBB18_7:                               ;   Parent Loop BB18_3 Depth=1
                                        ; =>  This Loop Header: Depth=2
                                        ;       Child Loop BB18_11 Depth 3
                                        ;       Child Loop BB18_17 Depth 3
                                        ;         Child Loop BB18_23 Depth 4
                                        ;           Child Loop BB18_25 Depth 5
                                        ;         Child Loop BB18_29 Depth 4
                                        ;           Child Loop BB18_32 Depth 5
                                        ;             Child Loop BB18_34 Depth 6
	s_load_b32 s1, s[10:11], s50 offset:0x0 scale_offset
	s_load_b32 s52, s[8:9], s50 offset:0x0 scale_offset
	s_wait_kmcnt 0x0
	s_max_i32 s51, s52, s1
	s_delay_alu instid0(SALU_CYCLE_1)
	s_cmp_gt_i32 s51, s31
	s_cbranch_scc1 .LBB18_6
; %bb.8:                                ;   in Loop: Header=BB18_7 Depth=2
	s_add_co_i32 s2, s50, s25
	s_and_not1_b32 vcc_lo, exec_lo, s41
	s_mul_i32 s2, s42, s2
	s_delay_alu instid0(SALU_CYCLE_1) | instskip(NEXT) | instid1(SALU_CYCLE_1)
	s_lshl_b64 s[28:29], s[2:3], 2
	s_add_nc_u64 s[28:29], s[6:7], s[28:29]
	s_cbranch_vccnz .LBB18_13
; %bb.9:                                ;   in Loop: Header=BB18_7 Depth=2
	s_barrier_signal -1
	s_barrier_wait -1
	s_and_saveexec_b32 s2, s0
	s_cbranch_execz .LBB18_12
; %bb.10:                               ;   in Loop: Header=BB18_7 Depth=2
	v_dual_mov_b32 v0, v8 :: v_dual_mov_b32 v2, v7
	s_mov_b32 s53, 0
.LBB18_11:                              ;   Parent Loop BB18_3 Depth=1
                                        ;     Parent Loop BB18_7 Depth=2
                                        ; =>    This Inner Loop Header: Depth=3
	global_load_b32 v3, v2, s[28:29] scale_offset
	s_wait_xcnt 0x0
	v_add_nc_u32_e32 v2, s45, v2
	s_wait_loadcnt 0x0
	ds_store_b32 v0, v3
	v_add_nc_u32_e32 v0, s47, v0
	v_cmp_le_u32_e32 vcc_lo, s42, v2
	s_or_b32 s53, vcc_lo, s53
	s_delay_alu instid0(SALU_CYCLE_1)
	s_and_not1_b32 exec_lo, exec_lo, s53
	s_cbranch_execnz .LBB18_11
.LBB18_12:                              ;   in Loop: Header=BB18_7 Depth=2
	s_or_b32 exec_lo, exec_lo, s2
	s_wait_dscnt 0x0
	s_barrier_signal -1
	s_barrier_wait -1
.LBB18_13:                              ;   in Loop: Header=BB18_7 Depth=2
	s_and_not1_b32 vcc_lo, exec_lo, s46
	s_cbranch_vccnz .LBB18_6
; %bb.14:                               ;   in Loop: Header=BB18_7 Depth=2
	s_min_i32 s52, s1, s52
	s_mul_i32 s2, s51, s21
	s_cmp_eq_u32 s52, s31
	s_mul_i32 s57, s52, s21
	s_cselect_b32 s53, s44, s21
	s_cmp_eq_u32 s51, s31
	s_mov_b32 s59, s37
	s_cselect_b32 s1, s44, s21
	s_delay_alu instid0(SALU_CYCLE_1)
	s_add_co_i32 s54, s53, s1
	s_and_b32 s1, s41, exec_lo
	v_mul_lo_u32 v0, v10, s54
	s_cselect_b32 s29, s40, s29
	s_cselect_b32 s28, s39, s28
	v_cmp_gt_u32_e64 s1, s54, v5
	s_sub_co_i32 s55, s2, s53
	s_cmp_gt_i32 s54, 0
	s_mul_i32 s58, s48, s54
	s_cselect_b32 s56, -1, 0
	v_dual_add_nc_u32 v11, v9, v0 :: v_dual_add_nc_u32 v12, 0, v0
	s_branch .LBB18_17
.LBB18_15:                              ;   in Loop: Header=BB18_17 Depth=3
	s_or_b32 exec_lo, exec_lo, s2
	s_wait_storecnt 0x0
	s_barrier_signal -1
	s_barrier_wait -1
.LBB18_16:                              ;   in Loop: Header=BB18_17 Depth=3
	s_add_co_i32 s59, s59, s13
	s_delay_alu instid0(SALU_CYCLE_1)
	s_cmp_lt_u32 s59, s34
	s_cbranch_scc0 .LBB18_6
.LBB18_17:                              ;   Parent Loop BB18_3 Depth=1
                                        ;     Parent Loop BB18_7 Depth=2
                                        ; =>    This Loop Header: Depth=3
                                        ;         Child Loop BB18_23 Depth 4
                                        ;           Child Loop BB18_25 Depth 5
                                        ;         Child Loop BB18_29 Depth 4
                                        ;           Child Loop BB18_32 Depth 5
                                        ;             Child Loop BB18_34 Depth 6
	v_cmp_ne_u32_e32 vcc_lo, 1, v4
	s_mov_b32 s2, s20
	s_cbranch_vccz .LBB18_19
; %bb.18:                               ;   in Loop: Header=BB18_17 Depth=3
	s_and_not1_b32 vcc_lo, exec_lo, s2
	s_cbranch_vccnz .LBB18_16
	s_branch .LBB18_20
.LBB18_19:                              ;   in Loop: Header=BB18_17 Depth=3
	s_cmp_lg_u32 s59, s52
	s_cselect_b32 s2, -1, 0
	s_cmp_lg_u32 s59, s51
	s_cselect_b32 s60, -1, 0
	s_delay_alu instid0(SALU_CYCLE_1) | instskip(NEXT) | instid1(SALU_CYCLE_1)
	s_and_b32 s2, s2, s60
	s_and_not1_b32 vcc_lo, exec_lo, s2
	s_cbranch_vccnz .LBB18_16
.LBB18_20:                              ;   in Loop: Header=BB18_17 Depth=3
	s_cmp_eq_u32 s59, s31
	s_mul_i32 s61, s59, s21
	s_cselect_b32 s60, s44, s21
	s_delay_alu instid0(SALU_CYCLE_1)
	v_cmp_gt_u32_e32 vcc_lo, s60, v6
	s_barrier_signal -1
	s_barrier_wait -1
	s_and_saveexec_b32 s62, vcc_lo
	s_cbranch_execz .LBB18_26
; %bb.21:                               ;   in Loop: Header=BB18_17 Depth=3
	v_dual_mov_b32 v13, v11 :: v_dual_mov_b32 v14, v6
	s_mov_b32 s63, 0
	s_branch .LBB18_23
.LBB18_22:                              ;   in Loop: Header=BB18_23 Depth=4
	s_or_b32 exec_lo, exec_lo, s64
	v_dual_add_nc_u32 v14, s33, v14 :: v_dual_add_nc_u32 v13, s58, v13
	s_delay_alu instid0(VALU_DEP_1) | instskip(SKIP_1) | instid1(SALU_CYCLE_1)
	v_cmp_le_u32_e64 s2, s60, v14
	s_or_b32 s63, s2, s63
	s_and_not1_b32 exec_lo, exec_lo, s63
	s_cbranch_execz .LBB18_26
.LBB18_23:                              ;   Parent Loop BB18_3 Depth=1
                                        ;     Parent Loop BB18_7 Depth=2
                                        ;       Parent Loop BB18_17 Depth=3
                                        ; =>      This Loop Header: Depth=4
                                        ;           Child Loop BB18_25 Depth 5
	s_and_saveexec_b32 s64, s1
	s_cbranch_execz .LBB18_22
; %bb.24:                               ;   in Loop: Header=BB18_23 Depth=4
	v_dual_mov_b32 v15, v13 :: v_dual_add_nc_u32 v0, s61, v14
	v_mov_b32_e32 v16, v5
	s_mov_b32 s65, 0
	s_delay_alu instid0(VALU_DEP_2) | instskip(NEXT) | instid1(VALU_DEP_1)
	v_mul_u64_e32 v[2:3], s[22:23], v[0:1]
	v_lshl_add_u64 v[2:3], v[2:3], 2, s[18:19]
.LBB18_25:                              ;   Parent Loop BB18_3 Depth=1
                                        ;     Parent Loop BB18_7 Depth=2
                                        ;       Parent Loop BB18_17 Depth=3
                                        ;         Parent Loop BB18_23 Depth=4
                                        ; =>        This Inner Loop Header: Depth=5
	v_mov_b32_e32 v0, s57
	v_cmp_gt_u32_e64 s2, s53, v16
	s_delay_alu instid0(VALU_DEP_1) | instskip(NEXT) | instid1(VALU_DEP_1)
	v_cndmask_b32_e64 v0, s55, v0, s2
	v_dual_add_nc_u32 v0, v0, v16 :: v_dual_add_nc_u32 v16, s15, v16
	s_delay_alu instid0(VALU_DEP_1) | instskip(NEXT) | instid1(VALU_DEP_2)
	v_lshl_add_u64 v[18:19], v[0:1], 2, v[2:3]
	v_cmp_le_u32_e64 s2, s54, v16
	global_load_b32 v0, v[18:19], off
	s_or_b32 s65, s2, s65
	s_wait_loadcnt 0x0
	ds_store_b32 v15, v0
	v_add_nc_u32_e32 v15, s49, v15
	s_wait_xcnt 0x0
	s_and_not1_b32 exec_lo, exec_lo, s65
	s_cbranch_execnz .LBB18_25
	s_branch .LBB18_22
.LBB18_26:                              ;   in Loop: Header=BB18_17 Depth=3
	s_or_b32 exec_lo, exec_lo, s62
	s_wait_dscnt 0x0
	s_barrier_signal -1
	s_barrier_wait -1
	s_and_saveexec_b32 s2, vcc_lo
	s_cbranch_execz .LBB18_15
; %bb.27:                               ;   in Loop: Header=BB18_17 Depth=3
	v_dual_mov_b32 v13, v12 :: v_dual_mov_b32 v14, v6
	s_mov_b32 s62, 0
	s_branch .LBB18_29
.LBB18_28:                              ;   in Loop: Header=BB18_29 Depth=4
	s_or_b32 exec_lo, exec_lo, s63
	v_dual_add_nc_u32 v14, s33, v14 :: v_dual_add_nc_u32 v13, s58, v13
	s_delay_alu instid0(VALU_DEP_1) | instskip(SKIP_1) | instid1(SALU_CYCLE_1)
	v_cmp_le_u32_e32 vcc_lo, s60, v14
	s_or_b32 s62, vcc_lo, s62
	s_and_not1_b32 exec_lo, exec_lo, s62
	s_cbranch_execz .LBB18_15
.LBB18_29:                              ;   Parent Loop BB18_3 Depth=1
                                        ;     Parent Loop BB18_7 Depth=2
                                        ;       Parent Loop BB18_17 Depth=3
                                        ; =>      This Loop Header: Depth=4
                                        ;           Child Loop BB18_32 Depth 5
                                        ;             Child Loop BB18_34 Depth 6
	s_and_saveexec_b32 s63, s1
	s_cbranch_execz .LBB18_28
; %bb.30:                               ;   in Loop: Header=BB18_29 Depth=4
	v_dual_mov_b32 v15, v5 :: v_dual_add_nc_u32 v0, s61, v14
	s_mov_b32 s64, 0
	s_delay_alu instid0(VALU_DEP_1) | instskip(NEXT) | instid1(VALU_DEP_1)
	v_mul_u64_e32 v[2:3], s[22:23], v[0:1]
	v_lshl_add_u64 v[2:3], v[2:3], 2, s[18:19]
	s_branch .LBB18_32
.LBB18_31:                              ;   in Loop: Header=BB18_32 Depth=5
	v_mov_b32_e32 v0, s57
	v_cmp_gt_u32_e32 vcc_lo, s53, v15
	s_delay_alu instid0(VALU_DEP_2) | instskip(NEXT) | instid1(VALU_DEP_1)
	v_cndmask_b32_e32 v0, s55, v0, vcc_lo
	v_dual_add_nc_u32 v0, v15, v0 :: v_dual_add_nc_u32 v15, s15, v15
	s_delay_alu instid0(VALU_DEP_1) | instskip(NEXT) | instid1(VALU_DEP_2)
	v_lshl_add_u64 v[18:19], v[0:1], 2, v[2:3]
	v_cmp_le_u32_e32 vcc_lo, s54, v15
	global_store_b32 v[18:19], v16, off
	s_or_b32 s64, vcc_lo, s64
	s_wait_xcnt 0x0
	s_and_not1_b32 exec_lo, exec_lo, s64
	s_cbranch_execz .LBB18_28
.LBB18_32:                              ;   Parent Loop BB18_3 Depth=1
                                        ;     Parent Loop BB18_7 Depth=2
                                        ;       Parent Loop BB18_17 Depth=3
                                        ;         Parent Loop BB18_29 Depth=4
                                        ; =>        This Loop Header: Depth=5
                                        ;             Child Loop BB18_34 Depth 6
	v_mov_b32_e32 v16, 0
	s_and_not1_b32 vcc_lo, exec_lo, s56
	s_cbranch_vccnz .LBB18_31
; %bb.33:                               ;   in Loop: Header=BB18_32 Depth=5
	v_dual_mov_b32 v0, v15 :: v_dual_mov_b32 v17, v13
	s_mov_b32 s65, s54
.LBB18_34:                              ;   Parent Loop BB18_3 Depth=1
                                        ;     Parent Loop BB18_7 Depth=2
                                        ;       Parent Loop BB18_17 Depth=3
                                        ;         Parent Loop BB18_29 Depth=4
                                        ;           Parent Loop BB18_32 Depth=5
                                        ; =>          This Inner Loop Header: Depth=6
	flat_load_b32 v18, v0, s[28:29] scale_offset
	ds_load_b32 v19, v17
	s_wait_xcnt 0x0
	v_dual_add_nc_u32 v17, 4, v17 :: v_dual_add_nc_u32 v0, s38, v0
	s_add_co_i32 s65, s65, -1
	s_delay_alu instid0(SALU_CYCLE_1)
	s_cmp_eq_u32 s65, 0
	s_wait_loadcnt_dscnt 0x0
	v_fmac_f32_e32 v16, v18, v19
	s_cbranch_scc0 .LBB18_34
	s_branch .LBB18_31
.LBB18_35:
	s_endpgm
	.section	.rodata,"a",@progbits
	.p2align	6, 0x0
	.amdhsa_kernel _ZN9rocsolver6v33100L17syevj_offd_rotateILb1EffPfEEvbiiT2_iilPT0_PiS6_S6_i
		.amdhsa_group_segment_fixed_size 0
		.amdhsa_private_segment_fixed_size 0
		.amdhsa_kernarg_size 336
		.amdhsa_user_sgpr_count 2
		.amdhsa_user_sgpr_dispatch_ptr 0
		.amdhsa_user_sgpr_queue_ptr 0
		.amdhsa_user_sgpr_kernarg_segment_ptr 1
		.amdhsa_user_sgpr_dispatch_id 0
		.amdhsa_user_sgpr_kernarg_preload_length 0
		.amdhsa_user_sgpr_kernarg_preload_offset 0
		.amdhsa_user_sgpr_private_segment_size 0
		.amdhsa_wavefront_size32 1
		.amdhsa_uses_dynamic_stack 0
		.amdhsa_enable_private_segment 0
		.amdhsa_system_sgpr_workgroup_id_x 1
		.amdhsa_system_sgpr_workgroup_id_y 1
		.amdhsa_system_sgpr_workgroup_id_z 1
		.amdhsa_system_sgpr_workgroup_info 0
		.amdhsa_system_vgpr_workitem_id 1
		.amdhsa_next_free_vgpr 20
		.amdhsa_next_free_sgpr 66
		.amdhsa_named_barrier_count 0
		.amdhsa_reserve_vcc 1
		.amdhsa_float_round_mode_32 0
		.amdhsa_float_round_mode_16_64 0
		.amdhsa_float_denorm_mode_32 3
		.amdhsa_float_denorm_mode_16_64 3
		.amdhsa_fp16_overflow 0
		.amdhsa_memory_ordered 1
		.amdhsa_forward_progress 1
		.amdhsa_inst_pref_size 13
		.amdhsa_round_robin_scheduling 0
		.amdhsa_exception_fp_ieee_invalid_op 0
		.amdhsa_exception_fp_denorm_src 0
		.amdhsa_exception_fp_ieee_div_zero 0
		.amdhsa_exception_fp_ieee_overflow 0
		.amdhsa_exception_fp_ieee_underflow 0
		.amdhsa_exception_fp_ieee_inexact 0
		.amdhsa_exception_int_div_zero 0
	.end_amdhsa_kernel
	.section	.text._ZN9rocsolver6v33100L17syevj_offd_rotateILb1EffPfEEvbiiT2_iilPT0_PiS6_S6_i,"axG",@progbits,_ZN9rocsolver6v33100L17syevj_offd_rotateILb1EffPfEEvbiiT2_iilPT0_PiS6_S6_i,comdat
.Lfunc_end18:
	.size	_ZN9rocsolver6v33100L17syevj_offd_rotateILb1EffPfEEvbiiT2_iilPT0_PiS6_S6_i, .Lfunc_end18-_ZN9rocsolver6v33100L17syevj_offd_rotateILb1EffPfEEvbiiT2_iilPT0_PiS6_S6_i
                                        ; -- End function
	.set _ZN9rocsolver6v33100L17syevj_offd_rotateILb1EffPfEEvbiiT2_iilPT0_PiS6_S6_i.num_vgpr, 20
	.set _ZN9rocsolver6v33100L17syevj_offd_rotateILb1EffPfEEvbiiT2_iilPT0_PiS6_S6_i.num_agpr, 0
	.set _ZN9rocsolver6v33100L17syevj_offd_rotateILb1EffPfEEvbiiT2_iilPT0_PiS6_S6_i.numbered_sgpr, 66
	.set _ZN9rocsolver6v33100L17syevj_offd_rotateILb1EffPfEEvbiiT2_iilPT0_PiS6_S6_i.num_named_barrier, 0
	.set _ZN9rocsolver6v33100L17syevj_offd_rotateILb1EffPfEEvbiiT2_iilPT0_PiS6_S6_i.private_seg_size, 0
	.set _ZN9rocsolver6v33100L17syevj_offd_rotateILb1EffPfEEvbiiT2_iilPT0_PiS6_S6_i.uses_vcc, 1
	.set _ZN9rocsolver6v33100L17syevj_offd_rotateILb1EffPfEEvbiiT2_iilPT0_PiS6_S6_i.uses_flat_scratch, 0
	.set _ZN9rocsolver6v33100L17syevj_offd_rotateILb1EffPfEEvbiiT2_iilPT0_PiS6_S6_i.has_dyn_sized_stack, 0
	.set _ZN9rocsolver6v33100L17syevj_offd_rotateILb1EffPfEEvbiiT2_iilPT0_PiS6_S6_i.has_recursion, 0
	.set _ZN9rocsolver6v33100L17syevj_offd_rotateILb1EffPfEEvbiiT2_iilPT0_PiS6_S6_i.has_indirect_call, 0
	.section	.AMDGPU.csdata,"",@progbits
; Kernel info:
; codeLenInByte = 1556
; TotalNumSgprs: 68
; NumVgprs: 20
; ScratchSize: 0
; MemoryBound: 0
; FloatMode: 240
; IeeeMode: 1
; LDSByteSize: 0 bytes/workgroup (compile time only)
; SGPRBlocks: 0
; VGPRBlocks: 1
; NumSGPRsForWavesPerEU: 68
; NumVGPRsForWavesPerEU: 20
; NamedBarCnt: 0
; Occupancy: 16
; WaveLimiterHint : 1
; COMPUTE_PGM_RSRC2:SCRATCH_EN: 0
; COMPUTE_PGM_RSRC2:USER_SGPR: 2
; COMPUTE_PGM_RSRC2:TRAP_HANDLER: 0
; COMPUTE_PGM_RSRC2:TGID_X_EN: 1
; COMPUTE_PGM_RSRC2:TGID_Y_EN: 1
; COMPUTE_PGM_RSRC2:TGID_Z_EN: 1
; COMPUTE_PGM_RSRC2:TIDIG_COMP_CNT: 1
	.section	.text._ZN9rocsolver6v33100L17syevj_cycle_pairsIfEEviPiS2_,"axG",@progbits,_ZN9rocsolver6v33100L17syevj_cycle_pairsIfEEviPiS2_,comdat
	.globl	_ZN9rocsolver6v33100L17syevj_cycle_pairsIfEEviPiS2_ ; -- Begin function _ZN9rocsolver6v33100L17syevj_cycle_pairsIfEEviPiS2_
	.p2align	8
	.type	_ZN9rocsolver6v33100L17syevj_cycle_pairsIfEEviPiS2_,@function
_ZN9rocsolver6v33100L17syevj_cycle_pairsIfEEviPiS2_: ; @_ZN9rocsolver6v33100L17syevj_cycle_pairsIfEEviPiS2_
; %bb.0:
	s_clause 0x2
	s_load_b32 s8, s[0:1], 0x0
	s_load_b128 s[4:7], s[0:1], 0x8
	s_load_b32 s2, s[0:1], 0x24
	s_mov_b32 s3, -1
	s_wait_xcnt 0x0
	s_mov_b32 s1, exec_lo
	s_wait_kmcnt 0x0
	s_add_co_i32 s0, s8, -1
	v_cmpx_eq_u32_e32 0, v0
	s_cbranch_execz .LBB19_6
; %bb.1:
	s_lshl_b32 s9, s0, 1
	s_bfe_i32 s11, s0, 0x1001e
	s_or_b32 s10, s9, 1
	s_delay_alu instid0(SALU_CYCLE_1) | instskip(NEXT) | instid1(SALU_CYCLE_1)
	s_add_co_i32 s12, s10, s11
	s_xor_b32 s11, s12, s11
	s_delay_alu instid0(SALU_CYCLE_1) | instskip(SKIP_1) | instid1(SALU_CYCLE_2)
	s_cvt_f32_u32 s12, s11
	s_sub_co_i32 s14, 0, s11
	v_rcp_iflag_f32_e32 v1, s12
	s_load_b32 s12, s[6:7], 0x0
	v_nop
	s_delay_alu instid0(TRANS32_DEP_1) | instskip(SKIP_1) | instid1(SALU_CYCLE_3)
	v_readfirstlane_b32 s13, v1
	s_mul_f32 s13, s13, 0x4f7ffffe
	s_cvt_u32_f32 s13, s13
	s_delay_alu instid0(SALU_CYCLE_3)
	s_mul_i32 s14, s14, s13
	s_wait_kmcnt 0x0
	s_add_co_i32 s12, s12, -1
	s_mul_hi_u32 s14, s13, s14
	s_abs_i32 s15, s12
	s_add_co_i32 s13, s13, s14
	s_ashr_i32 s12, s12, 31
	s_mul_hi_u32 s13, s15, s13
	s_delay_alu instid0(SALU_CYCLE_1) | instskip(NEXT) | instid1(SALU_CYCLE_1)
	s_mul_i32 s13, s13, s11
	s_sub_co_i32 s13, s15, s13
	s_delay_alu instid0(SALU_CYCLE_1) | instskip(SKIP_2) | instid1(SALU_CYCLE_1)
	s_sub_co_i32 s14, s13, s11
	s_cmp_ge_u32 s13, s11
	s_cselect_b32 s13, s14, s13
	s_sub_co_i32 s14, s13, s11
	s_cmp_ge_u32 s13, s11
	s_cselect_b32 s11, s14, s13
	s_delay_alu instid0(SALU_CYCLE_1) | instskip(NEXT) | instid1(SALU_CYCLE_1)
	s_xor_b32 s11, s11, s12
	s_sub_co_i32 s11, s11, s12
                                        ; implicit-def: $sgpr12
	s_delay_alu instid0(SALU_CYCLE_1)
	s_bitcmp0_b32 s11, 0
	s_cbranch_scc1 .LBB19_3
; %bb.2:
	s_add_co_i32 s3, s11, 3
	s_delay_alu instid0(SALU_CYCLE_1)
	s_cmp_gt_i32 s3, s9
	s_cselect_b32 s12, s10, s3
	s_mov_b32 s3, 0
.LBB19_3:
	s_delay_alu instid0(SALU_CYCLE_1)
	s_and_not1_b32 vcc_lo, exec_lo, s3
	s_cbranch_vccnz .LBB19_5
; %bb.4:
	s_add_co_i32 s3, s11, -1
	s_cmp_gt_i32 s11, 1
	s_cselect_b32 s12, s3, 2
.LBB19_5:
	s_delay_alu instid0(SALU_CYCLE_1)
	v_dual_mov_b32 v1, 0 :: v_dual_mov_b32 v2, s12
	global_store_b32 v1, v2, s[6:7]
.LBB19_6:
	s_wait_xcnt 0x0
	s_or_b32 exec_lo, exec_lo, s1
	v_add_nc_u32_e32 v8, 1, v0
	s_mov_b32 s1, exec_lo
	s_delay_alu instid0(VALU_DEP_1)
	v_cmpx_gt_i32_e64 s8, v8
	s_cbranch_execz .LBB19_17
; %bb.7:
	s_lshl_b32 s9, s0, 1
	v_lshlrev_b32_e32 v0, 2, v0
	s_or_b32 s10, s9, 1
	s_and_b32 s11, 0xffff, s2
	s_cvt_f32_u32 s0, s10
	s_sub_co_i32 s2, 0, s10
	s_mov_b32 s1, 0
	s_delay_alu instid0(SALU_CYCLE_1) | instskip(SKIP_1) | instid1(TRANS32_DEP_1)
	v_rcp_iflag_f32_e32 v1, s0
	v_nop
	v_readfirstlane_b32 s0, v1
	v_mov_b32_e32 v1, 0
	s_mul_f32 s0, s0, 0x4f7ffffe
	s_delay_alu instid0(VALU_DEP_1) | instskip(NEXT) | instid1(SALU_CYCLE_2)
	v_add_nc_u64_e32 v[2:3], 4, v[0:1]
	s_cvt_u32_f32 s0, s0
	s_delay_alu instid0(SALU_CYCLE_3)
	s_mul_i32 s3, s2, s0
	s_lshl_b32 s2, s11, 2
	s_mul_hi_u32 s12, s0, s3
	s_mov_b32 s3, s1
	s_add_co_i32 s0, s0, s12
	s_mov_b32 s12, s1
	s_branch .LBB19_9
.LBB19_8:                               ;   in Loop: Header=BB19_9 Depth=1
	s_or_b32 exec_lo, exec_lo, s13
	v_add_nc_u32_e32 v8, s11, v8
	v_add_nc_u64_e32 v[2:3], s[2:3], v[2:3]
	global_store_b32 v[4:5], v0, off
	v_cmp_le_i32_e32 vcc_lo, s8, v8
	s_or_b32 s12, vcc_lo, s12
	s_wait_xcnt 0x0
	s_and_not1_b32 exec_lo, exec_lo, s12
	s_cbranch_execz .LBB19_17
.LBB19_9:                               ; =>This Inner Loop Header: Depth=1
	v_add_nc_u64_e32 v[6:7], s[4:5], v[2:3]
	global_load_b32 v0, v[6:7], off
	s_wait_loadcnt 0x0
	v_add_nc_u32_e32 v9, -1, v0
	s_delay_alu instid0(VALU_DEP_1) | instskip(NEXT) | instid1(VALU_DEP_1)
	v_sub_nc_u32_e32 v0, 0, v9
	v_max_i32_e32 v0, v9, v0
	s_delay_alu instid0(VALU_DEP_1) | instskip(NEXT) | instid1(VALU_DEP_1)
	v_mul_u64_e32 v[4:5], s[0:1], v[0:1]
	v_mul_lo_u32 v4, v5, s10
	s_delay_alu instid0(VALU_DEP_1) | instskip(NEXT) | instid1(VALU_DEP_1)
	v_dual_ashrrev_i32 v5, 31, v9 :: v_dual_sub_nc_u32 v0, v0, v4
	v_subrev_nc_u32_e32 v4, s10, v0
	v_cmp_le_u32_e32 vcc_lo, s10, v0
	s_delay_alu instid0(VALU_DEP_2) | instskip(NEXT) | instid1(VALU_DEP_1)
	v_cndmask_b32_e32 v0, v0, v4, vcc_lo
	v_subrev_nc_u32_e32 v4, s10, v0
	v_cmp_le_u32_e32 vcc_lo, s10, v0
	s_delay_alu instid0(VALU_DEP_2) | instskip(NEXT) | instid1(VALU_DEP_1)
	v_cndmask_b32_e32 v0, v0, v4, vcc_lo
	v_xor_b32_e32 v0, v0, v5
	s_delay_alu instid0(VALU_DEP_1) | instskip(NEXT) | instid1(VALU_DEP_1)
	v_sub_nc_u32_e32 v4, v0, v5
	v_and_b32_e32 v0, 1, v4
	s_delay_alu instid0(VALU_DEP_1) | instskip(SKIP_2) | instid1(SALU_CYCLE_1)
	v_cmp_eq_u32_e32 vcc_lo, 1, v0
                                        ; implicit-def: $vgpr0
	s_wait_xcnt 0x0
	s_and_saveexec_b32 s13, vcc_lo
	s_xor_b32 s13, exec_lo, s13
; %bb.10:                               ;   in Loop: Header=BB19_9 Depth=1
	v_add_nc_u32_e32 v0, 3, v4
                                        ; implicit-def: $vgpr4
	s_delay_alu instid0(VALU_DEP_1)
	v_cmp_lt_i32_e32 vcc_lo, s9, v0
	v_cndmask_b32_e64 v0, v0, s10, vcc_lo
; %bb.11:                               ;   in Loop: Header=BB19_9 Depth=1
	s_and_not1_saveexec_b32 s13, s13
; %bb.12:                               ;   in Loop: Header=BB19_9 Depth=1
	v_add_nc_u32_e32 v0, -1, v4
	v_cmp_lt_i32_e32 vcc_lo, 1, v4
	s_delay_alu instid0(VALU_DEP_2)
	v_cndmask_b32_e32 v0, 2, v0, vcc_lo
; %bb.13:                               ;   in Loop: Header=BB19_9 Depth=1
	s_or_b32 exec_lo, exec_lo, s13
	v_add_nc_u64_e32 v[4:5], s[6:7], v[2:3]
	global_store_b32 v[6:7], v0, off
	global_load_b32 v0, v[4:5], off
	s_wait_loadcnt 0x0
	v_add_nc_u32_e32 v9, -1, v0
	s_delay_alu instid0(VALU_DEP_1) | instskip(NEXT) | instid1(VALU_DEP_1)
	v_sub_nc_u32_e32 v0, 0, v9
	v_max_i32_e32 v0, v9, v0
	s_delay_alu instid0(VALU_DEP_1) | instskip(NEXT) | instid1(VALU_DEP_1)
	v_mul_u64_e32 v[6:7], s[0:1], v[0:1]
	v_mul_lo_u32 v6, v7, s10
	s_delay_alu instid0(VALU_DEP_1) | instskip(NEXT) | instid1(VALU_DEP_1)
	v_dual_sub_nc_u32 v0, v0, v6 :: v_dual_ashrrev_i32 v7, 31, v9
	v_subrev_nc_u32_e32 v6, s10, v0
	v_cmp_le_u32_e32 vcc_lo, s10, v0
	s_delay_alu instid0(VALU_DEP_2) | instskip(NEXT) | instid1(VALU_DEP_1)
	v_cndmask_b32_e32 v0, v0, v6, vcc_lo
	v_subrev_nc_u32_e32 v6, s10, v0
	v_cmp_le_u32_e32 vcc_lo, s10, v0
	s_delay_alu instid0(VALU_DEP_2) | instskip(NEXT) | instid1(VALU_DEP_1)
	v_cndmask_b32_e32 v0, v0, v6, vcc_lo
	v_xor_b32_e32 v0, v0, v7
	s_delay_alu instid0(VALU_DEP_1) | instskip(NEXT) | instid1(VALU_DEP_1)
	v_sub_nc_u32_e32 v6, v0, v7
	v_and_b32_e32 v0, 1, v6
	s_delay_alu instid0(VALU_DEP_1) | instskip(SKIP_2) | instid1(SALU_CYCLE_1)
	v_cmp_eq_u32_e32 vcc_lo, 1, v0
                                        ; implicit-def: $vgpr0
	s_wait_xcnt 0x0
	s_and_saveexec_b32 s13, vcc_lo
	s_xor_b32 s13, exec_lo, s13
; %bb.14:                               ;   in Loop: Header=BB19_9 Depth=1
	v_add_nc_u32_e32 v0, 3, v6
                                        ; implicit-def: $vgpr6
	s_delay_alu instid0(VALU_DEP_1)
	v_cmp_lt_i32_e32 vcc_lo, s9, v0
	v_cndmask_b32_e64 v0, v0, s10, vcc_lo
; %bb.15:                               ;   in Loop: Header=BB19_9 Depth=1
	s_and_not1_saveexec_b32 s13, s13
	s_cbranch_execz .LBB19_8
; %bb.16:                               ;   in Loop: Header=BB19_9 Depth=1
	v_add_nc_u32_e32 v0, -1, v6
	v_cmp_lt_i32_e32 vcc_lo, 1, v6
	s_delay_alu instid0(VALU_DEP_2)
	v_cndmask_b32_e32 v0, 2, v0, vcc_lo
	s_branch .LBB19_8
.LBB19_17:
	s_endpgm
	.section	.rodata,"a",@progbits
	.p2align	6, 0x0
	.amdhsa_kernel _ZN9rocsolver6v33100L17syevj_cycle_pairsIfEEviPiS2_
		.amdhsa_group_segment_fixed_size 0
		.amdhsa_private_segment_fixed_size 0
		.amdhsa_kernarg_size 280
		.amdhsa_user_sgpr_count 2
		.amdhsa_user_sgpr_dispatch_ptr 0
		.amdhsa_user_sgpr_queue_ptr 0
		.amdhsa_user_sgpr_kernarg_segment_ptr 1
		.amdhsa_user_sgpr_dispatch_id 0
		.amdhsa_user_sgpr_kernarg_preload_length 0
		.amdhsa_user_sgpr_kernarg_preload_offset 0
		.amdhsa_user_sgpr_private_segment_size 0
		.amdhsa_wavefront_size32 1
		.amdhsa_uses_dynamic_stack 0
		.amdhsa_enable_private_segment 0
		.amdhsa_system_sgpr_workgroup_id_x 1
		.amdhsa_system_sgpr_workgroup_id_y 0
		.amdhsa_system_sgpr_workgroup_id_z 0
		.amdhsa_system_sgpr_workgroup_info 0
		.amdhsa_system_vgpr_workitem_id 0
		.amdhsa_next_free_vgpr 10
		.amdhsa_next_free_sgpr 16
		.amdhsa_named_barrier_count 0
		.amdhsa_reserve_vcc 1
		.amdhsa_float_round_mode_32 0
		.amdhsa_float_round_mode_16_64 0
		.amdhsa_float_denorm_mode_32 3
		.amdhsa_float_denorm_mode_16_64 3
		.amdhsa_fp16_overflow 0
		.amdhsa_memory_ordered 1
		.amdhsa_forward_progress 1
		.amdhsa_inst_pref_size 7
		.amdhsa_round_robin_scheduling 0
		.amdhsa_exception_fp_ieee_invalid_op 0
		.amdhsa_exception_fp_denorm_src 0
		.amdhsa_exception_fp_ieee_div_zero 0
		.amdhsa_exception_fp_ieee_overflow 0
		.amdhsa_exception_fp_ieee_underflow 0
		.amdhsa_exception_fp_ieee_inexact 0
		.amdhsa_exception_int_div_zero 0
	.end_amdhsa_kernel
	.section	.text._ZN9rocsolver6v33100L17syevj_cycle_pairsIfEEviPiS2_,"axG",@progbits,_ZN9rocsolver6v33100L17syevj_cycle_pairsIfEEviPiS2_,comdat
.Lfunc_end19:
	.size	_ZN9rocsolver6v33100L17syevj_cycle_pairsIfEEviPiS2_, .Lfunc_end19-_ZN9rocsolver6v33100L17syevj_cycle_pairsIfEEviPiS2_
                                        ; -- End function
	.set _ZN9rocsolver6v33100L17syevj_cycle_pairsIfEEviPiS2_.num_vgpr, 10
	.set _ZN9rocsolver6v33100L17syevj_cycle_pairsIfEEviPiS2_.num_agpr, 0
	.set _ZN9rocsolver6v33100L17syevj_cycle_pairsIfEEviPiS2_.numbered_sgpr, 16
	.set _ZN9rocsolver6v33100L17syevj_cycle_pairsIfEEviPiS2_.num_named_barrier, 0
	.set _ZN9rocsolver6v33100L17syevj_cycle_pairsIfEEviPiS2_.private_seg_size, 0
	.set _ZN9rocsolver6v33100L17syevj_cycle_pairsIfEEviPiS2_.uses_vcc, 1
	.set _ZN9rocsolver6v33100L17syevj_cycle_pairsIfEEviPiS2_.uses_flat_scratch, 0
	.set _ZN9rocsolver6v33100L17syevj_cycle_pairsIfEEviPiS2_.has_dyn_sized_stack, 0
	.set _ZN9rocsolver6v33100L17syevj_cycle_pairsIfEEviPiS2_.has_recursion, 0
	.set _ZN9rocsolver6v33100L17syevj_cycle_pairsIfEEviPiS2_.has_indirect_call, 0
	.section	.AMDGPU.csdata,"",@progbits
; Kernel info:
; codeLenInByte = 860
; TotalNumSgprs: 18
; NumVgprs: 10
; ScratchSize: 0
; MemoryBound: 0
; FloatMode: 240
; IeeeMode: 1
; LDSByteSize: 0 bytes/workgroup (compile time only)
; SGPRBlocks: 0
; VGPRBlocks: 0
; NumSGPRsForWavesPerEU: 18
; NumVGPRsForWavesPerEU: 10
; NamedBarCnt: 0
; Occupancy: 16
; WaveLimiterHint : 0
; COMPUTE_PGM_RSRC2:SCRATCH_EN: 0
; COMPUTE_PGM_RSRC2:USER_SGPR: 2
; COMPUTE_PGM_RSRC2:TRAP_HANDLER: 0
; COMPUTE_PGM_RSRC2:TGID_X_EN: 1
; COMPUTE_PGM_RSRC2:TGID_Y_EN: 0
; COMPUTE_PGM_RSRC2:TGID_Z_EN: 0
; COMPUTE_PGM_RSRC2:TIDIG_COMP_CNT: 0
	.section	.text._ZN9rocsolver6v33100L15syevj_calc_normIffEEviiPT0_PT_S3_Pi,"axG",@progbits,_ZN9rocsolver6v33100L15syevj_calc_normIffEEviiPT0_PT_S3_Pi,comdat
	.globl	_ZN9rocsolver6v33100L15syevj_calc_normIffEEviiPT0_PT_S3_Pi ; -- Begin function _ZN9rocsolver6v33100L15syevj_calc_normIffEEviiPT0_PT_S3_Pi
	.p2align	8
	.type	_ZN9rocsolver6v33100L15syevj_calc_normIffEEviiPT0_PT_S3_Pi,@function
_ZN9rocsolver6v33100L15syevj_calc_normIffEEviiPT0_PT_S3_Pi: ; @_ZN9rocsolver6v33100L15syevj_calc_normIffEEviiPT0_PT_S3_Pi
; %bb.0:
	s_load_b256 s[4:11], s[0:1], 0x8
	s_bfe_u32 s2, ttmp6, 0x40010
	s_bfe_u32 s3, ttmp6, 0x40004
	s_add_co_i32 s2, s2, 1
	s_getreg_b32 s12, hwreg(HW_REG_IB_STS2, 6, 4)
	s_mul_i32 s2, ttmp7, s2
	s_delay_alu instid0(SALU_CYCLE_1) | instskip(SKIP_2) | instid1(SALU_CYCLE_1)
	s_add_co_i32 s3, s3, s2
	s_cmp_eq_u32 s12, 0
	s_cselect_b32 s16, ttmp7, s3
	s_ashr_i32 s17, s16, 31
	s_delay_alu instid0(SALU_CYCLE_1)
	s_lshl_b64 s[14:15], s[16:17], 2
	s_wait_kmcnt 0x0
	s_add_nc_u64 s[2:3], s[10:11], s[14:15]
	s_load_b32 s12, s[2:3], 0x4
	s_wait_kmcnt 0x0
	s_cmp_lg_u32 s12, 0
	s_cbranch_scc0 .LBB20_2
.LBB20_1:
	s_endpgm
.LBB20_2:
	s_clause 0x1
	s_load_b64 s[12:13], s[0:1], 0x0
	s_load_b32 s17, s[0:1], 0x34
	v_mov_b32_e32 v3, 0
	s_mov_b32 s18, exec_lo
	s_wait_kmcnt 0x0
	s_and_b32 s17, s17, 0xffff
	v_cmpx_gt_i32_e64 s12, v0
	s_cbranch_execz .LBB20_10
; %bb.3:
	s_mul_i32 s0, s12, s16
	v_dual_mov_b32 v3, 0 :: v_dual_lshlrev_b32 v2, 2, v0
	s_mul_i32 s0, s0, s12
	v_mov_b32_e32 v1, v0
	s_ashr_i32 s1, s0, 31
	s_delay_alu instid0(SALU_CYCLE_1) | instskip(NEXT) | instid1(SALU_CYCLE_1)
	s_lshl_b64 s[0:1], s[0:1], 2
	s_add_nc_u64 s[6:7], s[6:7], s[0:1]
	s_mov_b32 s1, 0
	v_add_nc_u64_e32 v[4:5], s[6:7], v[2:3]
	s_ashr_i32 s7, s12, 31
	s_mov_b32 s6, s12
	s_lshl_b32 s0, s17, 2
	s_lshl_b64 s[6:7], s[6:7], 2
	s_mov_b32 s16, s1
	s_branch .LBB20_6
.LBB20_4:                               ;   in Loop: Header=BB20_6 Depth=1
	s_or_b32 exec_lo, exec_lo, s20
.LBB20_5:                               ;   in Loop: Header=BB20_6 Depth=1
	s_delay_alu instid0(SALU_CYCLE_1) | instskip(SKIP_2) | instid1(VALU_DEP_2)
	s_or_b32 exec_lo, exec_lo, s19
	v_add_nc_u32_e32 v1, s17, v1
	v_add_nc_u64_e32 v[4:5], s[0:1], v[4:5]
	v_cmp_le_i32_e32 vcc_lo, s12, v1
	s_or_b32 s16, vcc_lo, s16
	s_delay_alu instid0(SALU_CYCLE_1)
	s_and_not1_b32 exec_lo, exec_lo, s16
	s_cbranch_execz .LBB20_9
.LBB20_6:                               ; =>This Loop Header: Depth=1
                                        ;     Child Loop BB20_8 Depth 2
	s_mov_b32 s19, exec_lo
	v_cmpx_ne_u32_e32 0, v1
	s_cbranch_execz .LBB20_5
; %bb.7:                                ;   in Loop: Header=BB20_6 Depth=1
	v_mov_b64_e32 v[6:7], v[4:5]
	v_mov_b32_e32 v2, v1
	s_mov_b32 s20, 0
.LBB20_8:                               ;   Parent Loop BB20_6 Depth=1
                                        ; =>  This Inner Loop Header: Depth=2
	global_load_b32 v8, v[6:7], off
	v_add_nc_u32_e32 v2, -1, v2
	s_wait_xcnt 0x0
	v_add_nc_u64_e32 v[6:7], s[6:7], v[6:7]
	s_wait_loadcnt 0x0
	v_mul_f32_e32 v8, v8, v8
	v_cmp_eq_u32_e32 vcc_lo, 0, v2
	s_delay_alu instid0(VALU_DEP_2) | instskip(SKIP_1) | instid1(SALU_CYCLE_1)
	v_fmac_f32_e32 v3, 2.0, v8
	s_or_b32 s20, vcc_lo, s20
	s_and_not1_b32 exec_lo, exec_lo, s20
	s_cbranch_execnz .LBB20_8
	s_branch .LBB20_4
.LBB20_9:
	s_or_b32 exec_lo, exec_lo, s16
.LBB20_10:
	s_delay_alu instid0(SALU_CYCLE_1)
	s_or_b32 exec_lo, exec_lo, s18
	v_lshl_add_u32 v1, v0, 2, 0
	s_mov_b32 s0, exec_lo
	ds_store_b32 v1, v3
	s_wait_dscnt 0x0
	s_barrier_signal -1
	s_barrier_wait -1
	v_cmpx_eq_u32_e32 0, v0
	s_cbranch_execz .LBB20_1
; %bb.11:
	s_min_i32 s0, s12, s17
	s_delay_alu instid0(SALU_CYCLE_1)
	s_cmp_lt_i32 s0, 2
	s_cbranch_scc1 .LBB20_20
; %bb.12:
	s_add_co_i32 s1, s0, -2
	s_add_co_i32 s0, s0, -1
	s_cmp_lt_u32 s1, 7
	s_cbranch_scc1 .LBB20_16
; %bb.13:
	s_mov_b32 s6, 0
	s_add_co_i32 s1, 0, 4
	s_and_b32 s7, s0, -8
.LBB20_14:                              ; =>This Inner Loop Header: Depth=1
	v_mov_b32_e32 v2, s1
	s_mov_b32 s12, s6
	s_add_co_i32 s6, s6, 8
	s_add_co_i32 s1, s1, 32
	s_cmp_lg_u32 s7, s6
	ds_load_2addr_b32 v[0:1], v2 offset1:1
	ds_load_2addr_b32 v[4:5], v2 offset0:2 offset1:3
	ds_load_2addr_b32 v[6:7], v2 offset0:4 offset1:5
	;; [unrolled: 1-line block ×3, first 2 shown]
	s_wait_dscnt 0x3
	v_add_f32_e32 v0, v3, v0
	s_delay_alu instid0(VALU_DEP_1) | instskip(SKIP_1) | instid1(VALU_DEP_1)
	v_add_f32_e32 v0, v0, v1
	s_wait_dscnt 0x2
	v_add_f32_e32 v0, v0, v4
	s_delay_alu instid0(VALU_DEP_1) | instskip(SKIP_1) | instid1(VALU_DEP_1)
	v_add_f32_e32 v0, v0, v5
	;; [unrolled: 4-line block ×3, first 2 shown]
	s_wait_dscnt 0x0
	v_add_f32_e32 v0, v0, v8
	s_delay_alu instid0(VALU_DEP_1)
	v_add_f32_e32 v3, v0, v9
	s_cbranch_scc1 .LBB20_14
; %bb.15:
	s_add_co_i32 s1, s12, 9
	s_branch .LBB20_17
.LBB20_16:
	s_mov_b32 s1, 1
.LBB20_17:
	s_and_b32 s0, s0, 7
	s_delay_alu instid0(SALU_CYCLE_1)
	s_cmp_eq_u32 s0, 0
	s_cbranch_scc1 .LBB20_20
; %bb.18:
	s_lshl_b32 s1, s1, 2
	s_delay_alu instid0(SALU_CYCLE_1)
	s_add_co_i32 s1, s1, 0
.LBB20_19:                              ; =>This Inner Loop Header: Depth=1
	s_delay_alu instid0(SALU_CYCLE_1)
	v_mov_b32_e32 v0, s1
	s_add_co_i32 s0, s0, -1
	s_add_co_i32 s1, s1, 4
	s_cmp_lg_u32 s0, 0
	ds_load_b32 v0, v0
	s_wait_dscnt 0x0
	v_add_f32_e32 v3, v3, v0
	s_cbranch_scc1 .LBB20_19
.LBB20_20:
	v_mov_b32_e32 v0, 0
	s_add_nc_u64 s[0:1], s[4:5], s[14:15]
	s_add_nc_u64 s[4:5], s[8:9], s[14:15]
	s_clause 0x1
	global_store_b32 v0, v3, s[0:1]
	global_load_b32 v1, v0, s[4:5]
	s_wait_loadcnt 0x0
	v_cmp_lt_f32_e32 vcc_lo, v3, v1
	s_wait_xcnt 0x0
	s_and_b32 exec_lo, exec_lo, vcc_lo
	s_cbranch_execz .LBB20_1
; %bb.21:
	s_mov_b32 s0, exec_lo
	s_add_co_i32 s1, s13, 1
	v_mbcnt_lo_u32_b32 v1, s0, 0
	v_mov_b32_e32 v2, s1
	s_delay_alu instid0(VALU_DEP_2)
	v_cmp_eq_u32_e32 vcc_lo, 0, v1
	global_store_b32 v0, v2, s[2:3] offset:4
	s_and_b32 s1, exec_lo, vcc_lo
	s_wait_xcnt 0x0
	s_mov_b32 exec_lo, s1
	s_cbranch_execz .LBB20_1
; %bb.22:
	s_bcnt1_i32_b32 s0, s0
	s_delay_alu instid0(SALU_CYCLE_1)
	v_dual_mov_b32 v0, 0 :: v_dual_mov_b32 v1, s0
	global_atomic_add_u32 v0, v1, s[10:11] scope:SCOPE_DEV
	s_endpgm
	.section	.rodata,"a",@progbits
	.p2align	6, 0x0
	.amdhsa_kernel _ZN9rocsolver6v33100L15syevj_calc_normIffEEviiPT0_PT_S3_Pi
		.amdhsa_group_segment_fixed_size 0
		.amdhsa_private_segment_fixed_size 0
		.amdhsa_kernarg_size 296
		.amdhsa_user_sgpr_count 2
		.amdhsa_user_sgpr_dispatch_ptr 0
		.amdhsa_user_sgpr_queue_ptr 0
		.amdhsa_user_sgpr_kernarg_segment_ptr 1
		.amdhsa_user_sgpr_dispatch_id 0
		.amdhsa_user_sgpr_kernarg_preload_length 0
		.amdhsa_user_sgpr_kernarg_preload_offset 0
		.amdhsa_user_sgpr_private_segment_size 0
		.amdhsa_wavefront_size32 1
		.amdhsa_uses_dynamic_stack 0
		.amdhsa_enable_private_segment 0
		.amdhsa_system_sgpr_workgroup_id_x 1
		.amdhsa_system_sgpr_workgroup_id_y 1
		.amdhsa_system_sgpr_workgroup_id_z 0
		.amdhsa_system_sgpr_workgroup_info 0
		.amdhsa_system_vgpr_workitem_id 0
		.amdhsa_next_free_vgpr 10
		.amdhsa_next_free_sgpr 21
		.amdhsa_named_barrier_count 0
		.amdhsa_reserve_vcc 1
		.amdhsa_float_round_mode_32 0
		.amdhsa_float_round_mode_16_64 0
		.amdhsa_float_denorm_mode_32 3
		.amdhsa_float_denorm_mode_16_64 3
		.amdhsa_fp16_overflow 0
		.amdhsa_memory_ordered 1
		.amdhsa_forward_progress 1
		.amdhsa_inst_pref_size 7
		.amdhsa_round_robin_scheduling 0
		.amdhsa_exception_fp_ieee_invalid_op 0
		.amdhsa_exception_fp_denorm_src 0
		.amdhsa_exception_fp_ieee_div_zero 0
		.amdhsa_exception_fp_ieee_overflow 0
		.amdhsa_exception_fp_ieee_underflow 0
		.amdhsa_exception_fp_ieee_inexact 0
		.amdhsa_exception_int_div_zero 0
	.end_amdhsa_kernel
	.section	.text._ZN9rocsolver6v33100L15syevj_calc_normIffEEviiPT0_PT_S3_Pi,"axG",@progbits,_ZN9rocsolver6v33100L15syevj_calc_normIffEEviiPT0_PT_S3_Pi,comdat
.Lfunc_end20:
	.size	_ZN9rocsolver6v33100L15syevj_calc_normIffEEviiPT0_PT_S3_Pi, .Lfunc_end20-_ZN9rocsolver6v33100L15syevj_calc_normIffEEviiPT0_PT_S3_Pi
                                        ; -- End function
	.set _ZN9rocsolver6v33100L15syevj_calc_normIffEEviiPT0_PT_S3_Pi.num_vgpr, 10
	.set _ZN9rocsolver6v33100L15syevj_calc_normIffEEviiPT0_PT_S3_Pi.num_agpr, 0
	.set _ZN9rocsolver6v33100L15syevj_calc_normIffEEviiPT0_PT_S3_Pi.numbered_sgpr, 21
	.set _ZN9rocsolver6v33100L15syevj_calc_normIffEEviiPT0_PT_S3_Pi.num_named_barrier, 0
	.set _ZN9rocsolver6v33100L15syevj_calc_normIffEEviiPT0_PT_S3_Pi.private_seg_size, 0
	.set _ZN9rocsolver6v33100L15syevj_calc_normIffEEviiPT0_PT_S3_Pi.uses_vcc, 1
	.set _ZN9rocsolver6v33100L15syevj_calc_normIffEEviiPT0_PT_S3_Pi.uses_flat_scratch, 0
	.set _ZN9rocsolver6v33100L15syevj_calc_normIffEEviiPT0_PT_S3_Pi.has_dyn_sized_stack, 0
	.set _ZN9rocsolver6v33100L15syevj_calc_normIffEEviiPT0_PT_S3_Pi.has_recursion, 0
	.set _ZN9rocsolver6v33100L15syevj_calc_normIffEEviiPT0_PT_S3_Pi.has_indirect_call, 0
	.section	.AMDGPU.csdata,"",@progbits
; Kernel info:
; codeLenInByte = 784
; TotalNumSgprs: 23
; NumVgprs: 10
; ScratchSize: 0
; MemoryBound: 0
; FloatMode: 240
; IeeeMode: 1
; LDSByteSize: 0 bytes/workgroup (compile time only)
; SGPRBlocks: 0
; VGPRBlocks: 0
; NumSGPRsForWavesPerEU: 23
; NumVGPRsForWavesPerEU: 10
; NamedBarCnt: 0
; Occupancy: 16
; WaveLimiterHint : 0
; COMPUTE_PGM_RSRC2:SCRATCH_EN: 0
; COMPUTE_PGM_RSRC2:USER_SGPR: 2
; COMPUTE_PGM_RSRC2:TRAP_HANDLER: 0
; COMPUTE_PGM_RSRC2:TGID_X_EN: 1
; COMPUTE_PGM_RSRC2:TGID_Y_EN: 1
; COMPUTE_PGM_RSRC2:TGID_Z_EN: 0
; COMPUTE_PGM_RSRC2:TIDIG_COMP_CNT: 0
	.section	.text._ZN9rocsolver6v33100L14syevj_finalizeIffPfEEv14rocblas_esort_14rocblas_evect_iT1_iilPT0_iPiS7_lS8_PT_S8_,"axG",@progbits,_ZN9rocsolver6v33100L14syevj_finalizeIffPfEEv14rocblas_esort_14rocblas_evect_iT1_iilPT0_iPiS7_lS8_PT_S8_,comdat
	.globl	_ZN9rocsolver6v33100L14syevj_finalizeIffPfEEv14rocblas_esort_14rocblas_evect_iT1_iilPT0_iPiS7_lS8_PT_S8_ ; -- Begin function _ZN9rocsolver6v33100L14syevj_finalizeIffPfEEv14rocblas_esort_14rocblas_evect_iT1_iilPT0_iPiS7_lS8_PT_S8_
	.p2align	8
	.type	_ZN9rocsolver6v33100L14syevj_finalizeIffPfEEv14rocblas_esort_14rocblas_evect_iT1_iilPT0_iPiS7_lS8_PT_S8_,@function
_ZN9rocsolver6v33100L14syevj_finalizeIffPfEEv14rocblas_esort_14rocblas_evect_iT1_iilPT0_iPiS7_lS8_PT_S8_: ; @_ZN9rocsolver6v33100L14syevj_finalizeIffPfEEv14rocblas_esort_14rocblas_evect_iT1_iilPT0_iPiS7_lS8_PT_S8_
; %bb.0:
	s_clause 0x2
	s_load_b128 s[12:15], s[0:1], 0x20
	s_load_b256 s[4:11], s[0:1], 0x38
	s_load_b128 s[16:19], s[0:1], 0x58
	s_bfe_u32 s2, ttmp6, 0x40010
	s_bfe_u32 s3, ttmp6, 0x40004
	s_add_co_i32 s2, s2, 1
	s_getreg_b32 s20, hwreg(HW_REG_IB_STS2, 6, 4)
	s_mul_i32 s2, ttmp7, s2
	s_delay_alu instid0(SALU_CYCLE_1) | instskip(SKIP_3) | instid1(SALU_CYCLE_1)
	s_add_co_i32 s3, s3, s2
	s_cmp_eq_u32 s20, 0
	v_cmp_eq_u32_e64 s2, 0, v0
	s_cselect_b32 s24, ttmp7, s3
	s_ashr_i32 s25, s24, 31
	s_and_saveexec_b32 s3, s2
	s_cbranch_execz .LBB21_2
; %bb.1:
	s_lshl_b64 s[20:21], s[24:25], 2
	s_wait_kmcnt 0x0
	s_add_nc_u64 s[14:15], s[14:15], s[20:21]
	s_add_nc_u64 s[18:19], s[18:19], s[20:21]
	s_load_b32 s22, s[14:15], 0x0
	s_add_nc_u64 s[4:5], s[4:5], s[20:21]
	s_load_b32 s18, s[18:19], 0x4
	s_add_nc_u64 s[10:11], s[10:11], s[20:21]
	s_wait_kmcnt 0x0
	s_mul_f32 s23, s22, 0x4f800000
	s_cmp_lt_f32 s22, 0xf800000
	s_delay_alu instid0(SALU_CYCLE_2) | instskip(NEXT) | instid1(SALU_CYCLE_1)
	s_cselect_b32 s23, s23, s22
	v_s_sqrt_f32 s26, s23
	s_mov_b32 s28, s23
	s_delay_alu instid0(TRANS32_DEP_1) | instskip(NEXT) | instid1(SALU_CYCLE_1)
	s_add_co_i32 s27, s26, -1
	s_xor_b32 s29, s27, 0x80000000
	s_delay_alu instid0(SALU_CYCLE_1) | instskip(NEXT) | instid1(SALU_CYCLE_3)
	s_fmac_f32 s28, s29, s26
	s_cmp_le_f32 s28, 0
	s_mov_b32 s28, s23
	s_cselect_b32 s19, s27, s26
	s_add_co_i32 s27, s26, 1
	s_delay_alu instid0(SALU_CYCLE_1) | instskip(NEXT) | instid1(SALU_CYCLE_1)
	s_xor_b32 s29, s27, 0x80000000
	s_fmac_f32 s28, s29, s26
	s_load_b32 s26, s[0:1], 0x30
	s_delay_alu instid0(SALU_CYCLE_2) | instskip(SKIP_4) | instid1(SALU_CYCLE_3)
	s_cmp_gt_f32 s28, 0
	v_cmp_class_f32_e64 s28, s23, 0x260
	s_cselect_b32 s19, s27, s19
	s_cmp_lt_f32 s22, 0xf800000
	s_mul_f32 s22, s19, 0x37800000
	s_cselect_b32 s19, s22, s19
	s_and_b32 s22, s28, exec_lo
	s_cselect_b32 s19, s23, s19
	s_add_co_i32 s22, s18, -1
	s_cmp_lt_i32 s18, 1
	v_dual_mov_b32 v1, 0 :: v_dual_mov_b32 v3, s19
	s_cselect_b32 s18, -1, 0
	s_delay_alu instid0(SALU_CYCLE_1) | instskip(SKIP_3) | instid1(SALU_CYCLE_1)
	v_cndmask_b32_e64 v2, 0, 1, s18
	s_and_b32 s18, s18, exec_lo
	s_wait_kmcnt 0x0
	s_cselect_b32 s18, s26, s22
	v_mov_b32_e32 v4, s18
	s_clause 0x2
	global_store_b32 v1, v3, s[14:15]
	global_store_b32 v1, v4, s[4:5]
	;; [unrolled: 1-line block ×3, first 2 shown]
.LBB21_2:
	s_wait_xcnt 0x0
	s_or_b32 exec_lo, exec_lo, s3
	s_load_b96 s[20:22], s[0:1], 0x0
	s_wait_kmcnt 0x0
	s_mul_u64 s[4:5], s[8:9], s[24:25]
	s_delay_alu instid0(SALU_CYCLE_1) | instskip(NEXT) | instid1(SALU_CYCLE_1)
	s_lshl_b64 s[4:5], s[4:5], 2
	s_add_nc_u64 s[8:9], s[6:7], s[4:5]
	v_cmp_gt_i32_e64 s3, s22, v0
	s_and_saveexec_b32 s6, s3
	s_cbranch_execz .LBB21_5
; %bb.3:
	s_load_b32 s7, s[0:1], 0x74
	v_mad_u32 v1, v0, s22, v0
	s_mul_i32 s4, s22, s24
	v_mov_b32_e32 v2, v0
	s_mul_i32 s4, s4, s22
	s_add_co_i32 s10, s22, 1
	s_ashr_i32 s5, s4, 31
	s_mov_b32 s11, 0
	s_lshl_b64 s[4:5], s[4:5], 2
	s_delay_alu instid0(SALU_CYCLE_1) | instskip(SKIP_2) | instid1(SALU_CYCLE_1)
	s_add_nc_u64 s[4:5], s[16:17], s[4:5]
	s_wait_kmcnt 0x0
	s_and_b32 s7, s7, 0xffff
	s_mul_i32 s10, s10, s7
.LBB21_4:                               ; =>This Inner Loop Header: Depth=1
	global_load_b32 v3, v1, s[4:5] scale_offset
	s_wait_xcnt 0x0
	v_add_nc_u32_e32 v1, s10, v1
	s_wait_loadcnt 0x0
	global_store_b32 v2, v3, s[8:9] scale_offset
	s_wait_xcnt 0x0
	v_add_nc_u32_e32 v2, s7, v2
	s_delay_alu instid0(VALU_DEP_1) | instskip(SKIP_1) | instid1(SALU_CYCLE_1)
	v_cmp_le_i32_e32 vcc_lo, s22, v2
	s_or_b32 s11, vcc_lo, s11
	s_and_not1_b32 exec_lo, exec_lo, s11
	s_cbranch_execnz .LBB21_4
.LBB21_5:
	s_or_b32 exec_lo, exec_lo, s6
	v_cmp_eq_u32_e32 vcc_lo, 0, v0
	s_cmp_lg_u32 s21, 0xd5
	s_mov_b32 s11, 0
	s_cselect_b32 s18, -1, 0
	s_wait_storecnt 0x0
	s_or_b32 s4, vcc_lo, s18
	s_cmp_lg_u32 s20, 0xfb
	s_barrier_signal -1
	s_cselect_b32 s5, -1, 0
	s_barrier_wait -1
	s_and_b32 s4, s5, s4
	s_cmp_gt_i32 s22, 1
	s_cselect_b32 s5, -1, 0
	s_delay_alu instid0(SALU_CYCLE_1) | instskip(NEXT) | instid1(SALU_CYCLE_1)
	s_and_b32 s4, s5, s4
	s_and_saveexec_b32 s5, s4
	s_cbranch_execz .LBB21_18
; %bb.6:
	s_load_b128 s[4:7], s[0:1], 0x10
	s_mul_u64 s[14:15], s[12:13], s[24:25]
	v_mov_b32_e32 v1, 0
	s_lshl_b64 s[14:15], s[14:15], 2
	s_wait_xcnt 0x0
	s_add_nc_u64 s[0:1], s[0:1], 0x68
	s_add_co_i32 s19, s22, -2
	s_add_nc_u64 s[12:13], s[8:9], 4
	s_mov_b32 s20, 0
	s_wait_kmcnt 0x0
	s_ashr_i32 s17, s6, 31
	s_mov_b32 s16, s6
	s_add_nc_u64 s[4:5], s[4:5], s[14:15]
	s_lshl_b64 s[14:15], s[16:17], 2
	s_mov_b32 s6, 0
	s_add_nc_u64 s[4:5], s[4:5], s[14:15]
	s_branch .LBB21_9
.LBB21_7:                               ;   in Loop: Header=BB21_9 Depth=1
	s_or_b32 exec_lo, exec_lo, s14
	s_wait_storecnt 0x0
	s_barrier_signal -1
	s_barrier_wait -1
.LBB21_8:                               ;   in Loop: Header=BB21_9 Depth=1
	s_add_co_i32 s6, s6, s7
	s_cmp_lg_u32 s10, s19
	s_add_nc_u64 s[12:13], s[12:13], 4
	s_cbranch_scc0 .LBB21_18
.LBB21_9:                               ; =>This Loop Header: Depth=1
                                        ;     Child Loop BB21_10 Depth 2
                                        ;     Child Loop BB21_17 Depth 2
	v_mov_b32_e32 v2, s20
	s_mov_b32 s10, s20
	s_add_co_i32 s20, s20, 1
	s_lshl_b64 s[14:15], s[10:11], 2
	s_mov_b64 s[16:17], s[12:13]
	global_load_b32 v3, v2, s[8:9] scale_offset
	s_add_nc_u64 s[14:15], s[8:9], s[14:15]
	s_mov_b32 s21, s20
.LBB21_10:                              ;   Parent Loop BB21_9 Depth=1
                                        ; =>  This Inner Loop Header: Depth=2
	global_load_b32 v4, v1, s[16:17]
	s_wait_xcnt 0x0
	s_add_nc_u64 s[16:17], s[16:17], 4
	s_wait_loadcnt 0x0
	v_cmp_lt_f32_e32 vcc_lo, v4, v3
	v_cndmask_b32_e64 v2, v2, s21, vcc_lo
	v_cndmask_b32_e32 v3, v3, v4, vcc_lo
	s_add_co_i32 s21, s21, 1
	s_delay_alu instid0(SALU_CYCLE_1)
	s_cmp_lg_u32 s22, s21
	s_cbranch_scc1 .LBB21_10
; %bb.11:                               ;   in Loop: Header=BB21_9 Depth=1
	v_cmp_eq_u32_e32 vcc_lo, s10, v2
	s_barrier_signal -1
	s_barrier_wait -1
	s_cbranch_vccnz .LBB21_8
; %bb.12:                               ;   in Loop: Header=BB21_9 Depth=1
	s_and_saveexec_b32 s16, s2
	s_cbranch_execz .LBB21_14
; %bb.13:                               ;   in Loop: Header=BB21_9 Depth=1
	global_load_b32 v4, v1, s[14:15]
	s_wait_loadcnt 0x0
	s_clause 0x1
	global_store_b32 v2, v4, s[8:9] scale_offset
	global_store_b32 v1, v3, s[14:15]
.LBB21_14:                              ;   in Loop: Header=BB21_9 Depth=1
	s_wait_xcnt 0x0
	s_or_b32 exec_lo, exec_lo, s16
	s_delay_alu instid0(SALU_CYCLE_1)
	s_and_not1_b32 vcc_lo, exec_lo, s18
	s_cbranch_vccnz .LBB21_8
; %bb.15:                               ;   in Loop: Header=BB21_9 Depth=1
	s_and_saveexec_b32 s14, s3
	s_cbranch_execz .LBB21_7
; %bb.16:                               ;   in Loop: Header=BB21_9 Depth=1
	s_load_b32 s15, s[0:1], 0xc
	v_mul_lo_u32 v2, v2, s7
	v_mov_b32_e32 v3, v0
	s_mov_b32 s16, 0
	s_wait_kmcnt 0x0
	s_and_b32 s15, s15, 0xffff
.LBB21_17:                              ;   Parent Loop BB21_9 Depth=1
                                        ; =>  This Inner Loop Header: Depth=2
	s_delay_alu instid0(VALU_DEP_1)
	v_dual_add_nc_u32 v4, s6, v3 :: v_dual_add_nc_u32 v5, v2, v3
	v_add_nc_u32_e32 v3, s15, v3
	s_clause 0x1
	global_load_b32 v6, v4, s[4:5] scale_offset
	global_load_b32 v7, v5, s[4:5] scale_offset
	s_wait_loadcnt 0x1
	global_store_b32 v5, v6, s[4:5] scale_offset
	s_wait_loadcnt 0x0
	global_store_b32 v4, v7, s[4:5] scale_offset
	v_cmp_le_i32_e32 vcc_lo, s22, v3
	s_or_b32 s16, vcc_lo, s16
	s_wait_xcnt 0x0
	s_and_not1_b32 exec_lo, exec_lo, s16
	s_cbranch_execnz .LBB21_17
	s_branch .LBB21_7
.LBB21_18:
	s_endpgm
	.section	.rodata,"a",@progbits
	.p2align	6, 0x0
	.amdhsa_kernel _ZN9rocsolver6v33100L14syevj_finalizeIffPfEEv14rocblas_esort_14rocblas_evect_iT1_iilPT0_iPiS7_lS8_PT_S8_
		.amdhsa_group_segment_fixed_size 0
		.amdhsa_private_segment_fixed_size 0
		.amdhsa_kernarg_size 360
		.amdhsa_user_sgpr_count 2
		.amdhsa_user_sgpr_dispatch_ptr 0
		.amdhsa_user_sgpr_queue_ptr 0
		.amdhsa_user_sgpr_kernarg_segment_ptr 1
		.amdhsa_user_sgpr_dispatch_id 0
		.amdhsa_user_sgpr_kernarg_preload_length 0
		.amdhsa_user_sgpr_kernarg_preload_offset 0
		.amdhsa_user_sgpr_private_segment_size 0
		.amdhsa_wavefront_size32 1
		.amdhsa_uses_dynamic_stack 0
		.amdhsa_enable_private_segment 0
		.amdhsa_system_sgpr_workgroup_id_x 1
		.amdhsa_system_sgpr_workgroup_id_y 1
		.amdhsa_system_sgpr_workgroup_id_z 0
		.amdhsa_system_sgpr_workgroup_info 0
		.amdhsa_system_vgpr_workitem_id 0
		.amdhsa_next_free_vgpr 8
		.amdhsa_next_free_sgpr 30
		.amdhsa_named_barrier_count 0
		.amdhsa_reserve_vcc 1
		.amdhsa_float_round_mode_32 0
		.amdhsa_float_round_mode_16_64 0
		.amdhsa_float_denorm_mode_32 3
		.amdhsa_float_denorm_mode_16_64 3
		.amdhsa_fp16_overflow 0
		.amdhsa_memory_ordered 1
		.amdhsa_forward_progress 1
		.amdhsa_inst_pref_size 9
		.amdhsa_round_robin_scheduling 0
		.amdhsa_exception_fp_ieee_invalid_op 0
		.amdhsa_exception_fp_denorm_src 0
		.amdhsa_exception_fp_ieee_div_zero 0
		.amdhsa_exception_fp_ieee_overflow 0
		.amdhsa_exception_fp_ieee_underflow 0
		.amdhsa_exception_fp_ieee_inexact 0
		.amdhsa_exception_int_div_zero 0
	.end_amdhsa_kernel
	.section	.text._ZN9rocsolver6v33100L14syevj_finalizeIffPfEEv14rocblas_esort_14rocblas_evect_iT1_iilPT0_iPiS7_lS8_PT_S8_,"axG",@progbits,_ZN9rocsolver6v33100L14syevj_finalizeIffPfEEv14rocblas_esort_14rocblas_evect_iT1_iilPT0_iPiS7_lS8_PT_S8_,comdat
.Lfunc_end21:
	.size	_ZN9rocsolver6v33100L14syevj_finalizeIffPfEEv14rocblas_esort_14rocblas_evect_iT1_iilPT0_iPiS7_lS8_PT_S8_, .Lfunc_end21-_ZN9rocsolver6v33100L14syevj_finalizeIffPfEEv14rocblas_esort_14rocblas_evect_iT1_iilPT0_iPiS7_lS8_PT_S8_
                                        ; -- End function
	.set _ZN9rocsolver6v33100L14syevj_finalizeIffPfEEv14rocblas_esort_14rocblas_evect_iT1_iilPT0_iPiS7_lS8_PT_S8_.num_vgpr, 8
	.set _ZN9rocsolver6v33100L14syevj_finalizeIffPfEEv14rocblas_esort_14rocblas_evect_iT1_iilPT0_iPiS7_lS8_PT_S8_.num_agpr, 0
	.set _ZN9rocsolver6v33100L14syevj_finalizeIffPfEEv14rocblas_esort_14rocblas_evect_iT1_iilPT0_iPiS7_lS8_PT_S8_.numbered_sgpr, 30
	.set _ZN9rocsolver6v33100L14syevj_finalizeIffPfEEv14rocblas_esort_14rocblas_evect_iT1_iilPT0_iPiS7_lS8_PT_S8_.num_named_barrier, 0
	.set _ZN9rocsolver6v33100L14syevj_finalizeIffPfEEv14rocblas_esort_14rocblas_evect_iT1_iilPT0_iPiS7_lS8_PT_S8_.private_seg_size, 0
	.set _ZN9rocsolver6v33100L14syevj_finalizeIffPfEEv14rocblas_esort_14rocblas_evect_iT1_iilPT0_iPiS7_lS8_PT_S8_.uses_vcc, 1
	.set _ZN9rocsolver6v33100L14syevj_finalizeIffPfEEv14rocblas_esort_14rocblas_evect_iT1_iilPT0_iPiS7_lS8_PT_S8_.uses_flat_scratch, 0
	.set _ZN9rocsolver6v33100L14syevj_finalizeIffPfEEv14rocblas_esort_14rocblas_evect_iT1_iilPT0_iPiS7_lS8_PT_S8_.has_dyn_sized_stack, 0
	.set _ZN9rocsolver6v33100L14syevj_finalizeIffPfEEv14rocblas_esort_14rocblas_evect_iT1_iilPT0_iPiS7_lS8_PT_S8_.has_recursion, 0
	.set _ZN9rocsolver6v33100L14syevj_finalizeIffPfEEv14rocblas_esort_14rocblas_evect_iT1_iilPT0_iPiS7_lS8_PT_S8_.has_indirect_call, 0
	.section	.AMDGPU.csdata,"",@progbits
; Kernel info:
; codeLenInByte = 1088
; TotalNumSgprs: 32
; NumVgprs: 8
; ScratchSize: 0
; MemoryBound: 0
; FloatMode: 240
; IeeeMode: 1
; LDSByteSize: 0 bytes/workgroup (compile time only)
; SGPRBlocks: 0
; VGPRBlocks: 0
; NumSGPRsForWavesPerEU: 32
; NumVGPRsForWavesPerEU: 8
; NamedBarCnt: 0
; Occupancy: 16
; WaveLimiterHint : 0
; COMPUTE_PGM_RSRC2:SCRATCH_EN: 0
; COMPUTE_PGM_RSRC2:USER_SGPR: 2
; COMPUTE_PGM_RSRC2:TRAP_HANDLER: 0
; COMPUTE_PGM_RSRC2:TGID_X_EN: 1
; COMPUTE_PGM_RSRC2:TGID_Y_EN: 1
; COMPUTE_PGM_RSRC2:TGID_Z_EN: 0
; COMPUTE_PGM_RSRC2:TIDIG_COMP_CNT: 0
	.section	.text._ZN9rocsolver6v33100L18geqr2_kernel_smallILi256EfifPfEEvT1_S3_T3_lS3_lPT2_lPT0_l,"axG",@progbits,_ZN9rocsolver6v33100L18geqr2_kernel_smallILi256EfifPfEEvT1_S3_T3_lS3_lPT2_lPT0_l,comdat
	.globl	_ZN9rocsolver6v33100L18geqr2_kernel_smallILi256EfifPfEEvT1_S3_T3_lS3_lPT2_lPT0_l ; -- Begin function _ZN9rocsolver6v33100L18geqr2_kernel_smallILi256EfifPfEEvT1_S3_T3_lS3_lPT2_lPT0_l
	.p2align	8
	.type	_ZN9rocsolver6v33100L18geqr2_kernel_smallILi256EfifPfEEvT1_S3_T3_lS3_lPT2_lPT0_l,@function
_ZN9rocsolver6v33100L18geqr2_kernel_smallILi256EfifPfEEvT1_S3_T3_lS3_lPT2_lPT0_l: ; @_ZN9rocsolver6v33100L18geqr2_kernel_smallILi256EfifPfEEvT1_S3_T3_lS3_lPT2_lPT0_l
; %bb.0:
	s_clause 0x4
	s_load_b256 s[4:11], s[0:1], 0x20
	s_load_b64 s[16:17], s[0:1], 0x0
	s_load_b128 s[12:15], s[0:1], 0x8
	s_load_b32 s22, s[0:1], 0x18
	s_load_b64 s[18:19], s[0:1], 0x40
	s_bfe_u32 s3, ttmp6, 0x40014
	s_lshr_b32 s2, ttmp7, 16
	s_add_co_i32 s3, s3, 1
	s_wait_xcnt 0x0
	s_bfe_u32 s0, ttmp6, 0x40008
	s_mul_i32 s3, s2, s3
	s_getreg_b32 s1, hwreg(HW_REG_IB_STS2, 6, 4)
	s_add_co_i32 s0, s0, s3
	s_cmp_eq_u32 s1, 0
	v_and_b32_e32 v2, 0x7f, v0
	s_mov_b32 s21, 0
	s_cselect_b32 s20, s2, s0
	v_lshrrev_b32_e32 v4, 7, v0
	s_delay_alu instid0(VALU_DEP_2) | instskip(SKIP_2) | instid1(SALU_CYCLE_1)
	v_lshl_add_u32 v3, v2, 2, 0
	s_wait_kmcnt 0x0
	s_mul_u64 s[0:1], s[4:5], s[20:21]
	s_lshl_b64 s[2:3], s[0:1], 2
	v_cmp_gt_i32_e64 s0, s16, v2
	s_add_nc_u64 s[2:3], s[12:13], s[2:3]
	s_lshl_b64 s[4:5], s[14:15], 2
	s_delay_alu instid0(SALU_CYCLE_1)
	s_add_nc_u64 s[12:13], s[2:3], s[4:5]
	s_and_saveexec_b32 s14, s0
	s_cbranch_execz .LBB22_15
; %bb.1:
	v_lshrrev_b32_e32 v6, 7, v0
	s_lshl_b32 s15, s22, 1
	v_lshl_add_u32 v16, v2, 2, 0
	s_sub_co_i32 s1, 0, s15
	s_cmp_lt_i32 s15, 0
	v_xad_u32 v1, v6, -1, s17
	s_cselect_b32 vcc_lo, -1, 0
	s_mov_b32 s24, s22
	s_and_b32 s2, vcc_lo, exec_lo
	s_cselect_b32 s3, s1, s15
	v_lshrrev_b32_e32 v7, 1, v1
	v_mul_lo_u32 v5, s22, v6
	v_cmp_gt_i32_e64 s1, s17, v6
	v_cmp_gt_u32_e64 s23, 30, v1
	v_cmp_lt_u32_e64 s2, 29, v1
	v_add_nc_u32_e32 v8, 1, v7
	v_mul_hi_u32 v10, s3, v7
	v_mul_lo_u32 v14, s3, v7
	v_or_b32_e32 v7, 2, v6
	s_mov_b32 s25, s16
	s_mov_b32 s26, s16
	s_lshl_b32 s27, s16, 2
	v_dual_add_nc_u32 v12, v5, v2 :: v_dual_bitop2_b32 v9, -2, v8 bitop3:0x40
	s_lshl_b32 s28, s16, 3
	s_mov_b32 s29, s21
	s_mov_b32 s30, s21
	s_delay_alu instid0(VALU_DEP_4) | instskip(SKIP_3) | instid1(VALU_DEP_1)
	v_cmp_ne_u32_e64 s3, 0, v10
	v_cmp_ne_u32_e64 s4, v8, v9
	v_mov_b32_e32 v8, v2
	v_lshl_or_b32 v13, v9, 1, v6
	v_mul_lo_u32 v15, s22, v13
	s_branch .LBB22_3
.LBB22_2:                               ;   in Loop: Header=BB22_3 Depth=1
	s_or_b32 exec_lo, exec_lo, s31
	v_add_nc_u32_e32 v8, 0x80, v8
	v_add_nc_u32_e32 v16, 0x200, v16
	s_add_co_i32 s30, s30, 1
	s_delay_alu instid0(VALU_DEP_2) | instskip(SKIP_1) | instid1(SALU_CYCLE_1)
	v_cmp_le_i32_e64 s5, s16, v8
	s_or_b32 s29, s5, s29
	s_and_not1_b32 exec_lo, exec_lo, s29
	s_cbranch_execz .LBB22_15
.LBB22_3:                               ; =>This Loop Header: Depth=1
                                        ;     Child Loop BB22_7 Depth 2
                                        ;     Child Loop BB22_14 Depth 2
	s_and_saveexec_b32 s31, s1
	s_cbranch_execz .LBB22_2
; %bb.4:                                ;   in Loop: Header=BB22_3 Depth=1
	v_dual_mov_b32 v1, v6 :: v_dual_mov_b32 v10, v5
	s_mov_b32 s5, s23
	s_and_saveexec_b32 s33, s2
	s_cbranch_execz .LBB22_12
; %bb.5:                                ;   in Loop: Header=BB22_3 Depth=1
	v_lshl_add_u32 v1, s30, 7, v12
	s_delay_alu instid0(VALU_DEP_1) | instskip(NEXT) | instid1(VALU_DEP_1)
	v_dual_sub_nc_u32 v10, v1, v14 :: v_dual_add_nc_u32 v11, v1, v14
	v_cmp_gt_i32_e64 s5, v10, v1
	s_delay_alu instid0(VALU_DEP_1) | instskip(NEXT) | instid1(VALU_DEP_3)
	v_cndmask_b32_e64 v10, 0, 1, s5
	v_cmp_lt_i32_e64 s5, v11, v1
	s_delay_alu instid0(VALU_DEP_1) | instskip(NEXT) | instid1(VALU_DEP_1)
	v_cndmask_b32_e64 v1, 0, 1, s5
	v_cndmask_b32_e32 v1, v1, v10, vcc_lo
	s_delay_alu instid0(VALU_DEP_1) | instskip(NEXT) | instid1(VALU_DEP_1)
	v_dual_mov_b32 v10, v5 :: v_dual_bitop2_b32 v1, 1, v1 bitop3:0x40
	v_cmp_eq_u32_e64 s5, 1, v1
	v_mov_b32_e32 v1, v6
	s_nor_b32 s35, s5, s3
	s_mov_b32 s5, -1
	s_and_saveexec_b32 s34, s35
	s_cbranch_execz .LBB22_11
; %bb.6:                                ;   in Loop: Header=BB22_3 Depth=1
	v_mov_b64_e32 v[10:11], v[6:7]
	v_lshl_add_u32 v17, v8, 2, 0
	v_dual_mov_b32 v1, v8 :: v_dual_mov_b32 v18, v9
	s_mov_b32 s35, 0
.LBB22_7:                               ;   Parent Loop BB22_3 Depth=1
                                        ; =>  This Inner Loop Header: Depth=2
	s_delay_alu instid0(VALU_DEP_3) | instskip(NEXT) | instid1(VALU_DEP_2)
	v_mad_u32 v19, v10, s22, v8
	v_mad_u32 v20, v11, s24, v1
	s_delay_alu instid0(VALU_DEP_3)
	v_add_nc_u32_e32 v18, -2, v18
	s_clause 0x1
	global_load_b32 v21, v19, s[12:13] scale_offset
	global_load_b32 v22, v20, s[12:13] scale_offset
	s_wait_xcnt 0x1
	v_mul_lo_u32 v19, v10, s25
	s_wait_xcnt 0x0
	v_mul_lo_u32 v20, v11, s26
	v_add_nc_u32_e32 v11, 4, v11
	v_cmp_eq_u32_e64 s5, 0, v18
	v_add_nc_u32_e32 v10, 4, v10
	s_or_b32 s35, s5, s35
	v_lshl_add_u32 v19, v19, 2, v17
	v_lshl_add_u32 v20, v20, 2, v17
	s_wait_loadcnt 0x1
	ds_store_b32 v19, v21
	s_wait_loadcnt 0x0
	ds_store_b32 v20, v22
	s_and_not1_b32 exec_lo, exec_lo, s35
	s_cbranch_execnz .LBB22_7
; %bb.8:                                ;   in Loop: Header=BB22_3 Depth=1
	s_or_b32 exec_lo, exec_lo, s35
	s_mov_b32 s5, 0
	s_and_saveexec_b32 s35, s4
; %bb.9:                                ;   in Loop: Header=BB22_3 Depth=1
	s_mov_b32 s5, exec_lo
; %bb.10:                               ;   in Loop: Header=BB22_3 Depth=1
	s_or_b32 exec_lo, exec_lo, s35
	v_dual_mov_b32 v1, v13 :: v_dual_mov_b32 v10, v15
	s_or_not1_b32 s5, s5, exec_lo
.LBB22_11:                              ;   in Loop: Header=BB22_3 Depth=1
	s_or_b32 exec_lo, exec_lo, s34
	s_delay_alu instid0(SALU_CYCLE_1) | instskip(SKIP_1) | instid1(SALU_CYCLE_1)
	s_and_not1_b32 s34, s23, exec_lo
	s_and_b32 s5, s5, exec_lo
	s_or_b32 s5, s34, s5
.LBB22_12:                              ;   in Loop: Header=BB22_3 Depth=1
	s_or_b32 exec_lo, exec_lo, s33
	s_delay_alu instid0(SALU_CYCLE_1)
	s_and_b32 exec_lo, exec_lo, s5
	s_cbranch_execz .LBB22_2
; %bb.13:                               ;   in Loop: Header=BB22_3 Depth=1
	v_mad_u32 v11, s27, v1, v16
	v_add_nc_u32_e32 v10, v8, v10
	s_mov_b32 s33, 0
.LBB22_14:                              ;   Parent Loop BB22_3 Depth=1
                                        ; =>  This Inner Loop Header: Depth=2
	global_load_b32 v17, v10, s[12:13] scale_offset
	s_wait_xcnt 0x0
	v_dual_add_nc_u32 v1, 2, v1 :: v_dual_add_nc_u32 v10, s15, v10
	s_delay_alu instid0(VALU_DEP_1)
	v_cmp_le_i32_e64 s5, s17, v1
	s_or_b32 s33, s5, s33
	s_wait_loadcnt 0x0
	ds_store_b32 v11, v17
	v_add_nc_u32_e32 v11, s28, v11
	s_and_not1_b32 exec_lo, exec_lo, s33
	s_cbranch_execnz .LBB22_14
	s_branch .LBB22_2
.LBB22_15:
	s_or_b32 exec_lo, exec_lo, s14
	s_min_i32 s5, s17, s16
	s_wait_dscnt 0x0
	s_cmp_lt_i32 s5, 1
	s_barrier_signal -1
	s_barrier_wait -1
	s_cbranch_scc1 .LBB22_52
; %bb.16:
	v_mbcnt_lo_u32_b32 v8, -1, 0
	s_mul_i32 s1, s17, s16
	v_mad_u32 v10, s16, v0, s16
	s_lshl_b32 s1, s1, 2
	s_mul_u64 s[2:3], s[8:9], s[20:21]
	v_cmp_ne_u32_e32 vcc_lo, 31, v8
	s_mul_u64 s[8:9], s[18:19], s[20:21]
	s_add_co_i32 s18, s1, 0
	s_lshl_b32 s1, s17, 2
	s_lshl_b64 s[2:3], s[2:3], 2
	v_add_co_ci_u32_e64 v1, null, 0, v8, vcc_lo
	v_cmp_gt_u32_e32 vcc_lo, 30, v8
	s_lshl_b64 s[14:15], s[8:9], 2
	s_add_co_i32 s19, s18, s1
	s_cmp_eq_u64 s[6:7], 0
	v_dual_lshlrev_b32 v1, 2, v1 :: v_dual_bitop2_b32 v9, 31, v0 bitop3:0x40
	v_cndmask_b32_e64 v5, 0, 2, vcc_lo
	v_cmp_gt_u32_e32 vcc_lo, 28, v8
	v_dual_lshrrev_b32 v12, 3, v0 :: v_dual_lshlrev_b32 v11, 2, v0
	s_cselect_b32 s20, -1, 0
	s_cmp_lg_u64 s[6:7], 0
	v_cndmask_b32_e64 v6, 0, 4, vcc_lo
	v_cmp_gt_u32_e32 vcc_lo, 24, v8
	s_add_nc_u64 s[8:9], s[6:7], s[2:3]
	s_cselect_b32 s6, -1, 0
	s_lshl_b32 s7, s16, 2
	v_add_lshl_u32 v5, v5, v8, 2
	v_cndmask_b32_e64 v7, 0, 8, vcc_lo
	v_add_lshl_u32 v6, v6, v8, 2
	v_cmp_eq_u32_e64 s1, 0, v9
	v_cmp_eq_u32_e64 s2, 0, v0
	v_add3_u32 v9, v11, 0, 4
	v_add_lshl_u32 v7, v7, v8, 2
	v_lshl_or_b32 v8, v8, 2, 64
	v_lshl_add_u32 v10, v10, 2, 0
	v_add3_u32 v11, 0, s7, v11
	v_dual_mov_b32 v13, 0 :: v_dual_add_nc_u32 v12, s19, v12
	s_add_nc_u64 s[10:11], s[10:11], s[14:15]
	s_mov_b32 s15, 0
	s_add_co_i32 s21, s7, 4
	s_lshl_b32 s23, s16, 10
	s_mov_b32 s24, 0
	s_mov_b32 s25, s17
	;; [unrolled: 1-line block ×4, first 2 shown]
	s_branch .LBB22_18
.LBB22_17:                              ;   in Loop: Header=BB22_18 Depth=1
	s_or_b32 exec_lo, exec_lo, s4
	v_dual_add_nc_u32 v9, s21, v9 :: v_dual_add_nc_u32 v10, s21, v10
	v_add_nc_u32_e32 v11, s21, v11
	s_add_co_i32 s14, s14, 1
	s_add_co_i32 s25, s25, -1
	s_add_co_i32 s26, s26, -1
	s_add_co_i32 s24, s24, s21
	s_cmp_eq_u32 s14, s5
	s_wait_dscnt 0x0
	s_barrier_signal -1
	s_barrier_wait -1
	s_cbranch_scc1 .LBB22_52
.LBB22_18:                              ; =>This Loop Header: Depth=1
                                        ;     Child Loop BB22_20 Depth 2
                                        ;     Child Loop BB22_33 Depth 2
	;; [unrolled: 1-line block ×3, first 2 shown]
                                        ;       Child Loop BB22_39 Depth 3
                                        ;     Child Loop BB22_43 Depth 2
                                        ;       Child Loop BB22_45 Depth 3
	s_sub_co_i32 s27, s16, s14
	v_mov_b32_e32 v14, 0
	s_add_co_i32 s29, s27, -1
	s_delay_alu instid0(SALU_CYCLE_1)
	v_cmp_gt_i32_e64 s3, s29, v0
	s_and_saveexec_b32 s4, s3
	s_cbranch_execz .LBB22_22
; %bb.19:                               ;   in Loop: Header=BB22_18 Depth=1
	v_dual_mov_b32 v14, 0 :: v_dual_mov_b32 v15, v9
	v_mov_b32_e32 v16, v0
	s_mov_b32 s28, 0
.LBB22_20:                              ;   Parent Loop BB22_18 Depth=1
                                        ; =>  This Inner Loop Header: Depth=2
	ds_load_b32 v17, v15
	v_add_nc_u32_e32 v16, 0x100, v16
	v_add_nc_u32_e32 v15, 0x400, v15
	s_delay_alu instid0(VALU_DEP_2)
	v_cmp_le_i32_e32 vcc_lo, s29, v16
	s_or_b32 s28, vcc_lo, s28
	s_wait_dscnt 0x0
	v_fmac_f32_e32 v14, v17, v17
	s_and_not1_b32 exec_lo, exec_lo, s28
	s_cbranch_execnz .LBB22_20
; %bb.21:                               ;   in Loop: Header=BB22_18 Depth=1
	s_or_b32 exec_lo, exec_lo, s28
.LBB22_22:                              ;   in Loop: Header=BB22_18 Depth=1
	s_delay_alu instid0(SALU_CYCLE_1)
	s_or_b32 exec_lo, exec_lo, s4
	ds_bpermute_b32 v15, v1, v14
	s_wait_dscnt 0x0
	v_add_f32_e32 v14, v14, v15
	ds_bpermute_b32 v15, v5, v14
	s_wait_dscnt 0x0
	v_add_f32_e32 v14, v14, v15
	;; [unrolled: 3-line block ×5, first 2 shown]
	s_and_saveexec_b32 s4, s1
; %bb.23:                               ;   in Loop: Header=BB22_18 Depth=1
	ds_store_b32 v12, v14 offset:4
; %bb.24:                               ;   in Loop: Header=BB22_18 Depth=1
	s_or_b32 exec_lo, exec_lo, s4
	s_lshl_b32 s4, s14, 2
	s_mul_i32 s28, s14, s16
	s_add_co_i32 s4, s4, 0
	s_lshl_b32 s28, s28, 2
	s_wait_dscnt 0x0
	s_add_co_i32 s28, s4, s28
	s_barrier_signal -1
	s_barrier_wait -1
	s_and_saveexec_b32 s30, s2
	s_cbranch_execz .LBB22_31
; %bb.25:                               ;   in Loop: Header=BB22_18 Depth=1
	v_mov_b32_e32 v15, s19
	s_mov_b32 s4, 0
	s_mov_b32 s31, 0
	s_mov_b32 s33, exec_lo
	ds_load_2addr_b32 v[16:17], v15 offset0:2 offset1:3
	ds_load_2addr_b32 v[18:19], v15 offset0:4 offset1:5
	;; [unrolled: 1-line block ×3, first 2 shown]
	ds_load_b32 v15, v15 offset:32
	s_wait_dscnt 0x3
	v_add_f32_e32 v14, v14, v16
	s_delay_alu instid0(VALU_DEP_1) | instskip(SKIP_1) | instid1(VALU_DEP_1)
	v_add_f32_e32 v14, v14, v17
	s_wait_dscnt 0x2
	v_add_f32_e32 v14, v14, v18
	s_delay_alu instid0(VALU_DEP_1) | instskip(SKIP_1) | instid1(VALU_DEP_1)
	v_add_f32_e32 v14, v14, v19
	;; [unrolled: 4-line block ×3, first 2 shown]
	s_wait_dscnt 0x0
	v_add_f32_e32 v16, v14, v15
                                        ; implicit-def: $vgpr14
	s_delay_alu instid0(VALU_DEP_1)
	v_cmpx_nlt_f32_e32 0, v16
	s_xor_b32 s33, exec_lo, s33
	s_cbranch_execnz .LBB22_46
; %bb.26:                               ;   in Loop: Header=BB22_18 Depth=1
	s_or_saveexec_b32 s33, s33
	v_mov_b32_e32 v15, 1.0
	s_xor_b32 exec_lo, exec_lo, s33
	s_cbranch_execnz .LBB22_50
.LBB22_27:                              ;   in Loop: Header=BB22_18 Depth=1
	s_or_b32 exec_lo, exec_lo, s33
	s_and_saveexec_b32 s33, s31
	s_cbranch_execnz .LBB22_51
.LBB22_28:                              ;   in Loop: Header=BB22_18 Depth=1
	s_or_b32 exec_lo, exec_lo, s33
	v_mov_b32_e32 v16, 0
	s_and_saveexec_b32 s31, s4
	s_cbranch_execz .LBB22_30
.LBB22_29:                              ;   in Loop: Header=BB22_18 Depth=1
	v_dual_mov_b32 v16, s28 :: v_dual_mov_b32 v17, s19
	s_wait_dscnt 0x0
	ds_store_b32 v16, v14
	ds_load_b32 v16, v17
.LBB22_30:                              ;   in Loop: Header=BB22_18 Depth=1
	s_or_b32 exec_lo, exec_lo, s31
	s_wait_dscnt 0x0
	v_mov_b32_e32 v14, s19
	s_lshl_b64 s[34:35], s[14:15], 2
	s_delay_alu instid0(SALU_CYCLE_1)
	s_add_nc_u64 s[34:35], s[10:11], s[34:35]
	global_store_b32 v13, v16, s[34:35]
	ds_store_b32 v14, v15 offset:4
.LBB22_31:                              ;   in Loop: Header=BB22_18 Depth=1
	s_wait_xcnt 0x0
	s_or_b32 exec_lo, exec_lo, s30
	s_wait_storecnt_dscnt 0x0
	s_barrier_signal -1
	s_barrier_wait -1
	s_and_saveexec_b32 s4, s3
	s_cbranch_execz .LBB22_34
; %bb.32:                               ;   in Loop: Header=BB22_18 Depth=1
	v_mov_b32_e32 v14, v0
	s_mov_b32 s3, 0
	s_mov_b32 s30, 0
.LBB22_33:                              ;   Parent Loop BB22_18 Depth=1
                                        ; =>  This Inner Loop Header: Depth=2
	s_delay_alu instid0(SALU_CYCLE_1)
	v_dual_mov_b32 v15, s19 :: v_dual_add_nc_u32 v16, s30, v9
	s_addk_co_i32 s30, 0x400
	ds_load_b32 v15, v15 offset:4
	ds_load_b32 v17, v16
	s_wait_dscnt 0x0
	v_dual_mul_f32 v15, v15, v17 :: v_dual_add_nc_u32 v14, 0x100, v14
	s_delay_alu instid0(VALU_DEP_1) | instskip(SKIP_2) | instid1(SALU_CYCLE_1)
	v_cmp_le_i32_e32 vcc_lo, s29, v14
	ds_store_b32 v16, v15
	s_or_b32 s3, vcc_lo, s3
	s_and_not1_b32 exec_lo, exec_lo, s3
	s_cbranch_execnz .LBB22_33
.LBB22_34:                              ;   in Loop: Header=BB22_18 Depth=1
	s_or_b32 exec_lo, exec_lo, s4
	s_not_b32 s3, s14
	s_mov_b32 s4, exec_lo
	s_add_co_i32 s3, s17, s3
	s_wait_dscnt 0x0
	s_barrier_signal -1
	s_barrier_wait -1
	v_cmpx_gt_i32_e64 s3, v0
	s_cbranch_execz .LBB22_40
; %bb.35:                               ;   in Loop: Header=BB22_18 Depth=1
	v_dual_mov_b32 v14, v10 :: v_dual_mov_b32 v15, v0
	s_cmp_gt_i32 s27, 0
	s_mov_b32 s29, 0
	s_cselect_b32 s30, -1, 0
	s_branch .LBB22_37
.LBB22_36:                              ;   in Loop: Header=BB22_37 Depth=2
	v_dual_mov_b32 v17, s19 :: v_dual_add_nc_u32 v14, s23, v14
	v_lshl_add_u32 v18, v15, 2, s18
	ds_load_b32 v17, v17
	s_wait_dscnt 0x0
	v_dual_mul_f32 v16, v16, v17 :: v_dual_add_nc_u32 v15, 0x100, v15
	s_delay_alu instid0(VALU_DEP_1) | instskip(SKIP_2) | instid1(SALU_CYCLE_1)
	v_cmp_le_i32_e32 vcc_lo, s3, v15
	ds_store_b32 v18, v16
	s_or_b32 s29, vcc_lo, s29
	s_and_not1_b32 exec_lo, exec_lo, s29
	s_cbranch_execz .LBB22_40
.LBB22_37:                              ;   Parent Loop BB22_18 Depth=1
                                        ; =>  This Loop Header: Depth=2
                                        ;       Child Loop BB22_39 Depth 3
	v_mov_b32_e32 v16, 0
	s_and_not1_b32 vcc_lo, exec_lo, s30
	s_cbranch_vccnz .LBB22_36
; %bb.38:                               ;   in Loop: Header=BB22_37 Depth=2
	v_mov_b32_e32 v17, v14
	s_mov_b32 s31, s24
	s_mov_b32 s33, s26
.LBB22_39:                              ;   Parent Loop BB22_18 Depth=1
                                        ;     Parent Loop BB22_37 Depth=2
                                        ; =>    This Inner Loop Header: Depth=3
	v_mov_b32_e32 v18, s31
	s_add_co_i32 s33, s33, -1
	s_add_co_i32 s31, s31, 4
	s_cmp_eq_u32 s33, 0
	ds_load_b32 v19, v17
	ds_load_b32 v18, v18
	s_wait_dscnt 0x0
	v_dual_fmac_f32 v16, v19, v18 :: v_dual_add_nc_u32 v17, 4, v17
	s_cbranch_scc0 .LBB22_39
	s_branch .LBB22_36
.LBB22_40:                              ;   in Loop: Header=BB22_18 Depth=1
	s_or_b32 exec_lo, exec_lo, s4
	s_delay_alu instid0(SALU_CYCLE_1)
	s_mov_b32 s4, exec_lo
	s_wait_dscnt 0x0
	s_barrier_signal -1
	s_barrier_wait -1
	v_cmpx_gt_i32_e64 s27, v0
	s_cbranch_execz .LBB22_17
; %bb.41:                               ;   in Loop: Header=BB22_18 Depth=1
	v_dual_mov_b32 v14, v11 :: v_dual_mov_b32 v15, v0
	s_cmp_gt_i32 s3, 0
	s_mov_b32 s3, 0
	s_cselect_b32 s29, -1, 0
	s_branch .LBB22_43
.LBB22_42:                              ;   in Loop: Header=BB22_43 Depth=2
	v_add_nc_u32_e32 v15, 0x100, v15
	v_add_nc_u32_e32 v14, 0x400, v14
	s_delay_alu instid0(VALU_DEP_2) | instskip(SKIP_1) | instid1(SALU_CYCLE_1)
	v_cmp_le_i32_e32 vcc_lo, s27, v15
	s_or_b32 s3, vcc_lo, s3
	s_and_not1_b32 exec_lo, exec_lo, s3
	s_cbranch_execz .LBB22_17
.LBB22_43:                              ;   Parent Loop BB22_18 Depth=1
                                        ; =>  This Loop Header: Depth=2
                                        ;       Child Loop BB22_45 Depth 3
	s_and_not1_b32 vcc_lo, exec_lo, s29
	s_cbranch_vccnz .LBB22_42
; %bb.44:                               ;   in Loop: Header=BB22_43 Depth=2
	v_lshl_add_u32 v16, v15, 2, s28
	v_mov_b32_e32 v17, v14
	s_mov_b32 s30, 1
	s_mov_b32 s31, s18
.LBB22_45:                              ;   Parent Loop BB22_18 Depth=1
                                        ;     Parent Loop BB22_43 Depth=2
                                        ; =>    This Inner Loop Header: Depth=3
	s_delay_alu instid0(SALU_CYCLE_1)
	v_mov_b32_e32 v18, s31
	s_add_co_i32 s30, s30, 1
	s_add_co_i32 s31, s31, 4
	ds_load_b32 v19, v17
	ds_load_b32 v20, v16
	;; [unrolled: 1-line block ×3, first 2 shown]
	s_cmp_eq_u32 s25, s30
	s_wait_dscnt 0x0
	v_fma_f32 v18, -v20, v18, v19
	ds_store_b32 v17, v18
	v_add_nc_u32_e32 v17, s7, v17
	s_cbranch_scc0 .LBB22_45
	s_branch .LBB22_42
.LBB22_46:                              ;   in Loop: Header=BB22_18 Depth=1
	v_mov_b32_e32 v14, s19
	s_and_b32 vcc_lo, exec_lo, s6
	ds_store_b32 v14, v13
	s_cbranch_vccz .LBB22_48
; %bb.47:                               ;   in Loop: Header=BB22_18 Depth=1
	v_mov_b32_e32 v14, s28
	s_mov_b32 s31, -1
	ds_load_b32 v14, v14
	s_branch .LBB22_49
.LBB22_48:                              ;   in Loop: Header=BB22_18 Depth=1
                                        ; implicit-def: $vgpr14
.LBB22_49:                              ;   in Loop: Header=BB22_18 Depth=1
	s_and_b32 s31, s31, exec_lo
                                        ; implicit-def: $vgpr16
	s_or_saveexec_b32 s33, s33
	v_mov_b32_e32 v15, 1.0
	s_xor_b32 exec_lo, exec_lo, s33
	s_cbranch_execz .LBB22_27
.LBB22_50:                              ;   in Loop: Header=BB22_18 Depth=1
	s_wait_dscnt 0x0
	v_mov_b32_e32 v14, s28
	s_and_not1_b32 s31, s31, exec_lo
	s_and_b32 s34, s6, exec_lo
	s_delay_alu instid0(SALU_CYCLE_1) | instskip(SKIP_3) | instid1(VALU_DEP_1)
	s_or_b32 s31, s31, s34
	ds_load_b32 v15, v14
	s_wait_dscnt 0x0
	v_fmac_f32_e32 v16, v15, v15
	v_mul_f32_e32 v14, 0x4f800000, v16
	v_cmp_gt_f32_e32 vcc_lo, 0xf800000, v16
	s_delay_alu instid0(VALU_DEP_2) | instskip(NEXT) | instid1(VALU_DEP_1)
	v_cndmask_b32_e32 v14, v16, v14, vcc_lo
	v_sqrt_f32_e32 v16, v14
	v_nop
	s_delay_alu instid0(TRANS32_DEP_1) | instskip(NEXT) | instid1(VALU_DEP_1)
	v_dual_add_nc_u32 v17, -1, v16 :: v_dual_add_nc_u32 v18, 1, v16
	v_dual_fma_f32 v19, -v17, v16, v14 :: v_dual_fma_f32 v20, -v18, v16, v14
	s_delay_alu instid0(VALU_DEP_1) | instskip(NEXT) | instid1(VALU_DEP_1)
	v_cmp_ge_f32_e64 s4, 0, v19
	v_cndmask_b32_e64 v16, v16, v17, s4
	s_delay_alu instid0(VALU_DEP_3) | instskip(NEXT) | instid1(VALU_DEP_1)
	v_cmp_lt_f32_e64 s4, 0, v20
	v_cndmask_b32_e64 v16, v16, v18, s4
	s_delay_alu instid0(VALU_DEP_1) | instskip(NEXT) | instid1(VALU_DEP_1)
	v_mul_f32_e32 v17, 0x37800000, v16
	v_cndmask_b32_e32 v16, v16, v17, vcc_lo
	v_cmp_class_f32_e64 vcc_lo, v14, 0x260
	s_delay_alu instid0(VALU_DEP_2) | instskip(SKIP_1) | instid1(VALU_DEP_2)
	v_cndmask_b32_e32 v14, v16, v14, vcc_lo
	v_cmp_le_f32_e32 vcc_lo, 0, v15
	v_cndmask_b32_e64 v14, v14, -v14, vcc_lo
	s_delay_alu instid0(VALU_DEP_1) | instskip(NEXT) | instid1(VALU_DEP_1)
	v_sub_f32_e32 v17, v14, v15
	v_div_scale_f32 v18, null, v14, v14, v17
	s_delay_alu instid0(VALU_DEP_1) | instskip(SKIP_1) | instid1(TRANS32_DEP_1)
	v_rcp_f32_e32 v20, v18
	v_nop
	v_fma_f32 v22, -v18, v20, 1.0
	s_delay_alu instid0(VALU_DEP_1) | instskip(NEXT) | instid1(VALU_DEP_1)
	v_dual_sub_f32 v16, v15, v14 :: v_dual_fmac_f32 v20, v22, v20
	v_div_scale_f32 v15, null, v16, v16, 1.0
	v_div_scale_f32 v23, vcc_lo, 1.0, v16, 1.0
	s_delay_alu instid0(VALU_DEP_2) | instskip(SKIP_1) | instid1(TRANS32_DEP_1)
	v_rcp_f32_e32 v19, v15
	v_nop
	v_fma_f32 v21, -v15, v19, 1.0
	s_delay_alu instid0(VALU_DEP_1) | instskip(SKIP_1) | instid1(VALU_DEP_1)
	v_fmac_f32_e32 v19, v21, v19
	v_div_scale_f32 v21, s4, v17, v14, v17
	v_dual_mul_f32 v22, v23, v19 :: v_dual_mul_f32 v24, v21, v20
	s_delay_alu instid0(VALU_DEP_1) | instskip(NEXT) | instid1(VALU_DEP_1)
	v_dual_fma_f32 v25, -v15, v22, v23 :: v_dual_fma_f32 v26, -v18, v24, v21
	v_dual_fmac_f32 v22, v25, v19 :: v_dual_fmac_f32 v24, v26, v20
	s_delay_alu instid0(VALU_DEP_1) | instskip(NEXT) | instid1(VALU_DEP_1)
	v_dual_fma_f32 v15, -v15, v22, v23 :: v_dual_fma_f32 v18, -v18, v24, v21
	v_div_fmas_f32 v15, v15, v19, v22
	s_mov_b32 vcc_lo, s4
	s_and_b32 s4, s20, exec_lo
	s_delay_alu instid0(VALU_DEP_2) | instskip(NEXT) | instid1(VALU_DEP_2)
	v_div_fmas_f32 v18, v18, v20, v24
	v_div_fixup_f32 v15, v15, v16, 1.0
	s_delay_alu instid0(VALU_DEP_2)
	v_div_fixup_f32 v16, v18, v14, v17
	v_mov_b32_e32 v17, s19
	ds_store_b32 v17, v16
	s_or_b32 exec_lo, exec_lo, s33
	s_and_saveexec_b32 s33, s31
	s_cbranch_execz .LBB22_28
.LBB22_51:                              ;   in Loop: Header=BB22_18 Depth=1
	s_lshl_b64 s[34:35], s[14:15], 2
	s_or_b32 s4, s4, exec_lo
	s_add_nc_u64 s[34:35], s[8:9], s[34:35]
	s_wait_dscnt 0x0
	global_store_b32 v13, v14, s[34:35]
	s_wait_xcnt 0x0
	v_mov_b32_e32 v14, 1.0
	s_or_b32 exec_lo, exec_lo, s33
	v_mov_b32_e32 v16, 0
	s_and_saveexec_b32 s31, s4
	s_cbranch_execnz .LBB22_29
	s_branch .LBB22_30
.LBB22_52:
	s_and_saveexec_b32 s1, s0
	s_cbranch_execz .LBB22_67
; %bb.53:
	v_xad_u32 v1, v4, -1, s17
	v_mul_lo_u32 v0, s22, v4
	s_lshl_b32 s5, s22, 1
	s_mov_b32 s6, 0
	s_sub_co_i32 s0, 0, s5
	v_lshrrev_b32_e32 v5, 1, v1
	s_cmp_lt_i32 s5, 0
	v_cmp_gt_u32_e64 s7, 30, v1
	s_cselect_b32 vcc_lo, -1, 0
	s_mov_b32 s8, s16
	v_add_nc_u32_e32 v6, 1, v5
	s_and_b32 s1, vcc_lo, exec_lo
	v_add_nc_u32_e32 v10, v0, v2
	s_cselect_b32 s2, s0, s5
	v_cmp_gt_i32_e64 s0, s17, v4
	v_and_b32_e32 v8, -2, v6
	v_mul_hi_u32 v7, s2, v5
	v_mul_lo_u32 v11, s2, v5
	v_cmp_lt_u32_e64 s1, 29, v1
	v_or_b32_e32 v5, 2, v4
	v_lshl_or_b32 v9, v8, 1, v4
	v_cmp_ne_u32_e64 s3, v6, v8
	s_mov_b32 s9, s16
	s_mov_b32 s10, s22
	s_lshl_b32 s11, s16, 2
	v_mul_lo_u32 v12, s22, v9
	s_lshl_b32 s14, s16, 3
	v_cmp_ne_u32_e64 s2, 0, v7
	s_mov_b32 s15, 0
	s_branch .LBB22_55
.LBB22_54:                              ;   in Loop: Header=BB22_55 Depth=1
	s_or_b32 exec_lo, exec_lo, s18
	v_add_nc_u32_e32 v2, 0x80, v2
	v_add_nc_u32_e32 v3, 0x200, v3
	s_add_co_i32 s15, s15, 1
	s_delay_alu instid0(VALU_DEP_2) | instskip(SKIP_1) | instid1(SALU_CYCLE_1)
	v_cmp_le_i32_e64 s4, s16, v2
	s_or_b32 s6, s4, s6
	s_and_not1_b32 exec_lo, exec_lo, s6
	s_cbranch_execz .LBB22_67
.LBB22_55:                              ; =>This Loop Header: Depth=1
                                        ;     Child Loop BB22_59 Depth 2
                                        ;     Child Loop BB22_66 Depth 2
	s_and_saveexec_b32 s18, s0
	s_cbranch_execz .LBB22_54
; %bb.56:                               ;   in Loop: Header=BB22_55 Depth=1
	v_dual_mov_b32 v1, v4 :: v_dual_mov_b32 v6, v0
	s_mov_b32 s4, s7
	s_and_saveexec_b32 s19, s1
	s_cbranch_execz .LBB22_64
; %bb.57:                               ;   in Loop: Header=BB22_55 Depth=1
	v_lshl_add_u32 v1, s15, 7, v10
	s_delay_alu instid0(VALU_DEP_1) | instskip(NEXT) | instid1(VALU_DEP_1)
	v_dual_sub_nc_u32 v6, v1, v11 :: v_dual_add_nc_u32 v7, v1, v11
	v_cmp_gt_i32_e64 s4, v6, v1
	s_delay_alu instid0(VALU_DEP_1) | instskip(NEXT) | instid1(VALU_DEP_3)
	v_cndmask_b32_e64 v6, 0, 1, s4
	v_cmp_lt_i32_e64 s4, v7, v1
	s_delay_alu instid0(VALU_DEP_1) | instskip(NEXT) | instid1(VALU_DEP_1)
	v_cndmask_b32_e64 v1, 0, 1, s4
	v_dual_cndmask_b32 v1, v1, v6 :: v_dual_mov_b32 v6, v0
	s_delay_alu instid0(VALU_DEP_1) | instskip(NEXT) | instid1(VALU_DEP_1)
	v_and_b32_e32 v1, 1, v1
	v_cmp_eq_u32_e64 s4, 1, v1
	v_mov_b32_e32 v1, v4
	s_nor_b32 s21, s4, s2
	s_mov_b32 s4, -1
	s_and_saveexec_b32 s20, s21
	s_cbranch_execz .LBB22_63
; %bb.58:                               ;   in Loop: Header=BB22_55 Depth=1
	v_mov_b64_e32 v[6:7], v[4:5]
	v_lshl_add_u32 v13, v2, 2, 0
	v_dual_mov_b32 v1, v2 :: v_dual_mov_b32 v14, v8
	s_mov_b32 s21, 0
.LBB22_59:                              ;   Parent Loop BB22_55 Depth=1
                                        ; =>  This Inner Loop Header: Depth=2
	s_delay_alu instid0(VALU_DEP_3) | instskip(NEXT) | instid1(VALU_DEP_4)
	v_mul_lo_u32 v15, v6, s8
	v_mul_lo_u32 v16, v7, s9
	s_delay_alu instid0(VALU_DEP_3) | instskip(SKIP_3) | instid1(VALU_DEP_4)
	v_add_nc_u32_e32 v14, -2, v14
	v_mad_u32 v17, v6, s22, v2
	v_mad_u32 v18, v7, s10, v1
	v_dual_add_nc_u32 v7, 4, v7 :: v_dual_add_nc_u32 v6, 4, v6
	v_cmp_eq_u32_e64 s4, 0, v14
	v_lshl_add_u32 v15, v15, 2, v13
	v_lshl_add_u32 v16, v16, 2, v13
	s_or_b32 s21, s4, s21
	ds_load_b32 v15, v15
	ds_load_b32 v16, v16
	s_wait_dscnt 0x1
	global_store_b32 v17, v15, s[12:13] scale_offset
	s_wait_dscnt 0x0
	global_store_b32 v18, v16, s[12:13] scale_offset
	s_wait_xcnt 0x0
	s_and_not1_b32 exec_lo, exec_lo, s21
	s_cbranch_execnz .LBB22_59
; %bb.60:                               ;   in Loop: Header=BB22_55 Depth=1
	s_or_b32 exec_lo, exec_lo, s21
	s_mov_b32 s4, 0
	s_and_saveexec_b32 s21, s3
; %bb.61:                               ;   in Loop: Header=BB22_55 Depth=1
	s_mov_b32 s4, exec_lo
; %bb.62:                               ;   in Loop: Header=BB22_55 Depth=1
	s_or_b32 exec_lo, exec_lo, s21
	v_dual_mov_b32 v1, v9 :: v_dual_mov_b32 v6, v12
	s_or_not1_b32 s4, s4, exec_lo
.LBB22_63:                              ;   in Loop: Header=BB22_55 Depth=1
	s_or_b32 exec_lo, exec_lo, s20
	s_delay_alu instid0(SALU_CYCLE_1) | instskip(SKIP_1) | instid1(SALU_CYCLE_1)
	s_and_not1_b32 s20, s7, exec_lo
	s_and_b32 s4, s4, exec_lo
	s_or_b32 s4, s20, s4
.LBB22_64:                              ;   in Loop: Header=BB22_55 Depth=1
	s_or_b32 exec_lo, exec_lo, s19
	s_delay_alu instid0(SALU_CYCLE_1)
	s_and_b32 exec_lo, exec_lo, s4
	s_cbranch_execz .LBB22_54
; %bb.65:                               ;   in Loop: Header=BB22_55 Depth=1
	v_mad_u32 v7, s11, v1, v3
	v_add_nc_u32_e32 v6, v2, v6
	s_mov_b32 s19, 0
.LBB22_66:                              ;   Parent Loop BB22_55 Depth=1
                                        ; =>  This Inner Loop Header: Depth=2
	ds_load_b32 v13, v7
	v_dual_add_nc_u32 v1, 2, v1 :: v_dual_add_nc_u32 v7, s14, v7
	s_delay_alu instid0(VALU_DEP_1)
	v_cmp_le_i32_e64 s4, s17, v1
	s_or_b32 s19, s4, s19
	s_wait_dscnt 0x0
	global_store_b32 v6, v13, s[12:13] scale_offset
	s_wait_xcnt 0x0
	v_add_nc_u32_e32 v6, s5, v6
	s_and_not1_b32 exec_lo, exec_lo, s19
	s_cbranch_execnz .LBB22_66
	s_branch .LBB22_54
.LBB22_67:
	s_endpgm
	.section	.rodata,"a",@progbits
	.p2align	6, 0x0
	.amdhsa_kernel _ZN9rocsolver6v33100L18geqr2_kernel_smallILi256EfifPfEEvT1_S3_T3_lS3_lPT2_lPT0_l
		.amdhsa_group_segment_fixed_size 0
		.amdhsa_private_segment_fixed_size 0
		.amdhsa_kernarg_size 72
		.amdhsa_user_sgpr_count 2
		.amdhsa_user_sgpr_dispatch_ptr 0
		.amdhsa_user_sgpr_queue_ptr 0
		.amdhsa_user_sgpr_kernarg_segment_ptr 1
		.amdhsa_user_sgpr_dispatch_id 0
		.amdhsa_user_sgpr_kernarg_preload_length 0
		.amdhsa_user_sgpr_kernarg_preload_offset 0
		.amdhsa_user_sgpr_private_segment_size 0
		.amdhsa_wavefront_size32 1
		.amdhsa_uses_dynamic_stack 0
		.amdhsa_enable_private_segment 0
		.amdhsa_system_sgpr_workgroup_id_x 1
		.amdhsa_system_sgpr_workgroup_id_y 0
		.amdhsa_system_sgpr_workgroup_id_z 1
		.amdhsa_system_sgpr_workgroup_info 0
		.amdhsa_system_vgpr_workitem_id 0
		.amdhsa_next_free_vgpr 27
		.amdhsa_next_free_sgpr 36
		.amdhsa_named_barrier_count 0
		.amdhsa_reserve_vcc 1
		.amdhsa_float_round_mode_32 0
		.amdhsa_float_round_mode_16_64 0
		.amdhsa_float_denorm_mode_32 3
		.amdhsa_float_denorm_mode_16_64 3
		.amdhsa_fp16_overflow 0
		.amdhsa_memory_ordered 1
		.amdhsa_forward_progress 1
		.amdhsa_inst_pref_size 27
		.amdhsa_round_robin_scheduling 0
		.amdhsa_exception_fp_ieee_invalid_op 0
		.amdhsa_exception_fp_denorm_src 0
		.amdhsa_exception_fp_ieee_div_zero 0
		.amdhsa_exception_fp_ieee_overflow 0
		.amdhsa_exception_fp_ieee_underflow 0
		.amdhsa_exception_fp_ieee_inexact 0
		.amdhsa_exception_int_div_zero 0
	.end_amdhsa_kernel
	.section	.text._ZN9rocsolver6v33100L18geqr2_kernel_smallILi256EfifPfEEvT1_S3_T3_lS3_lPT2_lPT0_l,"axG",@progbits,_ZN9rocsolver6v33100L18geqr2_kernel_smallILi256EfifPfEEvT1_S3_T3_lS3_lPT2_lPT0_l,comdat
.Lfunc_end22:
	.size	_ZN9rocsolver6v33100L18geqr2_kernel_smallILi256EfifPfEEvT1_S3_T3_lS3_lPT2_lPT0_l, .Lfunc_end22-_ZN9rocsolver6v33100L18geqr2_kernel_smallILi256EfifPfEEvT1_S3_T3_lS3_lPT2_lPT0_l
                                        ; -- End function
	.set _ZN9rocsolver6v33100L18geqr2_kernel_smallILi256EfifPfEEvT1_S3_T3_lS3_lPT2_lPT0_l.num_vgpr, 27
	.set _ZN9rocsolver6v33100L18geqr2_kernel_smallILi256EfifPfEEvT1_S3_T3_lS3_lPT2_lPT0_l.num_agpr, 0
	.set _ZN9rocsolver6v33100L18geqr2_kernel_smallILi256EfifPfEEvT1_S3_T3_lS3_lPT2_lPT0_l.numbered_sgpr, 36
	.set _ZN9rocsolver6v33100L18geqr2_kernel_smallILi256EfifPfEEvT1_S3_T3_lS3_lPT2_lPT0_l.num_named_barrier, 0
	.set _ZN9rocsolver6v33100L18geqr2_kernel_smallILi256EfifPfEEvT1_S3_T3_lS3_lPT2_lPT0_l.private_seg_size, 0
	.set _ZN9rocsolver6v33100L18geqr2_kernel_smallILi256EfifPfEEvT1_S3_T3_lS3_lPT2_lPT0_l.uses_vcc, 1
	.set _ZN9rocsolver6v33100L18geqr2_kernel_smallILi256EfifPfEEvT1_S3_T3_lS3_lPT2_lPT0_l.uses_flat_scratch, 0
	.set _ZN9rocsolver6v33100L18geqr2_kernel_smallILi256EfifPfEEvT1_S3_T3_lS3_lPT2_lPT0_l.has_dyn_sized_stack, 0
	.set _ZN9rocsolver6v33100L18geqr2_kernel_smallILi256EfifPfEEvT1_S3_T3_lS3_lPT2_lPT0_l.has_recursion, 0
	.set _ZN9rocsolver6v33100L18geqr2_kernel_smallILi256EfifPfEEvT1_S3_T3_lS3_lPT2_lPT0_l.has_indirect_call, 0
	.section	.AMDGPU.csdata,"",@progbits
; Kernel info:
; codeLenInByte = 3444
; TotalNumSgprs: 38
; NumVgprs: 27
; ScratchSize: 0
; MemoryBound: 0
; FloatMode: 240
; IeeeMode: 1
; LDSByteSize: 0 bytes/workgroup (compile time only)
; SGPRBlocks: 0
; VGPRBlocks: 1
; NumSGPRsForWavesPerEU: 38
; NumVGPRsForWavesPerEU: 27
; NamedBarCnt: 0
; Occupancy: 16
; WaveLimiterHint : 0
; COMPUTE_PGM_RSRC2:SCRATCH_EN: 0
; COMPUTE_PGM_RSRC2:USER_SGPR: 2
; COMPUTE_PGM_RSRC2:TRAP_HANDLER: 0
; COMPUTE_PGM_RSRC2:TGID_X_EN: 1
; COMPUTE_PGM_RSRC2:TGID_Y_EN: 0
; COMPUTE_PGM_RSRC2:TGID_Z_EN: 1
; COMPUTE_PGM_RSRC2:TIDIG_COMP_CNT: 0
	.section	.text._ZN9rocsolver6v33100L16reset_batch_infoIfiiPfEEvT2_lT0_T1_,"axG",@progbits,_ZN9rocsolver6v33100L16reset_batch_infoIfiiPfEEvT2_lT0_T1_,comdat
	.globl	_ZN9rocsolver6v33100L16reset_batch_infoIfiiPfEEvT2_lT0_T1_ ; -- Begin function _ZN9rocsolver6v33100L16reset_batch_infoIfiiPfEEvT2_lT0_T1_
	.p2align	8
	.type	_ZN9rocsolver6v33100L16reset_batch_infoIfiiPfEEvT2_lT0_T1_,@function
_ZN9rocsolver6v33100L16reset_batch_infoIfiiPfEEvT2_lT0_T1_: ; @_ZN9rocsolver6v33100L16reset_batch_infoIfiiPfEEvT2_lT0_T1_
; %bb.0:
	s_clause 0x1
	s_load_b32 s5, s[0:1], 0x24
	s_load_b64 s[2:3], s[0:1], 0x10
	s_bfe_u32 s4, ttmp6, 0x4000c
	s_and_b32 s6, ttmp6, 15
	s_add_co_i32 s7, s4, 1
	s_getreg_b32 s4, hwreg(HW_REG_IB_STS2, 6, 4)
	s_mul_i32 s7, ttmp9, s7
	s_delay_alu instid0(SALU_CYCLE_1) | instskip(SKIP_4) | instid1(SALU_CYCLE_1)
	s_add_co_i32 s6, s6, s7
	s_wait_kmcnt 0x0
	s_and_b32 s5, s5, 0xffff
	s_cmp_eq_u32 s4, 0
	s_cselect_b32 s6, ttmp9, s6
	v_mad_u32 v0, s6, s5, v0
	s_delay_alu instid0(VALU_DEP_1)
	v_cmp_gt_i32_e32 vcc_lo, s2, v0
	s_and_saveexec_b32 s2, vcc_lo
	s_cbranch_execz .LBB23_2
; %bb.1:
	s_load_b128 s[8:11], s[0:1], 0x0
	s_wait_xcnt 0x0
	s_bfe_u32 s0, ttmp6, 0x40010
	s_bfe_u32 s1, ttmp6, 0x40004
	s_add_co_i32 s0, s0, 1
	s_cvt_f32_i32 s2, s3
	s_mul_i32 s0, ttmp7, s0
	s_delay_alu instid0(SALU_CYCLE_1) | instskip(SKIP_3) | instid1(SALU_CYCLE_1)
	s_add_co_i32 s1, s1, s0
	s_cmp_eq_u32 s4, 0
	v_mov_b32_e32 v1, s2
	s_cselect_b32 s0, ttmp7, s1
	s_ashr_i32 s1, s0, 31
	s_wait_kmcnt 0x0
	s_mul_u64 s[0:1], s[10:11], s[0:1]
	s_delay_alu instid0(SALU_CYCLE_1) | instskip(NEXT) | instid1(SALU_CYCLE_1)
	s_lshl_b64 s[0:1], s[0:1], 2
	s_add_nc_u64 s[0:1], s[8:9], s[0:1]
	global_store_b32 v0, v1, s[0:1] scale_offset
.LBB23_2:
	s_endpgm
	.section	.rodata,"a",@progbits
	.p2align	6, 0x0
	.amdhsa_kernel _ZN9rocsolver6v33100L16reset_batch_infoIfiiPfEEvT2_lT0_T1_
		.amdhsa_group_segment_fixed_size 0
		.amdhsa_private_segment_fixed_size 0
		.amdhsa_kernarg_size 280
		.amdhsa_user_sgpr_count 2
		.amdhsa_user_sgpr_dispatch_ptr 0
		.amdhsa_user_sgpr_queue_ptr 0
		.amdhsa_user_sgpr_kernarg_segment_ptr 1
		.amdhsa_user_sgpr_dispatch_id 0
		.amdhsa_user_sgpr_kernarg_preload_length 0
		.amdhsa_user_sgpr_kernarg_preload_offset 0
		.amdhsa_user_sgpr_private_segment_size 0
		.amdhsa_wavefront_size32 1
		.amdhsa_uses_dynamic_stack 0
		.amdhsa_enable_private_segment 0
		.amdhsa_system_sgpr_workgroup_id_x 1
		.amdhsa_system_sgpr_workgroup_id_y 1
		.amdhsa_system_sgpr_workgroup_id_z 0
		.amdhsa_system_sgpr_workgroup_info 0
		.amdhsa_system_vgpr_workitem_id 0
		.amdhsa_next_free_vgpr 2
		.amdhsa_next_free_sgpr 12
		.amdhsa_named_barrier_count 0
		.amdhsa_reserve_vcc 1
		.amdhsa_float_round_mode_32 0
		.amdhsa_float_round_mode_16_64 0
		.amdhsa_float_denorm_mode_32 3
		.amdhsa_float_denorm_mode_16_64 3
		.amdhsa_fp16_overflow 0
		.amdhsa_memory_ordered 1
		.amdhsa_forward_progress 1
		.amdhsa_inst_pref_size 2
		.amdhsa_round_robin_scheduling 0
		.amdhsa_exception_fp_ieee_invalid_op 0
		.amdhsa_exception_fp_denorm_src 0
		.amdhsa_exception_fp_ieee_div_zero 0
		.amdhsa_exception_fp_ieee_overflow 0
		.amdhsa_exception_fp_ieee_underflow 0
		.amdhsa_exception_fp_ieee_inexact 0
		.amdhsa_exception_int_div_zero 0
	.end_amdhsa_kernel
	.section	.text._ZN9rocsolver6v33100L16reset_batch_infoIfiiPfEEvT2_lT0_T1_,"axG",@progbits,_ZN9rocsolver6v33100L16reset_batch_infoIfiiPfEEvT2_lT0_T1_,comdat
.Lfunc_end23:
	.size	_ZN9rocsolver6v33100L16reset_batch_infoIfiiPfEEvT2_lT0_T1_, .Lfunc_end23-_ZN9rocsolver6v33100L16reset_batch_infoIfiiPfEEvT2_lT0_T1_
                                        ; -- End function
	.set _ZN9rocsolver6v33100L16reset_batch_infoIfiiPfEEvT2_lT0_T1_.num_vgpr, 2
	.set _ZN9rocsolver6v33100L16reset_batch_infoIfiiPfEEvT2_lT0_T1_.num_agpr, 0
	.set _ZN9rocsolver6v33100L16reset_batch_infoIfiiPfEEvT2_lT0_T1_.numbered_sgpr, 12
	.set _ZN9rocsolver6v33100L16reset_batch_infoIfiiPfEEvT2_lT0_T1_.num_named_barrier, 0
	.set _ZN9rocsolver6v33100L16reset_batch_infoIfiiPfEEvT2_lT0_T1_.private_seg_size, 0
	.set _ZN9rocsolver6v33100L16reset_batch_infoIfiiPfEEvT2_lT0_T1_.uses_vcc, 1
	.set _ZN9rocsolver6v33100L16reset_batch_infoIfiiPfEEvT2_lT0_T1_.uses_flat_scratch, 0
	.set _ZN9rocsolver6v33100L16reset_batch_infoIfiiPfEEvT2_lT0_T1_.has_dyn_sized_stack, 0
	.set _ZN9rocsolver6v33100L16reset_batch_infoIfiiPfEEvT2_lT0_T1_.has_recursion, 0
	.set _ZN9rocsolver6v33100L16reset_batch_infoIfiiPfEEvT2_lT0_T1_.has_indirect_call, 0
	.section	.AMDGPU.csdata,"",@progbits
; Kernel info:
; codeLenInByte = 196
; TotalNumSgprs: 14
; NumVgprs: 2
; ScratchSize: 0
; MemoryBound: 0
; FloatMode: 240
; IeeeMode: 1
; LDSByteSize: 0 bytes/workgroup (compile time only)
; SGPRBlocks: 0
; VGPRBlocks: 0
; NumSGPRsForWavesPerEU: 14
; NumVGPRsForWavesPerEU: 2
; NamedBarCnt: 0
; Occupancy: 16
; WaveLimiterHint : 0
; COMPUTE_PGM_RSRC2:SCRATCH_EN: 0
; COMPUTE_PGM_RSRC2:USER_SGPR: 2
; COMPUTE_PGM_RSRC2:TRAP_HANDLER: 0
; COMPUTE_PGM_RSRC2:TGID_X_EN: 1
; COMPUTE_PGM_RSRC2:TGID_Y_EN: 1
; COMPUTE_PGM_RSRC2:TGID_Z_EN: 0
; COMPUTE_PGM_RSRC2:TIDIG_COMP_CNT: 0
	.section	.text._ZN9rocsolver6v33100L8set_diagIfifPfTnNSt9enable_ifIXoont18rocblas_is_complexIT_E18rocblas_is_complexIT1_EEiE4typeELi0EEEvPS5_llT2_lT0_lSA_b,"axG",@progbits,_ZN9rocsolver6v33100L8set_diagIfifPfTnNSt9enable_ifIXoont18rocblas_is_complexIT_E18rocblas_is_complexIT1_EEiE4typeELi0EEEvPS5_llT2_lT0_lSA_b,comdat
	.globl	_ZN9rocsolver6v33100L8set_diagIfifPfTnNSt9enable_ifIXoont18rocblas_is_complexIT_E18rocblas_is_complexIT1_EEiE4typeELi0EEEvPS5_llT2_lT0_lSA_b ; -- Begin function _ZN9rocsolver6v33100L8set_diagIfifPfTnNSt9enable_ifIXoont18rocblas_is_complexIT_E18rocblas_is_complexIT1_EEiE4typeELi0EEEvPS5_llT2_lT0_lSA_b
	.p2align	8
	.type	_ZN9rocsolver6v33100L8set_diagIfifPfTnNSt9enable_ifIXoont18rocblas_is_complexIT_E18rocblas_is_complexIT1_EEiE4typeELi0EEEvPS5_llT2_lT0_lSA_b,@function
_ZN9rocsolver6v33100L8set_diagIfifPfTnNSt9enable_ifIXoont18rocblas_is_complexIT_E18rocblas_is_complexIT1_EEiE4typeELi0EEEvPS5_llT2_lT0_lSA_b: ; @_ZN9rocsolver6v33100L8set_diagIfifPfTnNSt9enable_ifIXoont18rocblas_is_complexIT_E18rocblas_is_complexIT1_EEiE4typeELi0EEEvPS5_llT2_lT0_lSA_b
; %bb.0:
	s_load_u16 s5, s[0:1], 0x4e
	s_bfe_u32 s2, ttmp6, 0x40010
	s_bfe_u32 s6, ttmp6, 0x40004
	s_add_co_i32 s4, s2, 1
	s_load_b64 s[2:3], s[0:1], 0x38
	s_mul_i32 s4, ttmp7, s4
	v_bfe_u32 v0, v0, 10, 10
	s_add_co_i32 s6, s6, s4
	s_getreg_b32 s4, hwreg(HW_REG_IB_STS2, 6, 4)
	s_delay_alu instid0(SALU_CYCLE_1) | instskip(SKIP_3) | instid1(VALU_DEP_1)
	s_cmp_eq_u32 s4, 0
	s_cselect_b32 s6, ttmp7, s6
	s_wait_kmcnt 0x0
	v_mad_u32 v0, s6, s5, v0
	v_cmp_gt_i32_e32 vcc_lo, s2, v0
	s_and_saveexec_b32 s2, vcc_lo
	s_cbranch_execz .LBB24_2
; %bb.1:
	s_clause 0x2
	s_load_b96 s[16:18], s[0:1], 0x20
	s_load_b64 s[6:7], s[0:1], 0x30
	s_load_b256 s[8:15], s[0:1], 0x0
	s_bitcmp1_b32 s3, 0
	s_cselect_b32 s19, -1, 0
	s_wait_xcnt 0x0
	s_bfe_u32 s0, ttmp6, 0x4000c
	s_and_b32 s1, ttmp6, 15
	s_add_co_i32 s0, s0, 1
	s_delay_alu instid0(SALU_CYCLE_1) | instskip(NEXT) | instid1(SALU_CYCLE_1)
	s_mul_i32 s0, ttmp9, s0
	s_add_co_i32 s1, s1, s0
	s_cmp_eq_u32 s4, 0
	s_cselect_b32 s0, ttmp9, s1
	s_delay_alu instid0(SALU_CYCLE_1)
	s_ashr_i32 s1, s0, 31
	s_wait_kmcnt 0x0
	v_mad_u32 v1, v0, s18, v0
	s_mul_u64 s[2:3], s[6:7], s[0:1]
	s_lshl_b64 s[4:5], s[16:17], 2
	s_lshl_b64 s[2:3], s[2:3], 2
	s_mul_u64 s[0:1], s[12:13], s[0:1]
	s_add_nc_u64 s[2:3], s[14:15], s[2:3]
	s_lshl_b64 s[0:1], s[0:1], 2
	s_add_nc_u64 s[2:3], s[2:3], s[4:5]
	s_add_nc_u64 s[0:1], s[8:9], s[0:1]
	s_lshl_b64 s[4:5], s[10:11], 2
	s_delay_alu instid0(SALU_CYCLE_1)
	s_add_nc_u64 s[0:1], s[0:1], s[4:5]
	global_load_b32 v2, v1, s[2:3] scale_offset
	s_wait_loadcnt 0x0
	v_cndmask_b32_e64 v3, v2, 1.0, s19
	global_store_b32 v0, v2, s[0:1] scale_offset
	global_store_b32 v1, v3, s[2:3] scale_offset
.LBB24_2:
	s_endpgm
	.section	.rodata,"a",@progbits
	.p2align	6, 0x0
	.amdhsa_kernel _ZN9rocsolver6v33100L8set_diagIfifPfTnNSt9enable_ifIXoont18rocblas_is_complexIT_E18rocblas_is_complexIT1_EEiE4typeELi0EEEvPS5_llT2_lT0_lSA_b
		.amdhsa_group_segment_fixed_size 0
		.amdhsa_private_segment_fixed_size 0
		.amdhsa_kernarg_size 320
		.amdhsa_user_sgpr_count 2
		.amdhsa_user_sgpr_dispatch_ptr 0
		.amdhsa_user_sgpr_queue_ptr 0
		.amdhsa_user_sgpr_kernarg_segment_ptr 1
		.amdhsa_user_sgpr_dispatch_id 0
		.amdhsa_user_sgpr_kernarg_preload_length 0
		.amdhsa_user_sgpr_kernarg_preload_offset 0
		.amdhsa_user_sgpr_private_segment_size 0
		.amdhsa_wavefront_size32 1
		.amdhsa_uses_dynamic_stack 0
		.amdhsa_enable_private_segment 0
		.amdhsa_system_sgpr_workgroup_id_x 1
		.amdhsa_system_sgpr_workgroup_id_y 1
		.amdhsa_system_sgpr_workgroup_id_z 0
		.amdhsa_system_sgpr_workgroup_info 0
		.amdhsa_system_vgpr_workitem_id 1
		.amdhsa_next_free_vgpr 4
		.amdhsa_next_free_sgpr 20
		.amdhsa_named_barrier_count 0
		.amdhsa_reserve_vcc 1
		.amdhsa_float_round_mode_32 0
		.amdhsa_float_round_mode_16_64 0
		.amdhsa_float_denorm_mode_32 3
		.amdhsa_float_denorm_mode_16_64 3
		.amdhsa_fp16_overflow 0
		.amdhsa_memory_ordered 1
		.amdhsa_forward_progress 1
		.amdhsa_inst_pref_size 3
		.amdhsa_round_robin_scheduling 0
		.amdhsa_exception_fp_ieee_invalid_op 0
		.amdhsa_exception_fp_denorm_src 0
		.amdhsa_exception_fp_ieee_div_zero 0
		.amdhsa_exception_fp_ieee_overflow 0
		.amdhsa_exception_fp_ieee_underflow 0
		.amdhsa_exception_fp_ieee_inexact 0
		.amdhsa_exception_int_div_zero 0
	.end_amdhsa_kernel
	.section	.text._ZN9rocsolver6v33100L8set_diagIfifPfTnNSt9enable_ifIXoont18rocblas_is_complexIT_E18rocblas_is_complexIT1_EEiE4typeELi0EEEvPS5_llT2_lT0_lSA_b,"axG",@progbits,_ZN9rocsolver6v33100L8set_diagIfifPfTnNSt9enable_ifIXoont18rocblas_is_complexIT_E18rocblas_is_complexIT1_EEiE4typeELi0EEEvPS5_llT2_lT0_lSA_b,comdat
.Lfunc_end24:
	.size	_ZN9rocsolver6v33100L8set_diagIfifPfTnNSt9enable_ifIXoont18rocblas_is_complexIT_E18rocblas_is_complexIT1_EEiE4typeELi0EEEvPS5_llT2_lT0_lSA_b, .Lfunc_end24-_ZN9rocsolver6v33100L8set_diagIfifPfTnNSt9enable_ifIXoont18rocblas_is_complexIT_E18rocblas_is_complexIT1_EEiE4typeELi0EEEvPS5_llT2_lT0_lSA_b
                                        ; -- End function
	.set _ZN9rocsolver6v33100L8set_diagIfifPfTnNSt9enable_ifIXoont18rocblas_is_complexIT_E18rocblas_is_complexIT1_EEiE4typeELi0EEEvPS5_llT2_lT0_lSA_b.num_vgpr, 4
	.set _ZN9rocsolver6v33100L8set_diagIfifPfTnNSt9enable_ifIXoont18rocblas_is_complexIT_E18rocblas_is_complexIT1_EEiE4typeELi0EEEvPS5_llT2_lT0_lSA_b.num_agpr, 0
	.set _ZN9rocsolver6v33100L8set_diagIfifPfTnNSt9enable_ifIXoont18rocblas_is_complexIT_E18rocblas_is_complexIT1_EEiE4typeELi0EEEvPS5_llT2_lT0_lSA_b.numbered_sgpr, 20
	.set _ZN9rocsolver6v33100L8set_diagIfifPfTnNSt9enable_ifIXoont18rocblas_is_complexIT_E18rocblas_is_complexIT1_EEiE4typeELi0EEEvPS5_llT2_lT0_lSA_b.num_named_barrier, 0
	.set _ZN9rocsolver6v33100L8set_diagIfifPfTnNSt9enable_ifIXoont18rocblas_is_complexIT_E18rocblas_is_complexIT1_EEiE4typeELi0EEEvPS5_llT2_lT0_lSA_b.private_seg_size, 0
	.set _ZN9rocsolver6v33100L8set_diagIfifPfTnNSt9enable_ifIXoont18rocblas_is_complexIT_E18rocblas_is_complexIT1_EEiE4typeELi0EEEvPS5_llT2_lT0_lSA_b.uses_vcc, 1
	.set _ZN9rocsolver6v33100L8set_diagIfifPfTnNSt9enable_ifIXoont18rocblas_is_complexIT_E18rocblas_is_complexIT1_EEiE4typeELi0EEEvPS5_llT2_lT0_lSA_b.uses_flat_scratch, 0
	.set _ZN9rocsolver6v33100L8set_diagIfifPfTnNSt9enable_ifIXoont18rocblas_is_complexIT_E18rocblas_is_complexIT1_EEiE4typeELi0EEEvPS5_llT2_lT0_lSA_b.has_dyn_sized_stack, 0
	.set _ZN9rocsolver6v33100L8set_diagIfifPfTnNSt9enable_ifIXoont18rocblas_is_complexIT_E18rocblas_is_complexIT1_EEiE4typeELi0EEEvPS5_llT2_lT0_lSA_b.has_recursion, 0
	.set _ZN9rocsolver6v33100L8set_diagIfifPfTnNSt9enable_ifIXoont18rocblas_is_complexIT_E18rocblas_is_complexIT1_EEiE4typeELi0EEEvPS5_llT2_lT0_lSA_b.has_indirect_call, 0
	.section	.AMDGPU.csdata,"",@progbits
; Kernel info:
; codeLenInByte = 284
; TotalNumSgprs: 22
; NumVgprs: 4
; ScratchSize: 0
; MemoryBound: 0
; FloatMode: 240
; IeeeMode: 1
; LDSByteSize: 0 bytes/workgroup (compile time only)
; SGPRBlocks: 0
; VGPRBlocks: 0
; NumSGPRsForWavesPerEU: 22
; NumVGPRsForWavesPerEU: 4
; NamedBarCnt: 0
; Occupancy: 16
; WaveLimiterHint : 0
; COMPUTE_PGM_RSRC2:SCRATCH_EN: 0
; COMPUTE_PGM_RSRC2:USER_SGPR: 2
; COMPUTE_PGM_RSRC2:TRAP_HANDLER: 0
; COMPUTE_PGM_RSRC2:TGID_X_EN: 1
; COMPUTE_PGM_RSRC2:TGID_Y_EN: 1
; COMPUTE_PGM_RSRC2:TGID_Z_EN: 0
; COMPUTE_PGM_RSRC2:TIDIG_COMP_CNT: 1
	.section	.text._ZN9rocsolver6v33100L11set_taubetaIfifPfEEvPT_lS4_T2_llPT1_ll,"axG",@progbits,_ZN9rocsolver6v33100L11set_taubetaIfifPfEEvPT_lS4_T2_llPT1_ll,comdat
	.globl	_ZN9rocsolver6v33100L11set_taubetaIfifPfEEvPT_lS4_T2_llPT1_ll ; -- Begin function _ZN9rocsolver6v33100L11set_taubetaIfifPfEEvPT_lS4_T2_llPT1_ll
	.p2align	8
	.type	_ZN9rocsolver6v33100L11set_taubetaIfifPfEEvPT_lS4_T2_llPT1_ll,@function
_ZN9rocsolver6v33100L11set_taubetaIfifPfEEvPT_lS4_T2_llPT1_ll: ; @_ZN9rocsolver6v33100L11set_taubetaIfifPfEEvPT_lS4_T2_llPT1_ll
; %bb.0:
	s_load_b512 s[4:19], s[0:1], 0x0
	s_bfe_u32 s2, ttmp6, 0x4000c
	s_and_b32 s3, ttmp6, 15
	s_add_co_i32 s2, s2, 1
	s_getreg_b32 s20, hwreg(HW_REG_IB_STS2, 6, 4)
	s_mul_i32 s2, ttmp9, s2
	s_mov_b32 s22, 0
	s_add_co_i32 s3, s3, s2
	s_cmp_eq_u32 s20, 0
	s_cselect_b32 s20, ttmp9, s3
	s_mov_b64 s[2:3], 0
	s_ashr_i32 s21, s20, 31
	s_wait_kmcnt 0x0
	s_cmp_eq_u64 s[16:17], 0
	s_cbranch_scc1 .LBB25_2
; %bb.1:
	s_load_b64 s[0:1], s[0:1], 0x40
	s_lshl_b64 s[2:3], s[18:19], 2
	s_wait_kmcnt 0x0
	s_mul_u64 s[0:1], s[0:1], s[20:21]
	s_delay_alu instid0(SALU_CYCLE_1) | instskip(NEXT) | instid1(SALU_CYCLE_1)
	s_lshl_b64 s[0:1], s[0:1], 2
	s_add_nc_u64 s[0:1], s[16:17], s[0:1]
	s_delay_alu instid0(SALU_CYCLE_1)
	s_add_nc_u64 s[2:3], s[0:1], s[2:3]
.LBB25_2:
	s_lshl_b64 s[0:1], s[20:21], 2
	s_mul_u64 s[6:7], s[6:7], s[20:21]
	s_add_nc_u64 s[8:9], s[8:9], s[0:1]
	s_mul_u64 s[0:1], s[14:15], s[20:21]
	s_load_b32 s16, s[8:9], 0x0
	s_lshl_b64 s[0:1], s[0:1], 2
	s_lshl_b64 s[12:13], s[12:13], 2
	s_lshl_b64 s[14:15], s[6:7], 2
	s_cmp_eq_u64 s[2:3], 0
	s_add_nc_u64 s[0:1], s[10:11], s[0:1]
	s_cselect_b32 s6, -1, 0
	s_cmp_lg_u64 s[2:3], 0
	s_add_nc_u64 s[0:1], s[0:1], s[12:13]
	s_cselect_b32 s7, -1, 0
	s_add_nc_u64 s[4:5], s[4:5], s[14:15]
	s_mov_b32 s10, 0
	s_wait_kmcnt 0x0
	s_cmp_ngt_f32 s16, 0
	s_cbranch_scc0 .LBB25_5
; %bb.3:
	v_dual_mov_b32 v1, 1.0 :: v_dual_mov_b32 v0, 0
	s_mov_b32 s11, 0
	s_and_b32 vcc_lo, exec_lo, s7
	s_clause 0x1
	global_store_b32 v0, v1, s[8:9]
	global_store_b32 v0, v0, s[4:5]
	s_cbranch_vccz .LBB25_6
; %bb.4:
	global_load_b32 v0, v0, s[0:1]
	s_mov_b32 s22, -1
	s_and_b32 vcc_lo, exec_lo, s11
	s_cbranch_vccnz .LBB25_7
	s_branch .LBB25_8
.LBB25_5:
	s_mov_b32 s11, -1
.LBB25_6:
                                        ; implicit-def: $vgpr0
	s_delay_alu instid0(SALU_CYCLE_1)
	s_and_b32 vcc_lo, exec_lo, s11
	s_cbranch_vccz .LBB25_8
.LBB25_7:
	s_wait_xcnt 0x1
	v_mov_b32_e32 v1, 0
	s_mov_b32 s22, s7
	global_load_b32 v2, v1, s[0:1]
	s_wait_loadcnt 0x0
	v_readfirstlane_b32 s10, v2
	v_cmp_le_f32_e32 vcc_lo, 0, v2
	s_fmac_f32 s16, s10, s10
	s_delay_alu instid0(SALU_CYCLE_3) | instskip(SKIP_1) | instid1(SALU_CYCLE_2)
	s_mul_f32 s10, s16, 0x4f800000
	s_cmp_lt_f32 s16, 0xf800000
	s_cselect_b32 s10, s10, s16
	s_delay_alu instid0(SALU_CYCLE_1) | instskip(SKIP_1) | instid1(TRANS32_DEP_1)
	v_s_sqrt_f32 s11, s10
	s_mov_b32 s13, s10
	s_add_co_i32 s12, s11, -1
	s_delay_alu instid0(SALU_CYCLE_1) | instskip(NEXT) | instid1(SALU_CYCLE_1)
	s_xor_b32 s14, s12, 0x80000000
	s_fmac_f32 s13, s14, s11
	s_mov_b32 s14, s10
	s_delay_alu instid0(SALU_CYCLE_2) | instskip(SKIP_2) | instid1(SALU_CYCLE_1)
	s_cmp_le_f32 s13, 0
	s_cselect_b32 s12, s12, s11
	s_add_co_i32 s13, s11, 1
	s_xor_b32 s15, s13, 0x80000000
	s_delay_alu instid0(SALU_CYCLE_1) | instskip(SKIP_1) | instid1(SALU_CYCLE_2)
	s_fmac_f32 s14, s15, s11
	v_cmp_class_f32_e64 s11, s10, 0x260
	s_cmp_gt_f32 s14, 0
	s_cselect_b32 s12, s13, s12
	s_cmp_lt_f32 s16, 0xf800000
	s_mul_f32 s13, s12, 0x37800000
	s_delay_alu instid0(SALU_CYCLE_3) | instskip(SKIP_2) | instid1(SALU_CYCLE_1)
	s_cselect_b32 s12, s13, s12
	s_and_b32 s11, s11, exec_lo
	s_cselect_b32 s10, s10, s12
	s_xor_b32 s11, s10, 0x80000000
	s_wait_xcnt 0x1
	v_mov_b32_e32 v0, s11
	s_delay_alu instid0(VALU_DEP_1) | instskip(SKIP_1) | instid1(VALU_DEP_1)
	v_cndmask_b32_e32 v0, s10, v0, vcc_lo
	s_mov_b32 s10, s6
	v_sub_f32_e32 v2, v2, v0
	s_delay_alu instid0(VALU_DEP_1) | instskip(SKIP_1) | instid1(VALU_DEP_2)
	v_div_scale_f32 v3, null, v2, v2, 1.0
	v_div_scale_f32 v6, vcc_lo, 1.0, v2, 1.0
	v_rcp_f32_e32 v4, v3
	v_nop
	v_xor_b32_e32 v3, 0x80000000, v3
	s_delay_alu instid0(TRANS32_DEP_1) | instid1(VALU_DEP_1)
	v_fma_f32 v5, v3, v4, 1.0
	s_delay_alu instid0(VALU_DEP_1) | instskip(NEXT) | instid1(VALU_DEP_1)
	v_fmac_f32_e32 v4, v5, v4
	v_mul_f32_e32 v5, v6, v4
	s_delay_alu instid0(VALU_DEP_1) | instskip(NEXT) | instid1(VALU_DEP_1)
	v_fma_f32 v7, v3, v5, v6
	v_fmac_f32_e32 v5, v7, v4
	s_delay_alu instid0(VALU_DEP_1) | instskip(NEXT) | instid1(VALU_DEP_1)
	v_fmac_f32_e32 v6, v3, v5
	v_div_fmas_f32 v3, v6, v4, v5
	s_delay_alu instid0(VALU_DEP_1)
	v_div_fixup_f32 v2, v3, v2, 1.0
	s_clause 0x1
	global_store_b32 v1, v2, s[8:9]
	global_load_b32 v2, v1, s[0:1]
	s_wait_loadcnt 0x0
	v_sub_f32_e32 v2, v0, v2
	s_delay_alu instid0(VALU_DEP_1) | instskip(NEXT) | instid1(VALU_DEP_1)
	v_div_scale_f32 v3, null, v0, v0, v2
	v_rcp_f32_e32 v4, v3
	v_nop
	v_xor_b32_e32 v3, 0x80000000, v3
	s_delay_alu instid0(TRANS32_DEP_1) | instid1(VALU_DEP_1)
	v_fma_f32 v5, v3, v4, 1.0
	s_delay_alu instid0(VALU_DEP_1) | instskip(SKIP_1) | instid1(VALU_DEP_1)
	v_fmac_f32_e32 v4, v5, v4
	v_div_scale_f32 v5, vcc_lo, v2, v0, v2
	v_mul_f32_e32 v6, v5, v4
	s_delay_alu instid0(VALU_DEP_1) | instskip(NEXT) | instid1(VALU_DEP_1)
	v_fma_f32 v7, v3, v6, v5
	v_fmac_f32_e32 v6, v7, v4
	s_delay_alu instid0(VALU_DEP_1) | instskip(NEXT) | instid1(VALU_DEP_1)
	v_fmac_f32_e32 v5, v3, v6
	v_div_fmas_f32 v3, v5, v4, v6
	s_delay_alu instid0(VALU_DEP_1)
	v_div_fixup_f32 v2, v3, v0, v2
	global_store_b32 v1, v2, s[4:5]
.LBB25_8:
	s_and_not1_b32 vcc_lo, exec_lo, s22
	s_cbranch_vccz .LBB25_11
; %bb.9:
	s_and_not1_b32 vcc_lo, exec_lo, s10
	s_cbranch_vccz .LBB25_12
; %bb.10:
	s_endpgm
.LBB25_11:
	s_wait_xcnt 0x0
	v_mov_b32_e32 v1, 0
	s_wait_loadcnt 0x0
	global_store_b32 v1, v0, s[2:3]
	s_wait_xcnt 0x0
	v_mov_b32_e32 v0, 1.0
.LBB25_12:
	s_wait_xcnt 0x0
	v_mov_b32_e32 v1, 0
	s_wait_loadcnt 0x0
	global_store_b32 v1, v0, s[0:1]
	s_endpgm
	.section	.rodata,"a",@progbits
	.p2align	6, 0x0
	.amdhsa_kernel _ZN9rocsolver6v33100L11set_taubetaIfifPfEEvPT_lS4_T2_llPT1_ll
		.amdhsa_group_segment_fixed_size 0
		.amdhsa_private_segment_fixed_size 0
		.amdhsa_kernarg_size 72
		.amdhsa_user_sgpr_count 2
		.amdhsa_user_sgpr_dispatch_ptr 0
		.amdhsa_user_sgpr_queue_ptr 0
		.amdhsa_user_sgpr_kernarg_segment_ptr 1
		.amdhsa_user_sgpr_dispatch_id 0
		.amdhsa_user_sgpr_kernarg_preload_length 0
		.amdhsa_user_sgpr_kernarg_preload_offset 0
		.amdhsa_user_sgpr_private_segment_size 0
		.amdhsa_wavefront_size32 1
		.amdhsa_uses_dynamic_stack 0
		.amdhsa_enable_private_segment 0
		.amdhsa_system_sgpr_workgroup_id_x 1
		.amdhsa_system_sgpr_workgroup_id_y 0
		.amdhsa_system_sgpr_workgroup_id_z 0
		.amdhsa_system_sgpr_workgroup_info 0
		.amdhsa_system_vgpr_workitem_id 0
		.amdhsa_next_free_vgpr 8
		.amdhsa_next_free_sgpr 23
		.amdhsa_named_barrier_count 0
		.amdhsa_reserve_vcc 1
		.amdhsa_float_round_mode_32 0
		.amdhsa_float_round_mode_16_64 0
		.amdhsa_float_denorm_mode_32 3
		.amdhsa_float_denorm_mode_16_64 3
		.amdhsa_fp16_overflow 0
		.amdhsa_memory_ordered 1
		.amdhsa_forward_progress 1
		.amdhsa_inst_pref_size 7
		.amdhsa_round_robin_scheduling 0
		.amdhsa_exception_fp_ieee_invalid_op 0
		.amdhsa_exception_fp_denorm_src 0
		.amdhsa_exception_fp_ieee_div_zero 0
		.amdhsa_exception_fp_ieee_overflow 0
		.amdhsa_exception_fp_ieee_underflow 0
		.amdhsa_exception_fp_ieee_inexact 0
		.amdhsa_exception_int_div_zero 0
	.end_amdhsa_kernel
	.section	.text._ZN9rocsolver6v33100L11set_taubetaIfifPfEEvPT_lS4_T2_llPT1_ll,"axG",@progbits,_ZN9rocsolver6v33100L11set_taubetaIfifPfEEvPT_lS4_T2_llPT1_ll,comdat
.Lfunc_end25:
	.size	_ZN9rocsolver6v33100L11set_taubetaIfifPfEEvPT_lS4_T2_llPT1_ll, .Lfunc_end25-_ZN9rocsolver6v33100L11set_taubetaIfifPfEEvPT_lS4_T2_llPT1_ll
                                        ; -- End function
	.set _ZN9rocsolver6v33100L11set_taubetaIfifPfEEvPT_lS4_T2_llPT1_ll.num_vgpr, 8
	.set _ZN9rocsolver6v33100L11set_taubetaIfifPfEEvPT_lS4_T2_llPT1_ll.num_agpr, 0
	.set _ZN9rocsolver6v33100L11set_taubetaIfifPfEEvPT_lS4_T2_llPT1_ll.numbered_sgpr, 23
	.set _ZN9rocsolver6v33100L11set_taubetaIfifPfEEvPT_lS4_T2_llPT1_ll.num_named_barrier, 0
	.set _ZN9rocsolver6v33100L11set_taubetaIfifPfEEvPT_lS4_T2_llPT1_ll.private_seg_size, 0
	.set _ZN9rocsolver6v33100L11set_taubetaIfifPfEEvPT_lS4_T2_llPT1_ll.uses_vcc, 1
	.set _ZN9rocsolver6v33100L11set_taubetaIfifPfEEvPT_lS4_T2_llPT1_ll.uses_flat_scratch, 0
	.set _ZN9rocsolver6v33100L11set_taubetaIfifPfEEvPT_lS4_T2_llPT1_ll.has_dyn_sized_stack, 0
	.set _ZN9rocsolver6v33100L11set_taubetaIfifPfEEvPT_lS4_T2_llPT1_ll.has_recursion, 0
	.set _ZN9rocsolver6v33100L11set_taubetaIfifPfEEvPT_lS4_T2_llPT1_ll.has_indirect_call, 0
	.section	.AMDGPU.csdata,"",@progbits
; Kernel info:
; codeLenInByte = 836
; TotalNumSgprs: 25
; NumVgprs: 8
; ScratchSize: 0
; MemoryBound: 0
; FloatMode: 240
; IeeeMode: 1
; LDSByteSize: 0 bytes/workgroup (compile time only)
; SGPRBlocks: 0
; VGPRBlocks: 0
; NumSGPRsForWavesPerEU: 25
; NumVGPRsForWavesPerEU: 8
; NamedBarCnt: 0
; Occupancy: 16
; WaveLimiterHint : 0
; COMPUTE_PGM_RSRC2:SCRATCH_EN: 0
; COMPUTE_PGM_RSRC2:USER_SGPR: 2
; COMPUTE_PGM_RSRC2:TRAP_HANDLER: 0
; COMPUTE_PGM_RSRC2:TGID_X_EN: 1
; COMPUTE_PGM_RSRC2:TGID_Y_EN: 0
; COMPUTE_PGM_RSRC2:TGID_Z_EN: 0
; COMPUTE_PGM_RSRC2:TIDIG_COMP_CNT: 0
	.section	.text._ZN9rocsolver6v33100L13conj_in_placeIfiPfTnNSt9enable_ifIXnt18rocblas_is_complexIT_EEiE4typeELi0EEEvT0_S7_T1_lS7_l,"axG",@progbits,_ZN9rocsolver6v33100L13conj_in_placeIfiPfTnNSt9enable_ifIXnt18rocblas_is_complexIT_EEiE4typeELi0EEEvT0_S7_T1_lS7_l,comdat
	.globl	_ZN9rocsolver6v33100L13conj_in_placeIfiPfTnNSt9enable_ifIXnt18rocblas_is_complexIT_EEiE4typeELi0EEEvT0_S7_T1_lS7_l ; -- Begin function _ZN9rocsolver6v33100L13conj_in_placeIfiPfTnNSt9enable_ifIXnt18rocblas_is_complexIT_EEiE4typeELi0EEEvT0_S7_T1_lS7_l
	.p2align	8
	.type	_ZN9rocsolver6v33100L13conj_in_placeIfiPfTnNSt9enable_ifIXnt18rocblas_is_complexIT_EEiE4typeELi0EEEvT0_S7_T1_lS7_l,@function
_ZN9rocsolver6v33100L13conj_in_placeIfiPfTnNSt9enable_ifIXnt18rocblas_is_complexIT_EEiE4typeELi0EEEvT0_S7_T1_lS7_l: ; @_ZN9rocsolver6v33100L13conj_in_placeIfiPfTnNSt9enable_ifIXnt18rocblas_is_complexIT_EEiE4typeELi0EEEvT0_S7_T1_lS7_l
; %bb.0:
	s_endpgm
	.section	.rodata,"a",@progbits
	.p2align	6, 0x0
	.amdhsa_kernel _ZN9rocsolver6v33100L13conj_in_placeIfiPfTnNSt9enable_ifIXnt18rocblas_is_complexIT_EEiE4typeELi0EEEvT0_S7_T1_lS7_l
		.amdhsa_group_segment_fixed_size 0
		.amdhsa_private_segment_fixed_size 0
		.amdhsa_kernarg_size 40
		.amdhsa_user_sgpr_count 2
		.amdhsa_user_sgpr_dispatch_ptr 0
		.amdhsa_user_sgpr_queue_ptr 0
		.amdhsa_user_sgpr_kernarg_segment_ptr 1
		.amdhsa_user_sgpr_dispatch_id 0
		.amdhsa_user_sgpr_kernarg_preload_length 0
		.amdhsa_user_sgpr_kernarg_preload_offset 0
		.amdhsa_user_sgpr_private_segment_size 0
		.amdhsa_wavefront_size32 1
		.amdhsa_uses_dynamic_stack 0
		.amdhsa_enable_private_segment 0
		.amdhsa_system_sgpr_workgroup_id_x 1
		.amdhsa_system_sgpr_workgroup_id_y 0
		.amdhsa_system_sgpr_workgroup_id_z 0
		.amdhsa_system_sgpr_workgroup_info 0
		.amdhsa_system_vgpr_workitem_id 0
		.amdhsa_next_free_vgpr 1
		.amdhsa_next_free_sgpr 1
		.amdhsa_named_barrier_count 0
		.amdhsa_reserve_vcc 0
		.amdhsa_float_round_mode_32 0
		.amdhsa_float_round_mode_16_64 0
		.amdhsa_float_denorm_mode_32 3
		.amdhsa_float_denorm_mode_16_64 3
		.amdhsa_fp16_overflow 0
		.amdhsa_memory_ordered 1
		.amdhsa_forward_progress 1
		.amdhsa_inst_pref_size 1
		.amdhsa_round_robin_scheduling 0
		.amdhsa_exception_fp_ieee_invalid_op 0
		.amdhsa_exception_fp_denorm_src 0
		.amdhsa_exception_fp_ieee_div_zero 0
		.amdhsa_exception_fp_ieee_overflow 0
		.amdhsa_exception_fp_ieee_underflow 0
		.amdhsa_exception_fp_ieee_inexact 0
		.amdhsa_exception_int_div_zero 0
	.end_amdhsa_kernel
	.section	.text._ZN9rocsolver6v33100L13conj_in_placeIfiPfTnNSt9enable_ifIXnt18rocblas_is_complexIT_EEiE4typeELi0EEEvT0_S7_T1_lS7_l,"axG",@progbits,_ZN9rocsolver6v33100L13conj_in_placeIfiPfTnNSt9enable_ifIXnt18rocblas_is_complexIT_EEiE4typeELi0EEEvT0_S7_T1_lS7_l,comdat
.Lfunc_end26:
	.size	_ZN9rocsolver6v33100L13conj_in_placeIfiPfTnNSt9enable_ifIXnt18rocblas_is_complexIT_EEiE4typeELi0EEEvT0_S7_T1_lS7_l, .Lfunc_end26-_ZN9rocsolver6v33100L13conj_in_placeIfiPfTnNSt9enable_ifIXnt18rocblas_is_complexIT_EEiE4typeELi0EEEvT0_S7_T1_lS7_l
                                        ; -- End function
	.set _ZN9rocsolver6v33100L13conj_in_placeIfiPfTnNSt9enable_ifIXnt18rocblas_is_complexIT_EEiE4typeELi0EEEvT0_S7_T1_lS7_l.num_vgpr, 0
	.set _ZN9rocsolver6v33100L13conj_in_placeIfiPfTnNSt9enable_ifIXnt18rocblas_is_complexIT_EEiE4typeELi0EEEvT0_S7_T1_lS7_l.num_agpr, 0
	.set _ZN9rocsolver6v33100L13conj_in_placeIfiPfTnNSt9enable_ifIXnt18rocblas_is_complexIT_EEiE4typeELi0EEEvT0_S7_T1_lS7_l.numbered_sgpr, 0
	.set _ZN9rocsolver6v33100L13conj_in_placeIfiPfTnNSt9enable_ifIXnt18rocblas_is_complexIT_EEiE4typeELi0EEEvT0_S7_T1_lS7_l.num_named_barrier, 0
	.set _ZN9rocsolver6v33100L13conj_in_placeIfiPfTnNSt9enable_ifIXnt18rocblas_is_complexIT_EEiE4typeELi0EEEvT0_S7_T1_lS7_l.private_seg_size, 0
	.set _ZN9rocsolver6v33100L13conj_in_placeIfiPfTnNSt9enable_ifIXnt18rocblas_is_complexIT_EEiE4typeELi0EEEvT0_S7_T1_lS7_l.uses_vcc, 0
	.set _ZN9rocsolver6v33100L13conj_in_placeIfiPfTnNSt9enable_ifIXnt18rocblas_is_complexIT_EEiE4typeELi0EEEvT0_S7_T1_lS7_l.uses_flat_scratch, 0
	.set _ZN9rocsolver6v33100L13conj_in_placeIfiPfTnNSt9enable_ifIXnt18rocblas_is_complexIT_EEiE4typeELi0EEEvT0_S7_T1_lS7_l.has_dyn_sized_stack, 0
	.set _ZN9rocsolver6v33100L13conj_in_placeIfiPfTnNSt9enable_ifIXnt18rocblas_is_complexIT_EEiE4typeELi0EEEvT0_S7_T1_lS7_l.has_recursion, 0
	.set _ZN9rocsolver6v33100L13conj_in_placeIfiPfTnNSt9enable_ifIXnt18rocblas_is_complexIT_EEiE4typeELi0EEEvT0_S7_T1_lS7_l.has_indirect_call, 0
	.section	.AMDGPU.csdata,"",@progbits
; Kernel info:
; codeLenInByte = 4
; TotalNumSgprs: 0
; NumVgprs: 0
; ScratchSize: 0
; MemoryBound: 0
; FloatMode: 240
; IeeeMode: 1
; LDSByteSize: 0 bytes/workgroup (compile time only)
; SGPRBlocks: 0
; VGPRBlocks: 0
; NumSGPRsForWavesPerEU: 1
; NumVGPRsForWavesPerEU: 1
; NamedBarCnt: 0
; Occupancy: 16
; WaveLimiterHint : 0
; COMPUTE_PGM_RSRC2:SCRATCH_EN: 0
; COMPUTE_PGM_RSRC2:USER_SGPR: 2
; COMPUTE_PGM_RSRC2:TRAP_HANDLER: 0
; COMPUTE_PGM_RSRC2:TGID_X_EN: 1
; COMPUTE_PGM_RSRC2:TGID_Y_EN: 0
; COMPUTE_PGM_RSRC2:TGID_Z_EN: 0
; COMPUTE_PGM_RSRC2:TIDIG_COMP_CNT: 0
	.section	.text._ZN9rocsolver6v33100L16larf_left_kernelILi1024EfiPfEEvT1_S3_T2_lS3_lPKT0_lS4_lS3_l,"axG",@progbits,_ZN9rocsolver6v33100L16larf_left_kernelILi1024EfiPfEEvT1_S3_T2_lS3_lPKT0_lS4_lS3_l,comdat
	.globl	_ZN9rocsolver6v33100L16larf_left_kernelILi1024EfiPfEEvT1_S3_T2_lS3_lPKT0_lS4_lS3_l ; -- Begin function _ZN9rocsolver6v33100L16larf_left_kernelILi1024EfiPfEEvT1_S3_T2_lS3_lPKT0_lS4_lS3_l
	.p2align	8
	.type	_ZN9rocsolver6v33100L16larf_left_kernelILi1024EfiPfEEvT1_S3_T2_lS3_lPKT0_lS4_lS3_l,@function
_ZN9rocsolver6v33100L16larf_left_kernelILi1024EfiPfEEvT1_S3_T2_lS3_lPKT0_lS4_lS3_l: ; @_ZN9rocsolver6v33100L16larf_left_kernelILi1024EfiPfEEvT1_S3_T2_lS3_lPKT0_lS4_lS3_l
; %bb.0:
	s_clause 0x3
	s_load_b96 s[16:18], s[0:1], 0x40
	s_load_b32 s30, s[0:1], 0x0
	s_load_b64 s[2:3], s[0:1], 0x50
	s_load_b256 s[4:11], s[0:1], 0x20
	s_bfe_u32 s12, ttmp6, 0x40010
	s_bfe_u32 s19, ttmp6, 0x40014
	s_and_b32 s14, ttmp7, 0xffff
	s_lshr_b32 s15, ttmp7, 16
	s_add_co_i32 s12, s12, 1
	s_add_co_i32 s19, s19, 1
	s_bfe_u32 s13, ttmp6, 0x40004
	s_bfe_u32 s20, ttmp6, 0x40008
	s_mul_i32 s12, s14, s12
	s_mul_i32 s19, s15, s19
	s_getreg_b32 s22, hwreg(HW_REG_IB_STS2, 6, 4)
	s_add_co_i32 s23, s13, s12
	s_add_co_i32 s20, s20, s19
	s_mov_b32 s21, 0
	v_mov_b32_e32 v3, 0
	s_wait_kmcnt 0x0
	s_ashr_i32 s13, s18, 31
	s_cmp_eq_u32 s22, 0
	v_cmp_gt_i32_e32 vcc_lo, s30, v0
	v_xad_u32 v6, v0, -1, s30
	s_mov_b32 s12, s18
	s_cselect_b32 s20, s15, s20
	s_cselect_b32 s14, s14, s23
	s_mov_b32 s15, s21
	s_mul_u64 s[2:3], s[2:3], s[20:21]
	s_mul_u64 s[18:19], s[12:13], s[14:15]
	s_and_saveexec_b32 s31, vcc_lo
	s_cbranch_execz .LBB27_12
; %bb.1:
	s_clause 0x1
	s_load_b32 s22, s[0:1], 0x18
	s_load_b128 s[12:15], s[0:1], 0x8
	s_sub_co_i32 s24, 1, s30
	v_lshl_add_u32 v7, v0, 2, 0x80
	v_mov_b32_e32 v2, v0
	s_mul_u64 s[4:5], s[4:5], s[20:21]
	s_mov_b32 s26, -1
                                        ; implicit-def: $vgpr8
	s_wait_kmcnt 0x0
	s_ashr_i32 s23, s22, 31
	s_mul_i32 s24, s22, s24
	v_cmp_lt_i64_e64 s1, s[22:23], 1
	s_and_b32 s1, s1, exec_lo
	s_cselect_b32 s24, s24, 0
	s_mov_b32 s1, exec_lo
	s_ashr_i32 s25, s24, 31
	v_cmpx_lt_u32_e32 0x3ff, v6
	s_cbranch_execz .LBB27_5
; %bb.2:
	v_dual_lshrrev_b32 v1, 10, v6 :: v_dual_mov_b32 v3, 0
	v_lshl_add_u32 v8, v0, 2, 0x80
	s_lshl_b64 s[26:27], s[4:5], 2
	s_lshl_b64 s[28:29], s[14:15], 2
	s_delay_alu instid0(VALU_DEP_2)
	v_add_nc_u32_e32 v9, 1, v1
	v_or_b32_e32 v1, 0x400, v0
	v_add_nc_u32_e32 v11, 0, v8
	s_add_nc_u64 s[26:27], s[12:13], s[26:27]
	s_lshl_b64 s[34:35], s[24:25], 2
	v_and_b32_e32 v10, 0x7ffffe, v9
	v_mov_b64_e32 v[4:5], v[0:1]
	s_add_nc_u64 s[26:27], s[26:27], s[28:29]
	s_mov_b32 s28, s22
	s_add_nc_u64 s[26:27], s[26:27], s[34:35]
	v_mov_b32_e32 v12, v10
	s_mov_b32 s29, s23
	s_mov_b32 s33, 0
.LBB27_3:                               ; =>This Inner Loop Header: Depth=1
	v_dual_mov_b32 v2, v4 :: v_dual_mov_b32 v14, v5
	s_delay_alu instid0(VALU_DEP_2) | instskip(SKIP_1) | instid1(VALU_DEP_3)
	v_dual_mov_b32 v15, v3 :: v_dual_add_nc_u32 v12, -2, v12
	v_add_nc_u32_e32 v5, 0x800, v5
	v_mul_u64_e32 v[16:17], s[22:23], v[2:3]
	v_add_nc_u32_e32 v4, 0x800, v4
	s_delay_alu instid0(VALU_DEP_4)
	v_mul_u64_e32 v[14:15], s[28:29], v[14:15]
	v_cmp_eq_u32_e64 s0, 0, v12
	s_or_b32 s33, s0, s33
	v_lshl_add_u64 v[16:17], v[16:17], 2, s[26:27]
	v_lshl_add_u64 v[14:15], v[14:15], 2, s[26:27]
	s_clause 0x1
	global_load_b32 v1, v[16:17], off
	global_load_b32 v2, v[14:15], off
	s_wait_loadcnt 0x0
	ds_store_2addr_stride64_b32 v11, v1, v2 offset1:16
	v_add_nc_u32_e32 v11, 0x2000, v11
	s_wait_xcnt 0x0
	s_and_not1_b32 exec_lo, exec_lo, s33
	s_cbranch_execnz .LBB27_3
; %bb.4:
	s_or_b32 exec_lo, exec_lo, s33
	v_cmp_ne_u32_e64 s0, v9, v10
	v_lshl_or_b32 v2, v10, 10, v0
	s_or_not1_b32 s26, s0, exec_lo
.LBB27_5:
	s_or_b32 exec_lo, exec_lo, s1
	s_and_saveexec_b32 s1, s26
	s_cbranch_execz .LBB27_9
; %bb.6:
	v_dual_mov_b32 v3, 0 :: v_dual_lshlrev_b32 v1, 2, v2
	s_lshl_b64 s[24:25], s[24:25], 2
	s_lshl_b64 s[14:15], s[14:15], 2
	s_add_nc_u64 s[12:13], s[12:13], s[24:25]
	s_delay_alu instid0(VALU_DEP_1)
	v_mul_u64_e32 v[4:5], s[22:23], v[2:3]
	s_lshl_b64 s[4:5], s[4:5], 2
	s_add_nc_u64 s[12:13], s[12:13], s[14:15]
	v_add3_u32 v1, v1, 0, 0x80
	s_add_nc_u64 s[4:5], s[12:13], s[4:5]
	s_mov_b32 s12, 0
	s_delay_alu instid0(VALU_DEP_2)
	v_lshl_add_u64 v[4:5], v[4:5], 2, s[4:5]
	s_lshl_b64 s[4:5], s[22:23], 12
.LBB27_7:                               ; =>This Inner Loop Header: Depth=1
	global_load_b32 v3, v[4:5], off
	v_add_nc_u32_e32 v2, 0x400, v2
	s_wait_xcnt 0x0
	v_add_nc_u64_e32 v[4:5], s[4:5], v[4:5]
	s_delay_alu instid0(VALU_DEP_2)
	v_cmp_le_i32_e64 s0, s30, v2
	s_or_b32 s12, s0, s12
	s_wait_loadcnt 0x0
	ds_store_b32 v1, v3
	v_add_nc_u32_e32 v1, 0x1000, v1
	s_and_not1_b32 exec_lo, exec_lo, s12
	s_cbranch_execnz .LBB27_7
; %bb.8:
	s_or_b32 exec_lo, exec_lo, s12
	v_mov_b32_e32 v8, v7
.LBB27_9:
	s_or_b32 exec_lo, exec_lo, s1
	s_lshl_b64 s[0:1], s[2:3], 2
	s_lshl_b64 s[4:5], s[18:19], 2
	v_dual_mov_b32 v3, 0 :: v_dual_lshlrev_b32 v2, 2, v0
	s_add_nc_u64 s[0:1], s[0:1], s[4:5]
	s_lshl_b64 s[4:5], s[16:17], 2
	v_add_nc_u32_e32 v1, 0, v8
	s_add_nc_u64 s[0:1], s[0:1], s[4:5]
	s_delay_alu instid0(SALU_CYCLE_1) | instskip(NEXT) | instid1(SALU_CYCLE_1)
	s_add_nc_u64 s[0:1], s[10:11], s[0:1]
	v_add_nc_u64_e32 v[4:5], s[0:1], v[2:3]
	v_mov_b32_e32 v2, v0
	s_mov_b32 s1, 0
.LBB27_10:                              ; =>This Inner Loop Header: Depth=1
	global_load_b32 v7, v[4:5], off
	ds_load_b32 v8, v1
	v_add_nc_u32_e32 v2, 0x400, v2
	s_wait_xcnt 0x0
	v_add_nc_u64_e32 v[4:5], 0x1000, v[4:5]
	v_add_nc_u32_e32 v1, 0x1000, v1
	s_wait_loadcnt_dscnt 0x0
	v_fmac_f32_e32 v3, v7, v8
	v_cmp_le_i32_e64 s0, s30, v2
	s_or_b32 s1, s0, s1
	s_delay_alu instid0(SALU_CYCLE_1)
	s_and_not1_b32 exec_lo, exec_lo, s1
	s_cbranch_execnz .LBB27_10
; %bb.11:
	s_or_b32 exec_lo, exec_lo, s1
.LBB27_12:
	s_delay_alu instid0(SALU_CYCLE_1) | instskip(SKIP_2) | instid1(VALU_DEP_1)
	s_or_b32 exec_lo, exec_lo, s31
	v_mbcnt_lo_u32_b32 v1, -1, 0
	s_mov_b32 s1, exec_lo
	v_cmp_ne_u32_e64 s0, 31, v1
	s_delay_alu instid0(VALU_DEP_1) | instskip(SKIP_1) | instid1(VALU_DEP_2)
	v_add_co_ci_u32_e64 v2, null, 0, v1, s0
	v_cmp_gt_u32_e64 s0, 30, v1
	v_lshlrev_b32_e32 v2, 2, v2
	s_delay_alu instid0(VALU_DEP_2)
	v_cndmask_b32_e64 v4, 0, 2, s0
	v_cmp_gt_u32_e64 s0, 28, v1
	ds_bpermute_b32 v2, v2, v3
	v_add_lshl_u32 v4, v4, v1, 2
	s_wait_dscnt 0x0
	v_add_f32_e32 v2, v3, v2
	ds_bpermute_b32 v3, v4, v2
	v_cndmask_b32_e64 v4, 0, 4, s0
	v_cmp_gt_u32_e64 s0, 24, v1
	s_delay_alu instid0(VALU_DEP_2) | instskip(SKIP_4) | instid1(VALU_DEP_1)
	v_add_lshl_u32 v4, v4, v1, 2
	s_wait_dscnt 0x0
	v_add_f32_e32 v2, v2, v3
	ds_bpermute_b32 v3, v4, v2
	v_cndmask_b32_e64 v4, 0, 8, s0
	v_add_lshl_u32 v4, v4, v1, 2
	v_lshl_or_b32 v1, v1, 2, 64
	s_wait_dscnt 0x0
	v_add_f32_e32 v2, v2, v3
	ds_bpermute_b32 v3, v4, v2
	s_wait_dscnt 0x0
	v_dual_add_f32 v2, v2, v3 :: v_dual_bitop2_b32 v3, 31, v0 bitop3:0x40
	ds_bpermute_b32 v1, v1, v2
	s_wait_dscnt 0x0
	v_add_f32_e32 v1, v2, v1
	v_cmpx_eq_u32_e32 0, v3
; %bb.13:
	v_lshrrev_b32_e32 v2, 3, v0
	s_delay_alu instid0(VALU_DEP_1)
	v_add_nc_u32_e32 v2, 0, v2
	ds_store_b32 v2, v1
; %bb.14:
	s_or_b32 exec_lo, exec_lo, s1
	s_delay_alu instid0(SALU_CYCLE_1)
	s_mov_b32 s1, exec_lo
	s_wait_dscnt 0x0
	s_barrier_signal -1
	s_barrier_wait -1
	v_cmpx_eq_u32_e32 0, v0
	s_cbranch_execz .LBB27_16
; %bb.15:
	v_mov_b32_e32 v7, 0
	ds_load_2addr_b32 v[2:3], v7 offset0:1 offset1:2
	ds_load_2addr_b32 v[4:5], v7 offset0:3 offset1:4
	;; [unrolled: 1-line block ×4, first 2 shown]
	s_wait_dscnt 0x3
	v_add_f32_e32 v1, v1, v2
	s_delay_alu instid0(VALU_DEP_1) | instskip(SKIP_3) | instid1(VALU_DEP_1)
	v_add_f32_e32 v1, v1, v3
	ds_load_2addr_b32 v[2:3], v7 offset0:9 offset1:10
	s_wait_dscnt 0x3
	v_add_f32_e32 v1, v1, v4
	v_add_f32_e32 v1, v1, v5
	ds_load_2addr_b32 v[4:5], v7 offset0:11 offset1:12
	s_wait_dscnt 0x3
	v_add_f32_e32 v1, v1, v8
	s_delay_alu instid0(VALU_DEP_1) | instskip(SKIP_1) | instid1(VALU_DEP_1)
	v_add_f32_e32 v1, v1, v9
	s_wait_dscnt 0x2
	v_add_f32_e32 v1, v1, v10
	s_delay_alu instid0(VALU_DEP_1) | instskip(SKIP_4) | instid1(VALU_DEP_1)
	v_add_f32_e32 v1, v1, v11
	ds_load_2addr_b32 v[8:9], v7 offset0:13 offset1:14
	ds_load_2addr_b32 v[10:11], v7 offset0:15 offset1:16
	s_wait_dscnt 0x3
	v_add_f32_e32 v1, v1, v2
	v_add_f32_e32 v1, v1, v3
	ds_load_2addr_b32 v[2:3], v7 offset0:17 offset1:18
	s_wait_dscnt 0x3
	v_add_f32_e32 v1, v1, v4
	s_delay_alu instid0(VALU_DEP_1) | instskip(SKIP_3) | instid1(VALU_DEP_1)
	v_add_f32_e32 v1, v1, v5
	ds_load_2addr_b32 v[4:5], v7 offset0:19 offset1:20
	s_wait_dscnt 0x3
	v_add_f32_e32 v1, v1, v8
	v_add_f32_e32 v1, v1, v9
	s_wait_dscnt 0x2
	s_delay_alu instid0(VALU_DEP_1) | instskip(NEXT) | instid1(VALU_DEP_1)
	v_add_f32_e32 v1, v1, v10
	v_add_f32_e32 v1, v1, v11
	ds_load_2addr_b32 v[8:9], v7 offset0:21 offset1:22
	ds_load_2addr_b32 v[10:11], v7 offset0:23 offset1:24
	s_wait_dscnt 0x3
	v_add_f32_e32 v1, v1, v2
	s_delay_alu instid0(VALU_DEP_1) | instskip(SKIP_3) | instid1(VALU_DEP_1)
	v_add_f32_e32 v1, v1, v3
	ds_load_2addr_b32 v[2:3], v7 offset0:25 offset1:26
	s_wait_dscnt 0x3
	v_add_f32_e32 v1, v1, v4
	v_add_f32_e32 v1, v1, v5
	ds_load_2addr_b32 v[4:5], v7 offset0:27 offset1:28
	s_wait_dscnt 0x3
	v_add_f32_e32 v1, v1, v8
	s_delay_alu instid0(VALU_DEP_1) | instskip(SKIP_1) | instid1(VALU_DEP_1)
	v_add_f32_e32 v1, v1, v9
	s_wait_dscnt 0x2
	v_add_f32_e32 v1, v1, v10
	ds_load_2addr_b32 v[8:9], v7 offset0:29 offset1:30
	ds_load_b32 v10, v7 offset:124
	v_add_f32_e32 v1, v1, v11
	s_wait_dscnt 0x3
	s_delay_alu instid0(VALU_DEP_1) | instskip(NEXT) | instid1(VALU_DEP_1)
	v_add_f32_e32 v1, v1, v2
	v_add_f32_e32 v1, v1, v3
	s_wait_dscnt 0x2
	s_delay_alu instid0(VALU_DEP_1) | instskip(NEXT) | instid1(VALU_DEP_1)
	v_add_f32_e32 v1, v1, v4
	;; [unrolled: 4-line block ×3, first 2 shown]
	v_add_f32_e32 v1, v1, v9
	s_wait_dscnt 0x0
	s_delay_alu instid0(VALU_DEP_1)
	v_add_f32_e32 v1, v1, v10
	ds_store_b32 v7, v1
.LBB27_16:
	s_or_b32 exec_lo, exec_lo, s1
	s_wait_dscnt 0x0
	s_barrier_signal -1
	s_barrier_wait -1
	s_and_saveexec_b32 s0, vcc_lo
	s_cbranch_execz .LBB27_24
; %bb.17:
	s_mul_u64 s[0:1], s[8:9], s[20:21]
	s_mov_b32 s5, 0
	s_lshl_b64 s[0:1], s[0:1], 2
	s_mov_b32 s4, exec_lo
	s_add_nc_u64 s[0:1], s[6:7], s[0:1]
	s_load_b32 s0, s[0:1], 0x0
	s_wait_kmcnt 0x0
	s_xor_b32 s0, s0, 0x80000000
	v_mov_b32_e32 v5, 0
	ds_load_b32 v1, v5
	s_wait_dscnt 0x0
	v_mul_f32_e32 v2, s0, v1
	s_mov_b32 s0, -1
	v_cmpx_lt_u32_e32 0x3ff, v6
	s_cbranch_execz .LBB27_21
; %bb.18:
	v_dual_lshrrev_b32 v1, 10, v6 :: v_dual_lshlrev_b32 v4, 2, v0
	s_lshl_b64 s[0:1], s[2:3], 2
	s_lshl_b64 s[6:7], s[16:17], 2
	s_add_nc_u64 s[0:1], s[10:11], s[0:1]
	s_delay_alu instid0(VALU_DEP_1) | instskip(SKIP_3) | instid1(VALU_DEP_3)
	v_dual_mov_b32 v3, v2 :: v_dual_add_nc_u32 v8, 1, v1
	v_or_b32_e32 v1, 0x400, v0
	v_add3_u32 v10, v4, 0, 0x80
	s_add_nc_u64 s[0:1], s[0:1], s[6:7]
	v_and_b32_e32 v9, 0x7ffffe, v8
	s_lshl_b64 s[6:7], s[18:19], 2
	v_mov_b64_e32 v[6:7], v[0:1]
	s_add_nc_u64 s[0:1], s[0:1], s[6:7]
	s_delay_alu instid0(VALU_DEP_2)
	v_mov_b32_e32 v11, v9
.LBB27_19:                              ; =>This Inner Loop Header: Depth=1
	s_delay_alu instid0(VALU_DEP_1) | instskip(SKIP_1) | instid1(VALU_DEP_2)
	v_dual_mov_b32 v4, v6 :: v_dual_add_nc_u32 v11, -2, v11
	v_add_nc_u32_e32 v6, 0x800, v6
	v_lshl_add_u64 v[12:13], v[4:5], 2, s[0:1]
	v_dual_mov_b32 v4, v7 :: v_dual_add_nc_u32 v7, 0x800, v7
	s_delay_alu instid0(VALU_DEP_4) | instskip(NEXT) | instid1(VALU_DEP_2)
	v_cmp_eq_u32_e32 vcc_lo, 0, v11
	v_lshl_add_u64 v[14:15], v[4:5], 2, s[0:1]
	s_clause 0x1
	global_load_b32 v16, v[12:13], off
	global_load_b32 v17, v[14:15], off
	ds_load_2addr_stride64_b32 v[18:19], v10 offset1:16
	v_add_nc_u32_e32 v10, 0x2000, v10
	s_or_b32 s5, vcc_lo, s5
	s_wait_loadcnt_dscnt 0x0
	v_pk_fma_f32 v[16:17], v[2:3], v[18:19], v[16:17]
	s_clause 0x1
	global_store_b32 v[12:13], v16, off
	global_store_b32 v[14:15], v17, off
	s_wait_xcnt 0x0
	s_and_not1_b32 exec_lo, exec_lo, s5
	s_cbranch_execnz .LBB27_19
; %bb.20:
	s_or_b32 exec_lo, exec_lo, s5
	v_cmp_ne_u32_e32 vcc_lo, v8, v9
	v_lshl_or_b32 v0, v9, 10, v0
	s_or_not1_b32 s0, vcc_lo, exec_lo
.LBB27_21:
	s_or_b32 exec_lo, exec_lo, s4
	s_delay_alu instid0(SALU_CYCLE_1)
	s_and_b32 exec_lo, exec_lo, s0
	s_cbranch_execz .LBB27_24
; %bb.22:
	s_lshl_b64 s[0:1], s[2:3], 2
	s_lshl_b64 s[2:3], s[18:19], 2
	v_dual_lshlrev_b32 v3, 2, v0 :: v_dual_mov_b32 v1, 0
	s_add_nc_u64 s[0:1], s[0:1], s[2:3]
	s_lshl_b64 s[2:3], s[16:17], 2
	s_delay_alu instid0(SALU_CYCLE_1) | instskip(NEXT) | instid1(VALU_DEP_1)
	s_add_nc_u64 s[0:1], s[0:1], s[2:3]
	v_add3_u32 v3, v3, 0, 0x80
	s_add_nc_u64 s[0:1], s[10:11], s[0:1]
	s_delay_alu instid0(SALU_CYCLE_1)
	v_lshl_add_u64 v[4:5], v[0:1], 2, s[0:1]
	s_mov_b32 s0, 0
.LBB27_23:                              ; =>This Inner Loop Header: Depth=1
	global_load_b32 v1, v[4:5], off
	ds_load_b32 v6, v3
	v_add_nc_u32_e32 v0, 0x400, v0
	v_add_nc_u32_e32 v3, 0x1000, v3
	s_wait_loadcnt_dscnt 0x0
	v_fmac_f32_e32 v1, v2, v6
	s_delay_alu instid0(VALU_DEP_3) | instskip(SKIP_4) | instid1(SALU_CYCLE_1)
	v_cmp_le_i32_e32 vcc_lo, s30, v0
	global_store_b32 v[4:5], v1, off
	s_wait_xcnt 0x0
	v_add_nc_u64_e32 v[4:5], 0x1000, v[4:5]
	s_or_b32 s0, vcc_lo, s0
	s_and_not1_b32 exec_lo, exec_lo, s0
	s_cbranch_execnz .LBB27_23
.LBB27_24:
	s_endpgm
	.section	.rodata,"a",@progbits
	.p2align	6, 0x0
	.amdhsa_kernel _ZN9rocsolver6v33100L16larf_left_kernelILi1024EfiPfEEvT1_S3_T2_lS3_lPKT0_lS4_lS3_l
		.amdhsa_group_segment_fixed_size 0
		.amdhsa_private_segment_fixed_size 0
		.amdhsa_kernarg_size 88
		.amdhsa_user_sgpr_count 2
		.amdhsa_user_sgpr_dispatch_ptr 0
		.amdhsa_user_sgpr_queue_ptr 0
		.amdhsa_user_sgpr_kernarg_segment_ptr 1
		.amdhsa_user_sgpr_dispatch_id 0
		.amdhsa_user_sgpr_kernarg_preload_length 0
		.amdhsa_user_sgpr_kernarg_preload_offset 0
		.amdhsa_user_sgpr_private_segment_size 0
		.amdhsa_wavefront_size32 1
		.amdhsa_uses_dynamic_stack 0
		.amdhsa_enable_private_segment 0
		.amdhsa_system_sgpr_workgroup_id_x 1
		.amdhsa_system_sgpr_workgroup_id_y 1
		.amdhsa_system_sgpr_workgroup_id_z 1
		.amdhsa_system_sgpr_workgroup_info 0
		.amdhsa_system_vgpr_workitem_id 0
		.amdhsa_next_free_vgpr 20
		.amdhsa_next_free_sgpr 36
		.amdhsa_named_barrier_count 0
		.amdhsa_reserve_vcc 1
		.amdhsa_float_round_mode_32 0
		.amdhsa_float_round_mode_16_64 0
		.amdhsa_float_denorm_mode_32 3
		.amdhsa_float_denorm_mode_16_64 3
		.amdhsa_fp16_overflow 0
		.amdhsa_memory_ordered 1
		.amdhsa_forward_progress 1
		.amdhsa_inst_pref_size 16
		.amdhsa_round_robin_scheduling 0
		.amdhsa_exception_fp_ieee_invalid_op 0
		.amdhsa_exception_fp_denorm_src 0
		.amdhsa_exception_fp_ieee_div_zero 0
		.amdhsa_exception_fp_ieee_overflow 0
		.amdhsa_exception_fp_ieee_underflow 0
		.amdhsa_exception_fp_ieee_inexact 0
		.amdhsa_exception_int_div_zero 0
	.end_amdhsa_kernel
	.section	.text._ZN9rocsolver6v33100L16larf_left_kernelILi1024EfiPfEEvT1_S3_T2_lS3_lPKT0_lS4_lS3_l,"axG",@progbits,_ZN9rocsolver6v33100L16larf_left_kernelILi1024EfiPfEEvT1_S3_T2_lS3_lPKT0_lS4_lS3_l,comdat
.Lfunc_end27:
	.size	_ZN9rocsolver6v33100L16larf_left_kernelILi1024EfiPfEEvT1_S3_T2_lS3_lPKT0_lS4_lS3_l, .Lfunc_end27-_ZN9rocsolver6v33100L16larf_left_kernelILi1024EfiPfEEvT1_S3_T2_lS3_lPKT0_lS4_lS3_l
                                        ; -- End function
	.set _ZN9rocsolver6v33100L16larf_left_kernelILi1024EfiPfEEvT1_S3_T2_lS3_lPKT0_lS4_lS3_l.num_vgpr, 20
	.set _ZN9rocsolver6v33100L16larf_left_kernelILi1024EfiPfEEvT1_S3_T2_lS3_lPKT0_lS4_lS3_l.num_agpr, 0
	.set _ZN9rocsolver6v33100L16larf_left_kernelILi1024EfiPfEEvT1_S3_T2_lS3_lPKT0_lS4_lS3_l.numbered_sgpr, 36
	.set _ZN9rocsolver6v33100L16larf_left_kernelILi1024EfiPfEEvT1_S3_T2_lS3_lPKT0_lS4_lS3_l.num_named_barrier, 0
	.set _ZN9rocsolver6v33100L16larf_left_kernelILi1024EfiPfEEvT1_S3_T2_lS3_lPKT0_lS4_lS3_l.private_seg_size, 0
	.set _ZN9rocsolver6v33100L16larf_left_kernelILi1024EfiPfEEvT1_S3_T2_lS3_lPKT0_lS4_lS3_l.uses_vcc, 1
	.set _ZN9rocsolver6v33100L16larf_left_kernelILi1024EfiPfEEvT1_S3_T2_lS3_lPKT0_lS4_lS3_l.uses_flat_scratch, 0
	.set _ZN9rocsolver6v33100L16larf_left_kernelILi1024EfiPfEEvT1_S3_T2_lS3_lPKT0_lS4_lS3_l.has_dyn_sized_stack, 0
	.set _ZN9rocsolver6v33100L16larf_left_kernelILi1024EfiPfEEvT1_S3_T2_lS3_lPKT0_lS4_lS3_l.has_recursion, 0
	.set _ZN9rocsolver6v33100L16larf_left_kernelILi1024EfiPfEEvT1_S3_T2_lS3_lPKT0_lS4_lS3_l.has_indirect_call, 0
	.section	.AMDGPU.csdata,"",@progbits
; Kernel info:
; codeLenInByte = 2024
; TotalNumSgprs: 38
; NumVgprs: 20
; ScratchSize: 0
; MemoryBound: 0
; FloatMode: 240
; IeeeMode: 1
; LDSByteSize: 0 bytes/workgroup (compile time only)
; SGPRBlocks: 0
; VGPRBlocks: 1
; NumSGPRsForWavesPerEU: 38
; NumVGPRsForWavesPerEU: 20
; NamedBarCnt: 0
; Occupancy: 16
; WaveLimiterHint : 0
; COMPUTE_PGM_RSRC2:SCRATCH_EN: 0
; COMPUTE_PGM_RSRC2:USER_SGPR: 2
; COMPUTE_PGM_RSRC2:TRAP_HANDLER: 0
; COMPUTE_PGM_RSRC2:TGID_X_EN: 1
; COMPUTE_PGM_RSRC2:TGID_Y_EN: 1
; COMPUTE_PGM_RSRC2:TGID_Z_EN: 1
; COMPUTE_PGM_RSRC2:TIDIG_COMP_CNT: 0
	.section	.text._ZN9rocsolver6v33100L17larf_right_kernelILi1024EfiPfEEvT1_S3_T2_lS3_lPKT0_lS4_lS3_l,"axG",@progbits,_ZN9rocsolver6v33100L17larf_right_kernelILi1024EfiPfEEvT1_S3_T2_lS3_lPKT0_lS4_lS3_l,comdat
	.globl	_ZN9rocsolver6v33100L17larf_right_kernelILi1024EfiPfEEvT1_S3_T2_lS3_lPKT0_lS4_lS3_l ; -- Begin function _ZN9rocsolver6v33100L17larf_right_kernelILi1024EfiPfEEvT1_S3_T2_lS3_lPKT0_lS4_lS3_l
	.p2align	8
	.type	_ZN9rocsolver6v33100L17larf_right_kernelILi1024EfiPfEEvT1_S3_T2_lS3_lPKT0_lS4_lS3_l,@function
_ZN9rocsolver6v33100L17larf_right_kernelILi1024EfiPfEEvT1_S3_T2_lS3_lPKT0_lS4_lS3_l: ; @_ZN9rocsolver6v33100L17larf_right_kernelILi1024EfiPfEEvT1_S3_T2_lS3_lPKT0_lS4_lS3_l
; %bb.0:
	s_clause 0x3
	s_load_b32 s19, s[0:1], 0x4
	s_load_b96 s[16:18], s[0:1], 0x40
	s_load_b64 s[12:13], s[0:1], 0x50
	s_load_b256 s[4:11], s[0:1], 0x20
	s_bfe_u32 s2, ttmp6, 0x40010
	s_bfe_u32 s21, ttmp6, 0x40014
	s_and_b32 s14, ttmp7, 0xffff
	s_lshr_b32 s20, ttmp7, 16
	s_add_co_i32 s2, s2, 1
	s_add_co_i32 s21, s21, 1
	s_bfe_u32 s15, ttmp6, 0x40004
	s_bfe_u32 s22, ttmp6, 0x40008
	s_mul_i32 s2, s14, s2
	s_mul_i32 s21, s20, s21
	s_getreg_b32 s23, hwreg(HW_REG_IB_STS2, 6, 4)
	s_add_co_i32 s15, s15, s2
	s_add_co_i32 s22, s22, s21
	s_cmp_eq_u32 s23, 0
	v_mov_b32_e32 v1, 0
	s_mov_b32 s3, 0
	s_cselect_b32 s2, s20, s22
	s_wait_kmcnt 0x0
	v_cmp_gt_i32_e32 vcc_lo, s19, v0
	s_cselect_b32 s30, s14, s15
	s_mul_u64 s[20:21], s[12:13], s[2:3]
	s_and_saveexec_b32 s31, vcc_lo
	s_cbranch_execz .LBB28_12
; %bb.1:
	s_clause 0x1
	s_load_b32 s22, s[0:1], 0x18
	s_load_b128 s[12:15], s[0:1], 0x8
	s_sub_co_i32 s24, 1, s19
	v_xad_u32 v1, v0, -1, s19
	v_lshl_add_u32 v6, v0, 2, 0x80
	v_mov_b32_e32 v2, v0
	s_mul_u64 s[4:5], s[4:5], s[2:3]
	s_mov_b32 s26, -1
                                        ; implicit-def: $vgpr7
	s_wait_kmcnt 0x0
	s_ashr_i32 s23, s22, 31
	s_mul_i32 s24, s22, s24
	v_cmp_lt_i64_e64 s1, s[22:23], 1
	s_and_b32 s1, s1, exec_lo
	s_cselect_b32 s24, s24, 0
	s_mov_b32 s1, exec_lo
	s_ashr_i32 s25, s24, 31
	v_cmpx_lt_u32_e32 0x3ff, v1
	s_cbranch_execz .LBB28_5
; %bb.2:
	v_dual_lshrrev_b32 v1, 10, v1 :: v_dual_mov_b32 v3, 0
	v_lshl_add_u32 v7, v0, 2, 0x80
	s_lshl_b64 s[26:27], s[4:5], 2
	s_lshl_b64 s[28:29], s[14:15], 2
	s_delay_alu instid0(VALU_DEP_2)
	v_add_nc_u32_e32 v8, 1, v1
	v_or_b32_e32 v1, 0x400, v0
	v_add_nc_u32_e32 v10, 0, v7
	s_add_nc_u64 s[26:27], s[12:13], s[26:27]
	s_lshl_b64 s[34:35], s[24:25], 2
	v_and_b32_e32 v9, 0x7ffffe, v8
	v_mov_b64_e32 v[4:5], v[0:1]
	s_add_nc_u64 s[26:27], s[26:27], s[28:29]
	s_mov_b32 s28, s22
	s_add_nc_u64 s[26:27], s[26:27], s[34:35]
	v_mov_b32_e32 v11, v9
	s_mov_b32 s29, s23
	s_mov_b32 s33, 0
.LBB28_3:                               ; =>This Inner Loop Header: Depth=1
	v_dual_mov_b32 v2, v4 :: v_dual_mov_b32 v12, v5
	s_delay_alu instid0(VALU_DEP_2) | instskip(SKIP_1) | instid1(VALU_DEP_3)
	v_dual_mov_b32 v13, v3 :: v_dual_add_nc_u32 v11, -2, v11
	v_add_nc_u32_e32 v5, 0x800, v5
	v_mul_u64_e32 v[14:15], s[22:23], v[2:3]
	v_add_nc_u32_e32 v4, 0x800, v4
	s_delay_alu instid0(VALU_DEP_4)
	v_mul_u64_e32 v[12:13], s[28:29], v[12:13]
	v_cmp_eq_u32_e64 s0, 0, v11
	s_or_b32 s33, s0, s33
	v_lshl_add_u64 v[14:15], v[14:15], 2, s[26:27]
	v_lshl_add_u64 v[12:13], v[12:13], 2, s[26:27]
	s_clause 0x1
	global_load_b32 v1, v[14:15], off
	global_load_b32 v2, v[12:13], off
	s_wait_loadcnt 0x0
	ds_store_2addr_stride64_b32 v10, v1, v2 offset1:16
	v_add_nc_u32_e32 v10, 0x2000, v10
	s_wait_xcnt 0x0
	s_and_not1_b32 exec_lo, exec_lo, s33
	s_cbranch_execnz .LBB28_3
; %bb.4:
	s_or_b32 exec_lo, exec_lo, s33
	v_cmp_ne_u32_e64 s0, v8, v9
	v_lshl_or_b32 v2, v9, 10, v0
	s_or_not1_b32 s26, s0, exec_lo
.LBB28_5:
	s_or_b32 exec_lo, exec_lo, s1
	s_and_saveexec_b32 s1, s26
	s_cbranch_execz .LBB28_9
; %bb.6:
	v_dual_mov_b32 v3, 0 :: v_dual_lshlrev_b32 v1, 2, v2
	s_lshl_b64 s[24:25], s[24:25], 2
	s_lshl_b64 s[14:15], s[14:15], 2
	s_add_nc_u64 s[12:13], s[12:13], s[24:25]
	s_delay_alu instid0(VALU_DEP_1)
	v_mul_u64_e32 v[4:5], s[22:23], v[2:3]
	s_lshl_b64 s[4:5], s[4:5], 2
	s_add_nc_u64 s[12:13], s[12:13], s[14:15]
	v_add3_u32 v1, v1, 0, 0x80
	s_add_nc_u64 s[4:5], s[12:13], s[4:5]
	s_mov_b32 s12, 0
	s_delay_alu instid0(VALU_DEP_2)
	v_lshl_add_u64 v[4:5], v[4:5], 2, s[4:5]
	s_lshl_b64 s[4:5], s[22:23], 12
.LBB28_7:                               ; =>This Inner Loop Header: Depth=1
	global_load_b32 v3, v[4:5], off
	v_add_nc_u32_e32 v2, 0x400, v2
	s_wait_xcnt 0x0
	v_add_nc_u64_e32 v[4:5], s[4:5], v[4:5]
	s_delay_alu instid0(VALU_DEP_2)
	v_cmp_le_i32_e64 s0, s19, v2
	s_or_b32 s12, s0, s12
	s_wait_loadcnt 0x0
	ds_store_b32 v1, v3
	v_add_nc_u32_e32 v1, 0x1000, v1
	s_and_not1_b32 exec_lo, exec_lo, s12
	s_cbranch_execnz .LBB28_7
; %bb.8:
	s_or_b32 exec_lo, exec_lo, s12
	v_mov_b32_e32 v7, v6
.LBB28_9:
	s_or_b32 exec_lo, exec_lo, s1
	s_delay_alu instid0(VALU_DEP_1) | instskip(SKIP_3) | instid1(VALU_DEP_1)
	v_dual_mov_b32 v1, 0 :: v_dual_add_nc_u32 v4, 0, v7
	s_ashr_i32 s5, s18, 31
	s_mov_b32 s4, s18
	s_mov_b32 s1, 0
	v_mul_u64_e32 v[2:3], s[4:5], v[0:1]
	s_lshl_b32 s0, s30, 2
	s_lshl_b64 s[12:13], s[16:17], 2
	s_add_nc_u64 s[14:15], s[10:11], s[0:1]
	s_lshl_b64 s[22:23], s[20:21], 2
	s_add_nc_u64 s[12:13], s[14:15], s[12:13]
	v_mov_b32_e32 v5, v0
	s_add_nc_u64 s[12:13], s[12:13], s[22:23]
	s_lshl_b64 s[4:5], s[4:5], 12
	s_delay_alu instid0(VALU_DEP_2)
	v_lshl_add_u64 v[2:3], v[2:3], 2, s[12:13]
.LBB28_10:                              ; =>This Inner Loop Header: Depth=1
	global_load_b32 v6, v[2:3], off
	ds_load_b32 v7, v4
	v_add_nc_u32_e32 v5, 0x400, v5
	s_wait_xcnt 0x0
	v_add_nc_u64_e32 v[2:3], s[4:5], v[2:3]
	v_add_nc_u32_e32 v4, 0x1000, v4
	s_delay_alu instid0(VALU_DEP_3)
	v_cmp_le_i32_e64 s0, s19, v5
	s_or_b32 s1, s0, s1
	s_wait_loadcnt_dscnt 0x0
	v_fmac_f32_e32 v1, v6, v7
	s_and_not1_b32 exec_lo, exec_lo, s1
	s_cbranch_execnz .LBB28_10
; %bb.11:
	s_or_b32 exec_lo, exec_lo, s1
.LBB28_12:
	s_delay_alu instid0(SALU_CYCLE_1) | instskip(SKIP_2) | instid1(VALU_DEP_1)
	s_or_b32 exec_lo, exec_lo, s31
	v_mbcnt_lo_u32_b32 v2, -1, 0
	s_mov_b32 s1, exec_lo
	v_cmp_ne_u32_e64 s0, 31, v2
	s_delay_alu instid0(VALU_DEP_1) | instskip(SKIP_1) | instid1(VALU_DEP_2)
	v_add_co_ci_u32_e64 v3, null, 0, v2, s0
	v_cmp_gt_u32_e64 s0, 30, v2
	v_lshlrev_b32_e32 v3, 2, v3
	s_delay_alu instid0(VALU_DEP_2)
	v_cndmask_b32_e64 v4, 0, 2, s0
	v_cmp_gt_u32_e64 s0, 28, v2
	ds_bpermute_b32 v3, v3, v1
	v_add_lshl_u32 v4, v4, v2, 2
	s_wait_dscnt 0x0
	v_add_f32_e32 v1, v1, v3
	ds_bpermute_b32 v3, v4, v1
	v_cndmask_b32_e64 v4, 0, 4, s0
	v_cmp_gt_u32_e64 s0, 24, v2
	s_delay_alu instid0(VALU_DEP_2) | instskip(SKIP_4) | instid1(VALU_DEP_1)
	v_add_lshl_u32 v4, v4, v2, 2
	s_wait_dscnt 0x0
	v_add_f32_e32 v1, v1, v3
	ds_bpermute_b32 v3, v4, v1
	v_cndmask_b32_e64 v4, 0, 8, s0
	v_add_lshl_u32 v4, v4, v2, 2
	v_lshl_or_b32 v2, v2, 2, 64
	s_wait_dscnt 0x0
	v_add_f32_e32 v1, v1, v3
	ds_bpermute_b32 v3, v4, v1
	s_wait_dscnt 0x0
	v_dual_add_f32 v1, v1, v3 :: v_dual_bitop2_b32 v3, 31, v0 bitop3:0x40
	ds_bpermute_b32 v2, v2, v1
	s_wait_dscnt 0x0
	v_add_f32_e32 v1, v1, v2
	v_cmpx_eq_u32_e32 0, v3
; %bb.13:
	v_lshrrev_b32_e32 v2, 3, v0
	s_delay_alu instid0(VALU_DEP_1)
	v_add_nc_u32_e32 v2, 0, v2
	ds_store_b32 v2, v1
; %bb.14:
	s_or_b32 exec_lo, exec_lo, s1
	s_delay_alu instid0(SALU_CYCLE_1)
	s_mov_b32 s1, exec_lo
	s_wait_dscnt 0x0
	s_barrier_signal -1
	s_barrier_wait -1
	v_cmpx_eq_u32_e32 0, v0
	s_cbranch_execz .LBB28_16
; %bb.15:
	v_mov_b32_e32 v10, 0
	ds_load_2addr_b32 v[2:3], v10 offset0:1 offset1:2
	ds_load_2addr_b32 v[4:5], v10 offset0:3 offset1:4
	;; [unrolled: 1-line block ×4, first 2 shown]
	s_wait_dscnt 0x3
	v_add_f32_e32 v1, v1, v2
	s_delay_alu instid0(VALU_DEP_1) | instskip(SKIP_3) | instid1(VALU_DEP_1)
	v_add_f32_e32 v1, v1, v3
	ds_load_2addr_b32 v[2:3], v10 offset0:9 offset1:10
	s_wait_dscnt 0x3
	v_add_f32_e32 v1, v1, v4
	v_add_f32_e32 v1, v1, v5
	ds_load_2addr_b32 v[4:5], v10 offset0:11 offset1:12
	s_wait_dscnt 0x3
	v_add_f32_e32 v1, v1, v6
	s_delay_alu instid0(VALU_DEP_1) | instskip(SKIP_1) | instid1(VALU_DEP_1)
	v_add_f32_e32 v1, v1, v7
	s_wait_dscnt 0x2
	v_add_f32_e32 v1, v1, v8
	s_delay_alu instid0(VALU_DEP_1) | instskip(SKIP_4) | instid1(VALU_DEP_1)
	v_add_f32_e32 v1, v1, v9
	ds_load_2addr_b32 v[6:7], v10 offset0:13 offset1:14
	ds_load_2addr_b32 v[8:9], v10 offset0:15 offset1:16
	s_wait_dscnt 0x3
	v_add_f32_e32 v1, v1, v2
	v_add_f32_e32 v1, v1, v3
	ds_load_2addr_b32 v[2:3], v10 offset0:17 offset1:18
	s_wait_dscnt 0x3
	v_add_f32_e32 v1, v1, v4
	s_delay_alu instid0(VALU_DEP_1) | instskip(SKIP_3) | instid1(VALU_DEP_1)
	v_add_f32_e32 v1, v1, v5
	ds_load_2addr_b32 v[4:5], v10 offset0:19 offset1:20
	s_wait_dscnt 0x3
	v_add_f32_e32 v1, v1, v6
	v_add_f32_e32 v1, v1, v7
	s_wait_dscnt 0x2
	s_delay_alu instid0(VALU_DEP_1) | instskip(NEXT) | instid1(VALU_DEP_1)
	v_add_f32_e32 v1, v1, v8
	v_add_f32_e32 v1, v1, v9
	ds_load_2addr_b32 v[6:7], v10 offset0:21 offset1:22
	ds_load_2addr_b32 v[8:9], v10 offset0:23 offset1:24
	s_wait_dscnt 0x3
	v_add_f32_e32 v1, v1, v2
	s_delay_alu instid0(VALU_DEP_1) | instskip(SKIP_3) | instid1(VALU_DEP_1)
	v_add_f32_e32 v1, v1, v3
	ds_load_2addr_b32 v[2:3], v10 offset0:25 offset1:26
	s_wait_dscnt 0x3
	v_add_f32_e32 v1, v1, v4
	v_add_f32_e32 v1, v1, v5
	ds_load_2addr_b32 v[4:5], v10 offset0:27 offset1:28
	s_wait_dscnt 0x3
	v_add_f32_e32 v1, v1, v6
	s_delay_alu instid0(VALU_DEP_1) | instskip(SKIP_1) | instid1(VALU_DEP_1)
	v_add_f32_e32 v1, v1, v7
	s_wait_dscnt 0x2
	v_add_f32_e32 v1, v1, v8
	ds_load_2addr_b32 v[6:7], v10 offset0:29 offset1:30
	ds_load_b32 v8, v10 offset:124
	v_add_f32_e32 v1, v1, v9
	s_wait_dscnt 0x3
	s_delay_alu instid0(VALU_DEP_1) | instskip(NEXT) | instid1(VALU_DEP_1)
	v_add_f32_e32 v1, v1, v2
	v_add_f32_e32 v1, v1, v3
	s_wait_dscnt 0x2
	s_delay_alu instid0(VALU_DEP_1) | instskip(NEXT) | instid1(VALU_DEP_1)
	v_add_f32_e32 v1, v1, v4
	;; [unrolled: 4-line block ×3, first 2 shown]
	v_add_f32_e32 v1, v1, v7
	s_wait_dscnt 0x0
	s_delay_alu instid0(VALU_DEP_1)
	v_add_f32_e32 v1, v1, v8
	ds_store_b32 v10, v1
.LBB28_16:
	s_or_b32 exec_lo, exec_lo, s1
	s_wait_dscnt 0x0
	s_barrier_signal -1
	s_barrier_wait -1
	s_and_saveexec_b32 s0, vcc_lo
	s_cbranch_execz .LBB28_19
; %bb.17:
	v_dual_mov_b32 v1, 0 :: v_dual_lshlrev_b32 v4, 2, v0
	s_mul_u64 s[0:1], s[8:9], s[2:3]
	s_ashr_i32 s3, s18, 31
	s_mov_b32 s2, s18
	s_lshl_b64 s[0:1], s[0:1], 2
	v_mul_u64_e32 v[2:3], s[2:3], v[0:1]
	s_add_nc_u64 s[0:1], s[6:7], s[0:1]
	ds_load_b32 v1, v1
	s_load_b32 s0, s[0:1], 0x0
	s_wait_xcnt 0x0
	s_mov_b32 s1, 0
	s_lshl_b64 s[4:5], s[16:17], 2
	s_lshl_b64 s[8:9], s[20:21], 2
	v_add3_u32 v4, v4, 0, 0x80
	s_lshl_b64 s[2:3], s[2:3], 12
	s_wait_kmcnt 0x0
	s_xor_b32 s12, s0, 0x80000000
	s_lshl_b32 s0, s30, 2
	s_wait_dscnt 0x0
	v_mul_f32_e32 v1, s12, v1
	s_add_nc_u64 s[6:7], s[10:11], s[0:1]
	s_delay_alu instid0(SALU_CYCLE_1) | instskip(NEXT) | instid1(SALU_CYCLE_1)
	s_add_nc_u64 s[4:5], s[6:7], s[4:5]
	s_add_nc_u64 s[4:5], s[4:5], s[8:9]
	s_delay_alu instid0(SALU_CYCLE_1)
	v_lshl_add_u64 v[2:3], v[2:3], 2, s[4:5]
.LBB28_18:                              ; =>This Inner Loop Header: Depth=1
	global_load_b32 v5, v[2:3], off
	ds_load_b32 v6, v4
	v_add_nc_u32_e32 v0, 0x400, v0
	s_wait_loadcnt_dscnt 0x0
	v_dual_fmac_f32 v5, v1, v6 :: v_dual_add_nc_u32 v4, 0x1000, v4
	s_delay_alu instid0(VALU_DEP_2) | instskip(SKIP_4) | instid1(SALU_CYCLE_1)
	v_cmp_le_i32_e32 vcc_lo, s19, v0
	global_store_b32 v[2:3], v5, off
	s_wait_xcnt 0x0
	v_add_nc_u64_e32 v[2:3], s[2:3], v[2:3]
	s_or_b32 s1, vcc_lo, s1
	s_and_not1_b32 exec_lo, exec_lo, s1
	s_cbranch_execnz .LBB28_18
.LBB28_19:
	s_endpgm
	.section	.rodata,"a",@progbits
	.p2align	6, 0x0
	.amdhsa_kernel _ZN9rocsolver6v33100L17larf_right_kernelILi1024EfiPfEEvT1_S3_T2_lS3_lPKT0_lS4_lS3_l
		.amdhsa_group_segment_fixed_size 0
		.amdhsa_private_segment_fixed_size 0
		.amdhsa_kernarg_size 88
		.amdhsa_user_sgpr_count 2
		.amdhsa_user_sgpr_dispatch_ptr 0
		.amdhsa_user_sgpr_queue_ptr 0
		.amdhsa_user_sgpr_kernarg_segment_ptr 1
		.amdhsa_user_sgpr_dispatch_id 0
		.amdhsa_user_sgpr_kernarg_preload_length 0
		.amdhsa_user_sgpr_kernarg_preload_offset 0
		.amdhsa_user_sgpr_private_segment_size 0
		.amdhsa_wavefront_size32 1
		.amdhsa_uses_dynamic_stack 0
		.amdhsa_enable_private_segment 0
		.amdhsa_system_sgpr_workgroup_id_x 1
		.amdhsa_system_sgpr_workgroup_id_y 1
		.amdhsa_system_sgpr_workgroup_id_z 1
		.amdhsa_system_sgpr_workgroup_info 0
		.amdhsa_system_vgpr_workitem_id 0
		.amdhsa_next_free_vgpr 16
		.amdhsa_next_free_sgpr 36
		.amdhsa_named_barrier_count 0
		.amdhsa_reserve_vcc 1
		.amdhsa_float_round_mode_32 0
		.amdhsa_float_round_mode_16_64 0
		.amdhsa_float_denorm_mode_32 3
		.amdhsa_float_denorm_mode_16_64 3
		.amdhsa_fp16_overflow 0
		.amdhsa_memory_ordered 1
		.amdhsa_forward_progress 1
		.amdhsa_inst_pref_size 14
		.amdhsa_round_robin_scheduling 0
		.amdhsa_exception_fp_ieee_invalid_op 0
		.amdhsa_exception_fp_denorm_src 0
		.amdhsa_exception_fp_ieee_div_zero 0
		.amdhsa_exception_fp_ieee_overflow 0
		.amdhsa_exception_fp_ieee_underflow 0
		.amdhsa_exception_fp_ieee_inexact 0
		.amdhsa_exception_int_div_zero 0
	.end_amdhsa_kernel
	.section	.text._ZN9rocsolver6v33100L17larf_right_kernelILi1024EfiPfEEvT1_S3_T2_lS3_lPKT0_lS4_lS3_l,"axG",@progbits,_ZN9rocsolver6v33100L17larf_right_kernelILi1024EfiPfEEvT1_S3_T2_lS3_lPKT0_lS4_lS3_l,comdat
.Lfunc_end28:
	.size	_ZN9rocsolver6v33100L17larf_right_kernelILi1024EfiPfEEvT1_S3_T2_lS3_lPKT0_lS4_lS3_l, .Lfunc_end28-_ZN9rocsolver6v33100L17larf_right_kernelILi1024EfiPfEEvT1_S3_T2_lS3_lPKT0_lS4_lS3_l
                                        ; -- End function
	.set _ZN9rocsolver6v33100L17larf_right_kernelILi1024EfiPfEEvT1_S3_T2_lS3_lPKT0_lS4_lS3_l.num_vgpr, 16
	.set _ZN9rocsolver6v33100L17larf_right_kernelILi1024EfiPfEEvT1_S3_T2_lS3_lPKT0_lS4_lS3_l.num_agpr, 0
	.set _ZN9rocsolver6v33100L17larf_right_kernelILi1024EfiPfEEvT1_S3_T2_lS3_lPKT0_lS4_lS3_l.numbered_sgpr, 36
	.set _ZN9rocsolver6v33100L17larf_right_kernelILi1024EfiPfEEvT1_S3_T2_lS3_lPKT0_lS4_lS3_l.num_named_barrier, 0
	.set _ZN9rocsolver6v33100L17larf_right_kernelILi1024EfiPfEEvT1_S3_T2_lS3_lPKT0_lS4_lS3_l.private_seg_size, 0
	.set _ZN9rocsolver6v33100L17larf_right_kernelILi1024EfiPfEEvT1_S3_T2_lS3_lPKT0_lS4_lS3_l.uses_vcc, 1
	.set _ZN9rocsolver6v33100L17larf_right_kernelILi1024EfiPfEEvT1_S3_T2_lS3_lPKT0_lS4_lS3_l.uses_flat_scratch, 0
	.set _ZN9rocsolver6v33100L17larf_right_kernelILi1024EfiPfEEvT1_S3_T2_lS3_lPKT0_lS4_lS3_l.has_dyn_sized_stack, 0
	.set _ZN9rocsolver6v33100L17larf_right_kernelILi1024EfiPfEEvT1_S3_T2_lS3_lPKT0_lS4_lS3_l.has_recursion, 0
	.set _ZN9rocsolver6v33100L17larf_right_kernelILi1024EfiPfEEvT1_S3_T2_lS3_lPKT0_lS4_lS3_l.has_indirect_call, 0
	.section	.AMDGPU.csdata,"",@progbits
; Kernel info:
; codeLenInByte = 1732
; TotalNumSgprs: 38
; NumVgprs: 16
; ScratchSize: 0
; MemoryBound: 0
; FloatMode: 240
; IeeeMode: 1
; LDSByteSize: 0 bytes/workgroup (compile time only)
; SGPRBlocks: 0
; VGPRBlocks: 0
; NumSGPRsForWavesPerEU: 38
; NumVGPRsForWavesPerEU: 16
; NamedBarCnt: 0
; Occupancy: 16
; WaveLimiterHint : 0
; COMPUTE_PGM_RSRC2:SCRATCH_EN: 0
; COMPUTE_PGM_RSRC2:USER_SGPR: 2
; COMPUTE_PGM_RSRC2:TRAP_HANDLER: 0
; COMPUTE_PGM_RSRC2:TGID_X_EN: 1
; COMPUTE_PGM_RSRC2:TGID_Y_EN: 1
; COMPUTE_PGM_RSRC2:TGID_Z_EN: 1
; COMPUTE_PGM_RSRC2:TIDIG_COMP_CNT: 0
	.section	.text._ZN9rocsolver6v33100L12restore_diagIfifPfEEvPT1_llT2_lT0_lS6_,"axG",@progbits,_ZN9rocsolver6v33100L12restore_diagIfifPfEEvPT1_llT2_lT0_lS6_,comdat
	.globl	_ZN9rocsolver6v33100L12restore_diagIfifPfEEvPT1_llT2_lT0_lS6_ ; -- Begin function _ZN9rocsolver6v33100L12restore_diagIfifPfEEvPT1_llT2_lT0_lS6_
	.p2align	8
	.type	_ZN9rocsolver6v33100L12restore_diagIfifPfEEvPT1_llT2_lT0_lS6_,@function
_ZN9rocsolver6v33100L12restore_diagIfifPfEEvPT1_llT2_lT0_lS6_: ; @_ZN9rocsolver6v33100L12restore_diagIfifPfEEvPT1_llT2_lT0_lS6_
; %bb.0:
	s_clause 0x1
	s_load_u16 s3, s[0:1], 0x4e
	s_load_b32 s4, s[0:1], 0x38
	s_bfe_u32 s2, ttmp6, 0x40010
	s_bfe_u32 s5, ttmp6, 0x40004
	s_add_co_i32 s2, s2, 1
	v_bfe_u32 v0, v0, 10, 10
	s_mul_i32 s2, ttmp7, s2
	s_delay_alu instid0(SALU_CYCLE_1) | instskip(SKIP_1) | instid1(SALU_CYCLE_1)
	s_add_co_i32 s5, s5, s2
	s_getreg_b32 s2, hwreg(HW_REG_IB_STS2, 6, 4)
	s_cmp_eq_u32 s2, 0
	s_cselect_b32 s5, ttmp7, s5
	s_wait_kmcnt 0x0
	v_mad_u32 v0, s5, s3, v0
	s_mov_b32 s3, exec_lo
	s_delay_alu instid0(VALU_DEP_1)
	v_cmpx_gt_i32_e64 s4, v0
	s_cbranch_execz .LBB29_2
; %bb.1:
	s_load_b256 s[4:11], s[0:1], 0x0
	s_bfe_u32 s3, ttmp6, 0x4000c
	s_and_b32 s12, ttmp6, 15
	s_add_co_i32 s3, s3, 1
	s_delay_alu instid0(SALU_CYCLE_1) | instskip(NEXT) | instid1(SALU_CYCLE_1)
	s_mul_i32 s3, ttmp9, s3
	s_add_co_i32 s12, s12, s3
	s_cmp_eq_u32 s2, 0
	s_cselect_b32 s2, ttmp9, s12
	s_delay_alu instid0(SALU_CYCLE_1) | instskip(SKIP_4) | instid1(SALU_CYCLE_1)
	s_ashr_i32 s3, s2, 31
	s_wait_kmcnt 0x0
	s_mul_u64 s[8:9], s[8:9], s[2:3]
	s_lshl_b64 s[6:7], s[6:7], 2
	s_lshl_b64 s[8:9], s[8:9], 2
	s_add_nc_u64 s[4:5], s[4:5], s[8:9]
	s_delay_alu instid0(SALU_CYCLE_1)
	s_add_nc_u64 s[4:5], s[4:5], s[6:7]
	global_load_b32 v1, v0, s[4:5] scale_offset
	s_wait_xcnt 0x0
	s_clause 0x1
	s_load_b96 s[4:6], s[0:1], 0x20
	s_load_b64 s[8:9], s[0:1], 0x30
	s_wait_kmcnt 0x0
	v_mad_u32 v0, v0, s6, v0
	s_mul_u64 s[0:1], s[8:9], s[2:3]
	s_lshl_b64 s[2:3], s[4:5], 2
	s_lshl_b64 s[0:1], s[0:1], 2
	s_delay_alu instid0(SALU_CYCLE_1) | instskip(NEXT) | instid1(SALU_CYCLE_1)
	s_add_nc_u64 s[0:1], s[10:11], s[0:1]
	s_add_nc_u64 s[0:1], s[0:1], s[2:3]
	s_wait_loadcnt 0x0
	global_store_b32 v0, v1, s[0:1] scale_offset
.LBB29_2:
	s_endpgm
	.section	.rodata,"a",@progbits
	.p2align	6, 0x0
	.amdhsa_kernel _ZN9rocsolver6v33100L12restore_diagIfifPfEEvPT1_llT2_lT0_lS6_
		.amdhsa_group_segment_fixed_size 0
		.amdhsa_private_segment_fixed_size 0
		.amdhsa_kernarg_size 320
		.amdhsa_user_sgpr_count 2
		.amdhsa_user_sgpr_dispatch_ptr 0
		.amdhsa_user_sgpr_queue_ptr 0
		.amdhsa_user_sgpr_kernarg_segment_ptr 1
		.amdhsa_user_sgpr_dispatch_id 0
		.amdhsa_user_sgpr_kernarg_preload_length 0
		.amdhsa_user_sgpr_kernarg_preload_offset 0
		.amdhsa_user_sgpr_private_segment_size 0
		.amdhsa_wavefront_size32 1
		.amdhsa_uses_dynamic_stack 0
		.amdhsa_enable_private_segment 0
		.amdhsa_system_sgpr_workgroup_id_x 1
		.amdhsa_system_sgpr_workgroup_id_y 1
		.amdhsa_system_sgpr_workgroup_id_z 0
		.amdhsa_system_sgpr_workgroup_info 0
		.amdhsa_system_vgpr_workitem_id 1
		.amdhsa_next_free_vgpr 2
		.amdhsa_next_free_sgpr 13
		.amdhsa_named_barrier_count 0
		.amdhsa_reserve_vcc 0
		.amdhsa_float_round_mode_32 0
		.amdhsa_float_round_mode_16_64 0
		.amdhsa_float_denorm_mode_32 3
		.amdhsa_float_denorm_mode_16_64 3
		.amdhsa_fp16_overflow 0
		.amdhsa_memory_ordered 1
		.amdhsa_forward_progress 1
		.amdhsa_inst_pref_size 3
		.amdhsa_round_robin_scheduling 0
		.amdhsa_exception_fp_ieee_invalid_op 0
		.amdhsa_exception_fp_denorm_src 0
		.amdhsa_exception_fp_ieee_div_zero 0
		.amdhsa_exception_fp_ieee_overflow 0
		.amdhsa_exception_fp_ieee_underflow 0
		.amdhsa_exception_fp_ieee_inexact 0
		.amdhsa_exception_int_div_zero 0
	.end_amdhsa_kernel
	.section	.text._ZN9rocsolver6v33100L12restore_diagIfifPfEEvPT1_llT2_lT0_lS6_,"axG",@progbits,_ZN9rocsolver6v33100L12restore_diagIfifPfEEvPT1_llT2_lT0_lS6_,comdat
.Lfunc_end29:
	.size	_ZN9rocsolver6v33100L12restore_diagIfifPfEEvPT1_llT2_lT0_lS6_, .Lfunc_end29-_ZN9rocsolver6v33100L12restore_diagIfifPfEEvPT1_llT2_lT0_lS6_
                                        ; -- End function
	.set _ZN9rocsolver6v33100L12restore_diagIfifPfEEvPT1_llT2_lT0_lS6_.num_vgpr, 2
	.set _ZN9rocsolver6v33100L12restore_diagIfifPfEEvPT1_llT2_lT0_lS6_.num_agpr, 0
	.set _ZN9rocsolver6v33100L12restore_diagIfifPfEEvPT1_llT2_lT0_lS6_.numbered_sgpr, 13
	.set _ZN9rocsolver6v33100L12restore_diagIfifPfEEvPT1_llT2_lT0_lS6_.num_named_barrier, 0
	.set _ZN9rocsolver6v33100L12restore_diagIfifPfEEvPT1_llT2_lT0_lS6_.private_seg_size, 0
	.set _ZN9rocsolver6v33100L12restore_diagIfifPfEEvPT1_llT2_lT0_lS6_.uses_vcc, 0
	.set _ZN9rocsolver6v33100L12restore_diagIfifPfEEvPT1_llT2_lT0_lS6_.uses_flat_scratch, 0
	.set _ZN9rocsolver6v33100L12restore_diagIfifPfEEvPT1_llT2_lT0_lS6_.has_dyn_sized_stack, 0
	.set _ZN9rocsolver6v33100L12restore_diagIfifPfEEvPT1_llT2_lT0_lS6_.has_recursion, 0
	.set _ZN9rocsolver6v33100L12restore_diagIfifPfEEvPT1_llT2_lT0_lS6_.has_indirect_call, 0
	.section	.AMDGPU.csdata,"",@progbits
; Kernel info:
; codeLenInByte = 276
; TotalNumSgprs: 13
; NumVgprs: 2
; ScratchSize: 0
; MemoryBound: 0
; FloatMode: 240
; IeeeMode: 1
; LDSByteSize: 0 bytes/workgroup (compile time only)
; SGPRBlocks: 0
; VGPRBlocks: 0
; NumSGPRsForWavesPerEU: 13
; NumVGPRsForWavesPerEU: 2
; NamedBarCnt: 0
; Occupancy: 16
; WaveLimiterHint : 0
; COMPUTE_PGM_RSRC2:SCRATCH_EN: 0
; COMPUTE_PGM_RSRC2:USER_SGPR: 2
; COMPUTE_PGM_RSRC2:TRAP_HANDLER: 0
; COMPUTE_PGM_RSRC2:TGID_X_EN: 1
; COMPUTE_PGM_RSRC2:TGID_Y_EN: 1
; COMPUTE_PGM_RSRC2:TGID_Z_EN: 0
; COMPUTE_PGM_RSRC2:TIDIG_COMP_CNT: 1
	.section	.text._ZN9rocsolver6v33100L14set_triangularIfPfTnNSt9enable_ifIXnt18rocblas_is_complexIT_EEiE4typeELi0EEEviiT0_iilPS4_lS8_il15rocblas_direct_15rocblas_storev_b,"axG",@progbits,_ZN9rocsolver6v33100L14set_triangularIfPfTnNSt9enable_ifIXnt18rocblas_is_complexIT_EEiE4typeELi0EEEviiT0_iilPS4_lS8_il15rocblas_direct_15rocblas_storev_b,comdat
	.globl	_ZN9rocsolver6v33100L14set_triangularIfPfTnNSt9enable_ifIXnt18rocblas_is_complexIT_EEiE4typeELi0EEEviiT0_iilPS4_lS8_il15rocblas_direct_15rocblas_storev_b ; -- Begin function _ZN9rocsolver6v33100L14set_triangularIfPfTnNSt9enable_ifIXnt18rocblas_is_complexIT_EEiE4typeELi0EEEviiT0_iilPS4_lS8_il15rocblas_direct_15rocblas_storev_b
	.p2align	8
	.type	_ZN9rocsolver6v33100L14set_triangularIfPfTnNSt9enable_ifIXnt18rocblas_is_complexIT_EEiE4typeELi0EEEviiT0_iilPS4_lS8_il15rocblas_direct_15rocblas_storev_b,@function
_ZN9rocsolver6v33100L14set_triangularIfPfTnNSt9enable_ifIXnt18rocblas_is_complexIT_EEiE4typeELi0EEEviiT0_iilPS4_lS8_il15rocblas_direct_15rocblas_storev_b: ; @_ZN9rocsolver6v33100L14set_triangularIfPfTnNSt9enable_ifIXnt18rocblas_is_complexIT_EEiE4typeELi0EEEviiT0_iilPS4_lS8_il15rocblas_direct_15rocblas_storev_b
; %bb.0:
	s_clause 0x1
	s_load_b32 s2, s[0:1], 0x64
	s_load_b64 s[18:19], s[0:1], 0x0
	s_bfe_u32 s5, ttmp6, 0x40010
	s_bfe_u32 s8, ttmp6, 0x4000c
	s_and_b32 s4, ttmp7, 0xffff
	s_add_co_i32 s5, s5, 1
	s_add_co_i32 s8, s8, 1
	s_bfe_u32 s6, ttmp6, 0x40004
	s_and_b32 s7, ttmp6, 15
	s_mul_i32 s5, s4, s5
	s_mul_i32 s8, ttmp9, s8
	s_getreg_b32 s3, hwreg(HW_REG_IB_STS2, 6, 4)
	v_and_b32_e32 v1, 0x3ff, v0
	v_bfe_u32 v2, v0, 10, 10
	s_add_co_i32 s6, s6, s5
	s_add_co_i32 s7, s7, s8
	s_mov_b32 s21, 0
	s_wait_kmcnt 0x0
	s_lshr_b32 s5, s2, 16
	s_and_b32 s2, s2, 0xffff
	s_cmp_eq_u32 s3, 0
	s_cselect_b32 s7, ttmp9, s7
	s_cselect_b32 s4, s4, s6
	v_mad_u32 v0, s7, s2, v1
	v_mad_u32 v2, s4, s5, v2
	s_mov_b32 s2, exec_lo
	s_delay_alu instid0(VALU_DEP_1) | instskip(NEXT) | instid1(VALU_DEP_1)
	v_max_u32_e32 v1, v0, v2
	v_cmpx_gt_u32_e64 s19, v1
	s_cbranch_execz .LBB30_36
; %bb.1:
	s_clause 0x2
	s_load_b256 s[4:11], s[0:1], 0x18
	s_load_b64 s[12:13], s[0:1], 0x40
	s_load_b32 s2, s[0:1], 0x38
	s_bfe_u32 s14, ttmp6, 0x40014
	s_lshr_b32 s15, ttmp7, 16
	s_add_co_i32 s14, s14, 1
	s_bfe_u32 s16, ttmp6, 0x40008
	s_mul_i32 s14, s15, s14
	s_delay_alu instid0(SALU_CYCLE_1)
	s_add_co_i32 s16, s16, s14
	s_cmp_eq_u32 s3, 0
	s_mov_b32 s3, exec_lo
	s_cselect_b32 s20, s15, s16
	s_wait_kmcnt 0x0
	s_mul_u64 s[8:9], s[8:9], s[20:21]
	s_mul_u64 s[12:13], s[12:13], s[20:21]
	s_lshl_b64 s[8:9], s[8:9], 2
	s_lshl_b64 s[12:13], s[12:13], 2
	s_add_nc_u64 s[16:17], s[6:7], s[8:9]
	s_add_nc_u64 s[6:7], s[10:11], s[12:13]
	v_cmpx_ne_u32_e64 v2, v0
	s_xor_b32 s15, exec_lo, s3
	s_cbranch_execz .LBB30_34
; %bb.2:
	s_clause 0x1
	s_load_b128 s[8:11], s[0:1], 0x8
	s_load_b96 s[12:14], s[0:1], 0x48
	s_wait_xcnt 0x0
	s_mul_u64 s[0:1], s[4:5], s[20:21]
	v_mov_b32_e32 v1, 0
	s_lshl_b64 s[0:1], s[0:1], 2
	s_wait_kmcnt 0x0
	s_ashr_i32 s5, s10, 31
	s_mov_b32 s4, s10
	s_add_nc_u64 s[0:1], s[8:9], s[0:1]
	s_lshl_b64 s[4:5], s[4:5], 2
	s_bitcmp1_b32 s14, 0
	s_add_nc_u64 s[0:1], s[0:1], s[4:5]
	s_cselect_b32 s3, -1, 0
	s_delay_alu instid0(SALU_CYCLE_1)
	s_xor_b32 s4, s3, -1
	s_cmp_lg_u32 s12, 0xab
	s_mov_b32 s3, -1
	s_cbranch_scc0 .LBB30_18
; %bb.3:
	s_mov_b32 s3, exec_lo
	v_cmpx_le_u32_e64 v2, v0
	s_xor_b32 s5, exec_lo, s3
	s_cbranch_execz .LBB30_5
; %bb.4:
	s_ashr_i32 s3, s2, 31
	v_mov_b32_e32 v3, 0
	v_mul_u64_e32 v[4:5], s[2:3], v[0:1]
	s_delay_alu instid0(VALU_DEP_1) | instskip(NEXT) | instid1(VALU_DEP_1)
	v_lshl_add_u64 v[4:5], v[4:5], 2, s[6:7]
	v_lshl_add_u64 v[4:5], v[2:3], 2, v[4:5]
	global_store_b32 v[4:5], v3, off
.LBB30_5:
	s_wait_xcnt 0x0
	s_and_not1_saveexec_b32 s5, s5
	s_cbranch_execz .LBB30_17
; %bb.6:
	v_lshl_add_u64 v[4:5], v[0:1], 2, s[16:17]
	s_cmp_lg_u32 s13, 0xb5
	s_mov_b32 s3, -1
	global_load_b32 v6, v[4:5], off
	s_cbranch_scc0 .LBB30_12
; %bb.7:
	v_mov_b32_e32 v3, 0
	s_and_not1_b32 vcc_lo, exec_lo, s4
	s_wait_xcnt 0x0
	s_delay_alu instid0(VALU_DEP_1)
	v_lshlrev_b64_e32 v[4:5], 2, v[2:3]
	s_cbranch_vccnz .LBB30_9
; %bb.8:
	s_sub_co_i32 s3, s18, s19
	s_ashr_i32 s9, s11, 31
	v_dual_mov_b32 v9, v3 :: v_dual_add_nc_u32 v8, s3, v0
	s_mov_b32 s8, s11
	s_ashr_i32 s3, s2, 31
	s_delay_alu instid0(VALU_DEP_1) | instskip(NEXT) | instid1(VALU_DEP_1)
	v_mul_u64_e32 v[8:9], s[8:9], v[8:9]
	v_lshl_add_u64 v[8:9], v[8:9], 2, s[0:1]
	s_delay_alu instid0(VALU_DEP_1) | instskip(SKIP_4) | instid1(VALU_DEP_1)
	v_add_nc_u64_e32 v[8:9], v[8:9], v[4:5]
	global_load_b32 v3, v[8:9], off
	s_wait_xcnt 0x0
	v_mul_u64_e32 v[8:9], s[2:3], v[0:1]
	s_mov_b32 s3, 0
	v_lshl_add_u64 v[8:9], v[8:9], 2, s[6:7]
	s_delay_alu instid0(VALU_DEP_1)
	v_add_nc_u64_e32 v[8:9], v[8:9], v[4:5]
	s_wait_loadcnt 0x0
	v_mul_f32_e64 v3, v3, -v6
	global_store_b32 v[8:9], v3, off
.LBB30_9:
	s_and_not1_b32 vcc_lo, exec_lo, s3
	s_cbranch_vccnz .LBB30_11
; %bb.10:
	s_sub_co_i32 s3, s18, s19
	s_ashr_i32 s9, s11, 31
	s_wait_xcnt 0x0
	v_dual_mov_b32 v9, 0 :: v_dual_add_nc_u32 v8, s3, v0
	s_ashr_i32 s3, s2, 31
	s_mov_b32 s8, s11
	v_mul_u64_e32 v[10:11], s[2:3], v[0:1]
	s_delay_alu instid0(VALU_DEP_2) | instskip(NEXT) | instid1(VALU_DEP_2)
	v_mul_u64_e32 v[8:9], s[8:9], v[8:9]
	v_lshl_add_u64 v[10:11], v[10:11], 2, s[6:7]
	s_delay_alu instid0(VALU_DEP_2) | instskip(NEXT) | instid1(VALU_DEP_2)
	v_lshl_add_u64 v[8:9], v[8:9], 2, s[0:1]
	v_add_nc_u64_e32 v[10:11], v[10:11], v[4:5]
	s_delay_alu instid0(VALU_DEP_2) | instskip(SKIP_4) | instid1(VALU_DEP_1)
	v_add_nc_u64_e32 v[4:5], v[8:9], v[4:5]
	global_load_b32 v3, v[10:11], off
	global_load_b32 v7, v[4:5], off
	s_wait_loadcnt 0x0
	v_add_f32_e32 v3, v3, v7
	v_mul_f32_e64 v3, v3, -v6
	global_store_b32 v[10:11], v3, off
.LBB30_11:
	s_mov_b32 s3, 0
.LBB30_12:
	s_delay_alu instid0(SALU_CYCLE_1)
	s_and_not1_b32 vcc_lo, exec_lo, s3
	s_cbranch_vccnz .LBB30_17
; %bb.13:
	s_and_not1_b32 vcc_lo, exec_lo, s4
	s_mov_b32 s3, -1
	s_cbranch_vccnz .LBB30_15
; %bb.14:
	s_sub_co_i32 s3, s18, s19
	s_wait_xcnt 0x0
	v_dual_mov_b32 v5, 0 :: v_dual_add_nc_u32 v4, s3, v0
	s_ashr_i32 s9, s11, 31
	s_mov_b32 s8, s11
	s_ashr_i32 s3, s2, 31
	s_delay_alu instid0(VALU_DEP_1) | instskip(NEXT) | instid1(VALU_DEP_1)
	v_mov_b32_e32 v3, v5
	v_mul_u64_e32 v[8:9], s[8:9], v[2:3]
	s_delay_alu instid0(VALU_DEP_1) | instskip(NEXT) | instid1(VALU_DEP_1)
	v_lshl_add_u64 v[8:9], v[8:9], 2, s[0:1]
	v_lshl_add_u64 v[4:5], v[4:5], 2, v[8:9]
	global_load_b32 v7, v[4:5], off
	s_wait_xcnt 0x0
	v_mul_u64_e32 v[4:5], s[2:3], v[0:1]
	s_mov_b32 s3, 0
	s_delay_alu instid0(VALU_DEP_1) | instskip(SKIP_2) | instid1(VALU_DEP_2)
	v_lshl_add_u64 v[4:5], v[4:5], 2, s[6:7]
	s_wait_loadcnt 0x0
	v_mul_f32_e64 v7, v7, -v6
	v_lshl_add_u64 v[4:5], v[2:3], 2, v[4:5]
	global_store_b32 v[4:5], v7, off
.LBB30_15:
	s_and_not1_b32 vcc_lo, exec_lo, s3
	s_cbranch_vccnz .LBB30_17
; %bb.16:
	s_ashr_i32 s3, s2, 31
	s_ashr_i32 s9, s11, 31
	s_wait_xcnt 0x0
	v_mul_u64_e32 v[4:5], s[2:3], v[0:1]
	s_sub_co_i32 s3, s18, s19
	s_delay_alu instid0(SALU_CYCLE_1)
	v_dual_mov_b32 v3, 0 :: v_dual_add_nc_u32 v10, s3, v0
	s_mov_b32 s8, s11
	s_delay_alu instid0(VALU_DEP_1) | instid1(SALU_CYCLE_1)
	v_mul_u64_e32 v[8:9], s[8:9], v[2:3]
	v_mov_b32_e32 v11, v3
	s_delay_alu instid0(VALU_DEP_4) | instskip(NEXT) | instid1(VALU_DEP_1)
	v_lshl_add_u64 v[4:5], v[4:5], 2, s[6:7]
	v_lshl_add_u64 v[4:5], v[2:3], 2, v[4:5]
	s_delay_alu instid0(VALU_DEP_4) | instskip(NEXT) | instid1(VALU_DEP_1)
	v_lshl_add_u64 v[8:9], v[8:9], 2, s[0:1]
	v_lshl_add_u64 v[8:9], v[10:11], 2, v[8:9]
	global_load_b32 v3, v[4:5], off
	global_load_b32 v7, v[8:9], off
	s_wait_loadcnt 0x0
	v_add_f32_e32 v3, v3, v7
	s_delay_alu instid0(VALU_DEP_1)
	v_mul_f32_e64 v3, v3, -v6
	global_store_b32 v[4:5], v3, off
.LBB30_17:
	s_wait_xcnt 0x0
	s_or_b32 exec_lo, exec_lo, s5
	s_mov_b32 s3, 0
.LBB30_18:
	s_delay_alu instid0(SALU_CYCLE_1)
	s_and_not1_b32 vcc_lo, exec_lo, s3
	s_cbranch_vccnz .LBB30_34
; %bb.19:
	s_mov_b32 s3, exec_lo
	v_cmpx_ge_u32_e64 v2, v0
	s_xor_b32 s5, exec_lo, s3
	s_cbranch_execz .LBB30_21
; %bb.20:
	s_ashr_i32 s3, s2, 31
	v_mov_b32_e32 v3, 0
	v_mul_u64_e32 v[0:1], s[2:3], v[0:1]
	s_delay_alu instid0(VALU_DEP_1) | instskip(NEXT) | instid1(VALU_DEP_1)
	v_lshl_add_u64 v[0:1], v[0:1], 2, s[6:7]
	v_lshl_add_u64 v[0:1], v[2:3], 2, v[0:1]
                                        ; implicit-def: $vgpr2
	global_store_b32 v[0:1], v3, off
                                        ; implicit-def: $vgpr0_vgpr1
.LBB30_21:
	s_wait_xcnt 0x0
	s_and_not1_saveexec_b32 s5, s5
	s_cbranch_execz .LBB30_33
; %bb.22:
	v_lshl_add_u64 v[4:5], v[0:1], 2, s[16:17]
	v_mov_b32_e32 v3, 0
	s_cmp_lg_u32 s13, 0xb5
	s_mov_b32 s3, -1
	s_wait_loadcnt 0x0
	global_load_b32 v6, v[4:5], off
	s_wait_xcnt 0x0
	v_cndmask_b32_e64 v4, 0, 1, s4
	s_delay_alu instid0(VALU_DEP_1)
	v_cmp_ne_u32_e32 vcc_lo, 1, v4
	s_cbranch_scc0 .LBB30_28
; %bb.23:
	v_lshlrev_b64_e32 v[4:5], 2, v[2:3]
	s_and_b32 vcc_lo, exec_lo, vcc_lo
	s_cbranch_vccnz .LBB30_25
; %bb.24:
	s_ashr_i32 s9, s11, 31
	s_mov_b32 s8, s11
	s_ashr_i32 s3, s2, 31
	v_mul_u64_e32 v[8:9], s[8:9], v[0:1]
	s_delay_alu instid0(VALU_DEP_1) | instskip(NEXT) | instid1(VALU_DEP_1)
	v_lshl_add_u64 v[8:9], v[8:9], 2, s[0:1]
	v_add_nc_u64_e32 v[8:9], v[8:9], v[4:5]
	global_load_b32 v7, v[8:9], off
	s_wait_xcnt 0x0
	v_mul_u64_e32 v[8:9], s[2:3], v[0:1]
	s_mov_b32 s3, 0
	s_delay_alu instid0(VALU_DEP_1) | instskip(NEXT) | instid1(VALU_DEP_1)
	v_lshl_add_u64 v[8:9], v[8:9], 2, s[6:7]
	v_add_nc_u64_e32 v[8:9], v[8:9], v[4:5]
	s_wait_loadcnt 0x0
	v_mul_f32_e64 v7, v7, -v6
	global_store_b32 v[8:9], v7, off
.LBB30_25:
	s_and_not1_b32 vcc_lo, exec_lo, s3
	s_cbranch_vccnz .LBB30_27
; %bb.26:
	s_ashr_i32 s3, s2, 31
	s_ashr_i32 s9, s11, 31
	s_mov_b32 s8, s11
	s_wait_xcnt 0x0
	v_mul_u64_e32 v[8:9], s[2:3], v[0:1]
	v_mul_u64_e32 v[10:11], s[8:9], v[0:1]
	s_delay_alu instid0(VALU_DEP_2) | instskip(NEXT) | instid1(VALU_DEP_2)
	v_lshl_add_u64 v[8:9], v[8:9], 2, s[6:7]
	v_lshl_add_u64 v[10:11], v[10:11], 2, s[0:1]
	s_delay_alu instid0(VALU_DEP_2) | instskip(NEXT) | instid1(VALU_DEP_2)
	v_add_nc_u64_e32 v[8:9], v[8:9], v[4:5]
	v_add_nc_u64_e32 v[4:5], v[10:11], v[4:5]
	global_load_b32 v7, v[8:9], off
	global_load_b32 v10, v[4:5], off
	s_wait_loadcnt 0x0
	v_add_f32_e32 v4, v7, v10
	s_delay_alu instid0(VALU_DEP_1)
	v_mul_f32_e64 v4, v4, -v6
	global_store_b32 v[8:9], v4, off
.LBB30_27:
	s_mov_b32 s3, 0
.LBB30_28:
	s_delay_alu instid0(SALU_CYCLE_1)
	s_and_not1_b32 vcc_lo, exec_lo, s3
	s_cbranch_vccnz .LBB30_33
; %bb.29:
	s_and_not1_b32 vcc_lo, exec_lo, s4
	s_mov_b32 s3, -1
	s_cbranch_vccnz .LBB30_31
; %bb.30:
	s_ashr_i32 s9, s11, 31
	s_mov_b32 s8, s11
	s_ashr_i32 s3, s2, 31
	s_wait_xcnt 0x0
	v_mul_u64_e32 v[4:5], s[8:9], v[2:3]
	s_delay_alu instid0(VALU_DEP_1) | instskip(NEXT) | instid1(VALU_DEP_1)
	v_lshl_add_u64 v[4:5], v[4:5], 2, s[0:1]
	v_lshl_add_u64 v[4:5], v[0:1], 2, v[4:5]
	global_load_b32 v7, v[4:5], off
	s_wait_xcnt 0x0
	v_mul_u64_e32 v[4:5], s[2:3], v[0:1]
	s_mov_b32 s3, 0
	s_delay_alu instid0(VALU_DEP_1) | instskip(NEXT) | instid1(VALU_DEP_1)
	v_lshl_add_u64 v[4:5], v[4:5], 2, s[6:7]
	v_lshl_add_u64 v[4:5], v[2:3], 2, v[4:5]
	s_wait_loadcnt 0x0
	v_mul_f32_e64 v7, v7, -v6
	global_store_b32 v[4:5], v7, off
.LBB30_31:
	s_and_not1_b32 vcc_lo, exec_lo, s3
	s_cbranch_vccnz .LBB30_33
; %bb.32:
	s_ashr_i32 s3, s2, 31
	s_ashr_i32 s9, s11, 31
	s_mov_b32 s8, s11
	s_wait_xcnt 0x0
	v_mul_u64_e32 v[4:5], s[2:3], v[0:1]
	v_mul_u64_e32 v[8:9], s[8:9], v[2:3]
	s_delay_alu instid0(VALU_DEP_2) | instskip(NEXT) | instid1(VALU_DEP_2)
	v_lshl_add_u64 v[4:5], v[4:5], 2, s[6:7]
	v_lshl_add_u64 v[8:9], v[8:9], 2, s[0:1]
	s_delay_alu instid0(VALU_DEP_2) | instskip(NEXT) | instid1(VALU_DEP_2)
	v_lshl_add_u64 v[2:3], v[2:3], 2, v[4:5]
	v_lshl_add_u64 v[0:1], v[0:1], 2, v[8:9]
	global_load_b32 v4, v[2:3], off
	global_load_b32 v5, v[0:1], off
	s_wait_loadcnt 0x0
	v_add_f32_e32 v0, v4, v5
	s_delay_alu instid0(VALU_DEP_1)
	v_mul_f32_e64 v0, v0, -v6
	global_store_b32 v[2:3], v0, off
.LBB30_33:
	s_wait_xcnt 0x0
	s_or_b32 exec_lo, exec_lo, s5
                                        ; implicit-def: $vgpr0
.LBB30_34:
	s_and_not1_saveexec_b32 s0, s15
	s_cbranch_execz .LBB30_36
; %bb.35:
	global_load_b32 v4, v0, s[16:17] scale_offset
	v_mov_b32_e32 v1, 0
	s_ashr_i32 s3, s2, 31
	s_delay_alu instid0(VALU_DEP_1) | instid1(SALU_CYCLE_1)
	v_mul_u64_e32 v[2:3], s[2:3], v[0:1]
	s_wait_xcnt 0x0
	v_lshlrev_b64_e32 v[0:1], 2, v[0:1]
	s_delay_alu instid0(VALU_DEP_2) | instskip(NEXT) | instid1(VALU_DEP_1)
	v_lshl_add_u64 v[2:3], v[2:3], 2, s[6:7]
	v_add_nc_u64_e32 v[0:1], v[2:3], v[0:1]
	s_wait_loadcnt 0x0
	global_store_b32 v[0:1], v4, off
.LBB30_36:
	s_endpgm
	.section	.rodata,"a",@progbits
	.p2align	6, 0x0
	.amdhsa_kernel _ZN9rocsolver6v33100L14set_triangularIfPfTnNSt9enable_ifIXnt18rocblas_is_complexIT_EEiE4typeELi0EEEviiT0_iilPS4_lS8_il15rocblas_direct_15rocblas_storev_b
		.amdhsa_group_segment_fixed_size 0
		.amdhsa_private_segment_fixed_size 0
		.amdhsa_kernarg_size 344
		.amdhsa_user_sgpr_count 2
		.amdhsa_user_sgpr_dispatch_ptr 0
		.amdhsa_user_sgpr_queue_ptr 0
		.amdhsa_user_sgpr_kernarg_segment_ptr 1
		.amdhsa_user_sgpr_dispatch_id 0
		.amdhsa_user_sgpr_kernarg_preload_length 0
		.amdhsa_user_sgpr_kernarg_preload_offset 0
		.amdhsa_user_sgpr_private_segment_size 0
		.amdhsa_wavefront_size32 1
		.amdhsa_uses_dynamic_stack 0
		.amdhsa_enable_private_segment 0
		.amdhsa_system_sgpr_workgroup_id_x 1
		.amdhsa_system_sgpr_workgroup_id_y 1
		.amdhsa_system_sgpr_workgroup_id_z 1
		.amdhsa_system_sgpr_workgroup_info 0
		.amdhsa_system_vgpr_workitem_id 1
		.amdhsa_next_free_vgpr 12
		.amdhsa_next_free_sgpr 22
		.amdhsa_named_barrier_count 0
		.amdhsa_reserve_vcc 1
		.amdhsa_float_round_mode_32 0
		.amdhsa_float_round_mode_16_64 0
		.amdhsa_float_denorm_mode_32 3
		.amdhsa_float_denorm_mode_16_64 3
		.amdhsa_fp16_overflow 0
		.amdhsa_memory_ordered 1
		.amdhsa_forward_progress 1
		.amdhsa_inst_pref_size 15
		.amdhsa_round_robin_scheduling 0
		.amdhsa_exception_fp_ieee_invalid_op 0
		.amdhsa_exception_fp_denorm_src 0
		.amdhsa_exception_fp_ieee_div_zero 0
		.amdhsa_exception_fp_ieee_overflow 0
		.amdhsa_exception_fp_ieee_underflow 0
		.amdhsa_exception_fp_ieee_inexact 0
		.amdhsa_exception_int_div_zero 0
	.end_amdhsa_kernel
	.section	.text._ZN9rocsolver6v33100L14set_triangularIfPfTnNSt9enable_ifIXnt18rocblas_is_complexIT_EEiE4typeELi0EEEviiT0_iilPS4_lS8_il15rocblas_direct_15rocblas_storev_b,"axG",@progbits,_ZN9rocsolver6v33100L14set_triangularIfPfTnNSt9enable_ifIXnt18rocblas_is_complexIT_EEiE4typeELi0EEEviiT0_iilPS4_lS8_il15rocblas_direct_15rocblas_storev_b,comdat
.Lfunc_end30:
	.size	_ZN9rocsolver6v33100L14set_triangularIfPfTnNSt9enable_ifIXnt18rocblas_is_complexIT_EEiE4typeELi0EEEviiT0_iilPS4_lS8_il15rocblas_direct_15rocblas_storev_b, .Lfunc_end30-_ZN9rocsolver6v33100L14set_triangularIfPfTnNSt9enable_ifIXnt18rocblas_is_complexIT_EEiE4typeELi0EEEviiT0_iilPS4_lS8_il15rocblas_direct_15rocblas_storev_b
                                        ; -- End function
	.set _ZN9rocsolver6v33100L14set_triangularIfPfTnNSt9enable_ifIXnt18rocblas_is_complexIT_EEiE4typeELi0EEEviiT0_iilPS4_lS8_il15rocblas_direct_15rocblas_storev_b.num_vgpr, 12
	.set _ZN9rocsolver6v33100L14set_triangularIfPfTnNSt9enable_ifIXnt18rocblas_is_complexIT_EEiE4typeELi0EEEviiT0_iilPS4_lS8_il15rocblas_direct_15rocblas_storev_b.num_agpr, 0
	.set _ZN9rocsolver6v33100L14set_triangularIfPfTnNSt9enable_ifIXnt18rocblas_is_complexIT_EEiE4typeELi0EEEviiT0_iilPS4_lS8_il15rocblas_direct_15rocblas_storev_b.numbered_sgpr, 22
	.set _ZN9rocsolver6v33100L14set_triangularIfPfTnNSt9enable_ifIXnt18rocblas_is_complexIT_EEiE4typeELi0EEEviiT0_iilPS4_lS8_il15rocblas_direct_15rocblas_storev_b.num_named_barrier, 0
	.set _ZN9rocsolver6v33100L14set_triangularIfPfTnNSt9enable_ifIXnt18rocblas_is_complexIT_EEiE4typeELi0EEEviiT0_iilPS4_lS8_il15rocblas_direct_15rocblas_storev_b.private_seg_size, 0
	.set _ZN9rocsolver6v33100L14set_triangularIfPfTnNSt9enable_ifIXnt18rocblas_is_complexIT_EEiE4typeELi0EEEviiT0_iilPS4_lS8_il15rocblas_direct_15rocblas_storev_b.uses_vcc, 1
	.set _ZN9rocsolver6v33100L14set_triangularIfPfTnNSt9enable_ifIXnt18rocblas_is_complexIT_EEiE4typeELi0EEEviiT0_iilPS4_lS8_il15rocblas_direct_15rocblas_storev_b.uses_flat_scratch, 0
	.set _ZN9rocsolver6v33100L14set_triangularIfPfTnNSt9enable_ifIXnt18rocblas_is_complexIT_EEiE4typeELi0EEEviiT0_iilPS4_lS8_il15rocblas_direct_15rocblas_storev_b.has_dyn_sized_stack, 0
	.set _ZN9rocsolver6v33100L14set_triangularIfPfTnNSt9enable_ifIXnt18rocblas_is_complexIT_EEiE4typeELi0EEEviiT0_iilPS4_lS8_il15rocblas_direct_15rocblas_storev_b.has_recursion, 0
	.set _ZN9rocsolver6v33100L14set_triangularIfPfTnNSt9enable_ifIXnt18rocblas_is_complexIT_EEiE4typeELi0EEEviiT0_iilPS4_lS8_il15rocblas_direct_15rocblas_storev_b.has_indirect_call, 0
	.section	.AMDGPU.csdata,"",@progbits
; Kernel info:
; codeLenInByte = 1816
; TotalNumSgprs: 24
; NumVgprs: 12
; ScratchSize: 0
; MemoryBound: 0
; FloatMode: 240
; IeeeMode: 1
; LDSByteSize: 0 bytes/workgroup (compile time only)
; SGPRBlocks: 0
; VGPRBlocks: 0
; NumSGPRsForWavesPerEU: 24
; NumVGPRsForWavesPerEU: 12
; NamedBarCnt: 0
; Occupancy: 16
; WaveLimiterHint : 0
; COMPUTE_PGM_RSRC2:SCRATCH_EN: 0
; COMPUTE_PGM_RSRC2:USER_SGPR: 2
; COMPUTE_PGM_RSRC2:TRAP_HANDLER: 0
; COMPUTE_PGM_RSRC2:TGID_X_EN: 1
; COMPUTE_PGM_RSRC2:TGID_Y_EN: 1
; COMPUTE_PGM_RSRC2:TGID_Z_EN: 1
; COMPUTE_PGM_RSRC2:TIDIG_COMP_CNT: 1
	.section	.text._ZN9rocsolver6v33100L7set_tauIfEEviPT_l,"axG",@progbits,_ZN9rocsolver6v33100L7set_tauIfEEviPT_l,comdat
	.globl	_ZN9rocsolver6v33100L7set_tauIfEEviPT_l ; -- Begin function _ZN9rocsolver6v33100L7set_tauIfEEviPT_l
	.p2align	8
	.type	_ZN9rocsolver6v33100L7set_tauIfEEviPT_l,@function
_ZN9rocsolver6v33100L7set_tauIfEEviPT_l: ; @_ZN9rocsolver6v33100L7set_tauIfEEviPT_l
; %bb.0:
	s_clause 0x1
	s_load_b32 s3, s[0:1], 0x24
	s_load_b32 s4, s[0:1], 0x0
	s_bfe_u32 s2, ttmp6, 0x4000c
	s_and_b32 s5, ttmp6, 15
	s_add_co_i32 s6, s2, 1
	s_getreg_b32 s2, hwreg(HW_REG_IB_STS2, 6, 4)
	s_mul_i32 s6, ttmp9, s6
	s_delay_alu instid0(SALU_CYCLE_1) | instskip(SKIP_4) | instid1(SALU_CYCLE_1)
	s_add_co_i32 s5, s5, s6
	s_wait_kmcnt 0x0
	s_and_b32 s3, s3, 0xffff
	s_cmp_eq_u32 s2, 0
	s_cselect_b32 s5, ttmp9, s5
	v_mad_u32 v0, s5, s3, v0
	s_mov_b32 s3, 0
	s_delay_alu instid0(VALU_DEP_1)
	v_cmp_gt_u32_e32 vcc_lo, s4, v0
	s_and_saveexec_b32 s4, vcc_lo
	s_cbranch_execz .LBB31_2
; %bb.1:
	s_load_b128 s[4:7], s[0:1], 0x8
	s_wait_xcnt 0x0
	s_bfe_u32 s0, ttmp6, 0x40010
	s_bfe_u32 s1, ttmp6, 0x40004
	s_add_co_i32 s0, s0, 1
	s_delay_alu instid0(SALU_CYCLE_1) | instskip(NEXT) | instid1(SALU_CYCLE_1)
	s_mul_i32 s0, ttmp7, s0
	s_add_co_i32 s1, s1, s0
	s_cmp_eq_u32 s2, 0
	s_cselect_b32 s2, ttmp7, s1
	s_wait_kmcnt 0x0
	s_mul_u64 s[0:1], s[6:7], s[2:3]
	s_delay_alu instid0(SALU_CYCLE_1) | instskip(NEXT) | instid1(SALU_CYCLE_1)
	s_lshl_b64 s[0:1], s[0:1], 2
	s_add_nc_u64 s[0:1], s[4:5], s[0:1]
	global_load_b32 v1, v0, s[0:1] scale_offset
	s_wait_loadcnt 0x0
	v_xor_b32_e32 v1, 0x80000000, v1
	global_store_b32 v0, v1, s[0:1] scale_offset
.LBB31_2:
	s_endpgm
	.section	.rodata,"a",@progbits
	.p2align	6, 0x0
	.amdhsa_kernel _ZN9rocsolver6v33100L7set_tauIfEEviPT_l
		.amdhsa_group_segment_fixed_size 0
		.amdhsa_private_segment_fixed_size 0
		.amdhsa_kernarg_size 280
		.amdhsa_user_sgpr_count 2
		.amdhsa_user_sgpr_dispatch_ptr 0
		.amdhsa_user_sgpr_queue_ptr 0
		.amdhsa_user_sgpr_kernarg_segment_ptr 1
		.amdhsa_user_sgpr_dispatch_id 0
		.amdhsa_user_sgpr_kernarg_preload_length 0
		.amdhsa_user_sgpr_kernarg_preload_offset 0
		.amdhsa_user_sgpr_private_segment_size 0
		.amdhsa_wavefront_size32 1
		.amdhsa_uses_dynamic_stack 0
		.amdhsa_enable_private_segment 0
		.amdhsa_system_sgpr_workgroup_id_x 1
		.amdhsa_system_sgpr_workgroup_id_y 1
		.amdhsa_system_sgpr_workgroup_id_z 0
		.amdhsa_system_sgpr_workgroup_info 0
		.amdhsa_system_vgpr_workitem_id 0
		.amdhsa_next_free_vgpr 2
		.amdhsa_next_free_sgpr 8
		.amdhsa_named_barrier_count 0
		.amdhsa_reserve_vcc 1
		.amdhsa_float_round_mode_32 0
		.amdhsa_float_round_mode_16_64 0
		.amdhsa_float_denorm_mode_32 3
		.amdhsa_float_denorm_mode_16_64 3
		.amdhsa_fp16_overflow 0
		.amdhsa_memory_ordered 1
		.amdhsa_forward_progress 1
		.amdhsa_inst_pref_size 2
		.amdhsa_round_robin_scheduling 0
		.amdhsa_exception_fp_ieee_invalid_op 0
		.amdhsa_exception_fp_denorm_src 0
		.amdhsa_exception_fp_ieee_div_zero 0
		.amdhsa_exception_fp_ieee_overflow 0
		.amdhsa_exception_fp_ieee_underflow 0
		.amdhsa_exception_fp_ieee_inexact 0
		.amdhsa_exception_int_div_zero 0
	.end_amdhsa_kernel
	.section	.text._ZN9rocsolver6v33100L7set_tauIfEEviPT_l,"axG",@progbits,_ZN9rocsolver6v33100L7set_tauIfEEviPT_l,comdat
.Lfunc_end31:
	.size	_ZN9rocsolver6v33100L7set_tauIfEEviPT_l, .Lfunc_end31-_ZN9rocsolver6v33100L7set_tauIfEEviPT_l
                                        ; -- End function
	.set _ZN9rocsolver6v33100L7set_tauIfEEviPT_l.num_vgpr, 2
	.set _ZN9rocsolver6v33100L7set_tauIfEEviPT_l.num_agpr, 0
	.set _ZN9rocsolver6v33100L7set_tauIfEEviPT_l.numbered_sgpr, 8
	.set _ZN9rocsolver6v33100L7set_tauIfEEviPT_l.num_named_barrier, 0
	.set _ZN9rocsolver6v33100L7set_tauIfEEviPT_l.private_seg_size, 0
	.set _ZN9rocsolver6v33100L7set_tauIfEEviPT_l.uses_vcc, 1
	.set _ZN9rocsolver6v33100L7set_tauIfEEviPT_l.uses_flat_scratch, 0
	.set _ZN9rocsolver6v33100L7set_tauIfEEviPT_l.has_dyn_sized_stack, 0
	.set _ZN9rocsolver6v33100L7set_tauIfEEviPT_l.has_recursion, 0
	.set _ZN9rocsolver6v33100L7set_tauIfEEviPT_l.has_indirect_call, 0
	.section	.AMDGPU.csdata,"",@progbits
; Kernel info:
; codeLenInByte = 212
; TotalNumSgprs: 10
; NumVgprs: 2
; ScratchSize: 0
; MemoryBound: 0
; FloatMode: 240
; IeeeMode: 1
; LDSByteSize: 0 bytes/workgroup (compile time only)
; SGPRBlocks: 0
; VGPRBlocks: 0
; NumSGPRsForWavesPerEU: 10
; NumVGPRsForWavesPerEU: 2
; NamedBarCnt: 0
; Occupancy: 16
; WaveLimiterHint : 0
; COMPUTE_PGM_RSRC2:SCRATCH_EN: 0
; COMPUTE_PGM_RSRC2:USER_SGPR: 2
; COMPUTE_PGM_RSRC2:TRAP_HANDLER: 0
; COMPUTE_PGM_RSRC2:TGID_X_EN: 1
; COMPUTE_PGM_RSRC2:TGID_Y_EN: 1
; COMPUTE_PGM_RSRC2:TGID_Z_EN: 0
; COMPUTE_PGM_RSRC2:TIDIG_COMP_CNT: 0
	.section	.text._ZN9rocsolver6v33100L20larft_kernel_forwardIfPfEEv15rocblas_storev_iiT0_iilPT_lS6_il,"axG",@progbits,_ZN9rocsolver6v33100L20larft_kernel_forwardIfPfEEv15rocblas_storev_iiT0_iilPT_lS6_il,comdat
	.globl	_ZN9rocsolver6v33100L20larft_kernel_forwardIfPfEEv15rocblas_storev_iiT0_iilPT_lS6_il ; -- Begin function _ZN9rocsolver6v33100L20larft_kernel_forwardIfPfEEv15rocblas_storev_iiT0_iilPT_lS6_il
	.p2align	8
	.type	_ZN9rocsolver6v33100L20larft_kernel_forwardIfPfEEv15rocblas_storev_iiT0_iilPT_lS6_il,@function
_ZN9rocsolver6v33100L20larft_kernel_forwardIfPfEEv15rocblas_storev_iiT0_iilPT_lS6_il: ; @_ZN9rocsolver6v33100L20larft_kernel_forwardIfPfEEv15rocblas_storev_iiT0_iilPT_lS6_il
; %bb.0:
	s_clause 0x4
	s_load_b32 s2, s[0:1], 0x5c
	s_load_b96 s[16:18], s[0:1], 0x0
	s_load_b64 s[14:15], s[0:1], 0x48
	s_load_b32 s3, s[0:1], 0x40
	s_load_b256 s[4:11], s[0:1], 0x20
	s_bfe_u32 s13, ttmp6, 0x40010
	s_bfe_u32 s19, ttmp6, 0x40004
	s_add_co_i32 s13, s13, 1
	s_getreg_b32 s20, hwreg(HW_REG_IB_STS2, 6, 4)
	s_mul_i32 s13, ttmp7, s13
	v_dual_lshlrev_b32 v1, 1, v0 :: v_dual_lshlrev_b32 v2, 2, v0
	s_add_co_i32 s13, s19, s13
	s_mov_b32 s12, 0
	s_wait_kmcnt 0x0
	s_and_b32 s19, s2, 0xffff
	s_cmp_eq_u32 s20, 0
	v_cmp_gt_i32_e64 s2, s18, v0
	s_cselect_b32 s20, ttmp7, s13
	v_xad_u32 v10, v0, -1, s18
	s_ashr_i32 s21, s20, 31
	v_sub_nc_u32_e32 v11, s18, v0
	s_mul_u64 s[14:15], s[14:15], s[20:21]
	s_lshl_b32 s30, s18, 2
	s_lshl_b64 s[14:15], s[14:15], 2
	s_add_co_i32 s31, s30, 0
	s_add_nc_u64 s[10:11], s[10:11], s[14:15]
	s_and_saveexec_b32 s13, s2
	s_cbranch_execz .LBB32_12
; %bb.1:
	v_dual_lshlrev_b32 v3, 1, v0 :: v_dual_sub_nc_u32 v12, s18, v0
	s_lshl_b32 s14, s19, 1
	s_cmp_lg_u32 s3, 1
	v_add3_u32 v13, 0, s30, v2
	s_delay_alu instid0(VALU_DEP_2)
	v_dual_mov_b32 v14, v3 :: v_dual_mov_b32 v4, v0
	s_cselect_b32 s24, -1, 0
	s_mov_b32 s15, s18
	s_mov_b32 s22, s18
	s_lshl_b32 s23, s19, 2
	s_xor_b32 s24, s24, -1
	s_mov_b32 s25, 0
	s_branch .LBB32_3
.LBB32_2:                               ;   in Loop: Header=BB32_3 Depth=1
	s_or_b32 exec_lo, exec_lo, s27
	v_dual_add_nc_u32 v4, s19, v4 :: v_dual_add_nc_u32 v14, s14, v14
	v_subrev_nc_u32_e32 v12, s19, v12
	v_add_nc_u32_e32 v13, s23, v13
	s_add_co_i32 s25, s25, 1
	s_delay_alu instid0(VALU_DEP_3) | instskip(SKIP_1) | instid1(SALU_CYCLE_1)
	v_cmp_le_i32_e32 vcc_lo, s18, v4
	s_or_b32 s12, vcc_lo, s12
	s_and_not1_b32 exec_lo, exec_lo, s12
	s_cbranch_execz .LBB32_12
.LBB32_3:                               ; =>This Loop Header: Depth=1
                                        ;     Child Loop BB32_6 Depth 2
                                        ;     Child Loop BB32_11 Depth 2
	s_mul_i32 s28, s25, s19
	s_mov_b32 s27, exec_lo
	v_add_nc_u32_e32 v5, s28, v0
	s_delay_alu instid0(VALU_DEP_1) | instskip(NEXT) | instid1(VALU_DEP_1)
	v_dual_sub_nc_u32 v15, s18, v5 :: v_dual_mov_b32 v5, v4
	v_cmp_gt_u32_e64 s26, 4, v15
	v_cmpx_lt_u32_e32 3, v15
	s_cbranch_execz .LBB32_9
; %bb.4:                                ;   in Loop: Header=BB32_3 Depth=1
	v_mad_u32 v5, s14, s25, v3
	v_subrev_nc_u32_e32 v6, s28, v10
	s_mov_b32 s29, -1
	s_delay_alu instid0(VALU_DEP_1) | instskip(NEXT) | instid1(VALU_DEP_1)
	v_add_nc_u32_e32 v6, v5, v6
	v_cmp_ge_i32_e32 vcc_lo, v6, v5
	v_mov_b32_e32 v5, v4
	s_and_b32 s33, s24, vcc_lo
	s_delay_alu instid0(SALU_CYCLE_1)
	s_and_saveexec_b32 s28, s33
	s_cbranch_execz .LBB32_8
; %bb.5:                                ;   in Loop: Header=BB32_3 Depth=1
	v_dual_mov_b32 v6, v14 :: v_dual_add_nc_u32 v5, 1, v4
	v_and_b32_e32 v16, -2, v12
	v_lshl_add_u32 v17, v4, 2, s31
	s_mov_b32 s29, 0
	s_delay_alu instid0(VALU_DEP_3)
	v_mov_b64_e32 v[8:9], v[4:5]
.LBB32_6:                               ;   Parent Loop BB32_3 Depth=1
                                        ; =>  This Inner Loop Header: Depth=2
	s_delay_alu instid0(VALU_DEP_3) | instskip(NEXT) | instid1(VALU_DEP_2)
	v_dual_ashrrev_i32 v7, 31, v6 :: v_dual_add_nc_u32 v16, -2, v16
	v_mul_lo_u32 v5, v8, s15
	v_add_nc_u32_e32 v8, 2, v8
	s_delay_alu instid0(VALU_DEP_3)
	v_lshl_add_u64 v[18:19], v[6:7], 2, s[10:11]
	v_mul_lo_u32 v7, v9, s22
	v_cmp_eq_u32_e32 vcc_lo, 0, v16
	v_dual_add_nc_u32 v9, 2, v9 :: v_dual_add_nc_u32 v6, 2, v6
	global_load_b64 v[18:19], v[18:19], off
	s_or_b32 s29, vcc_lo, s29
	v_lshl_add_u32 v5, v5, 2, v17
	v_lshl_add_u32 v7, v7, 2, v17
	s_wait_loadcnt 0x0
	ds_store_b32 v5, v18
	ds_store_b32 v7, v19
	s_wait_xcnt 0x0
	s_and_not1_b32 exec_lo, exec_lo, s29
	s_cbranch_execnz .LBB32_6
; %bb.7:                                ;   in Loop: Header=BB32_3 Depth=1
	s_or_b32 exec_lo, exec_lo, s29
	v_and_b32_e32 v5, -2, v15
	s_delay_alu instid0(VALU_DEP_1)
	v_cmp_ne_u32_e32 vcc_lo, v15, v5
	v_add_nc_u32_e32 v5, v4, v5
	s_or_not1_b32 s29, vcc_lo, exec_lo
.LBB32_8:                               ;   in Loop: Header=BB32_3 Depth=1
	s_or_b32 exec_lo, exec_lo, s28
	s_delay_alu instid0(SALU_CYCLE_1) | instskip(SKIP_1) | instid1(SALU_CYCLE_1)
	s_and_not1_b32 s26, s26, exec_lo
	s_and_b32 s28, s29, exec_lo
	s_or_b32 s26, s26, s28
.LBB32_9:                               ;   in Loop: Header=BB32_3 Depth=1
	s_or_b32 exec_lo, exec_lo, s27
	s_and_saveexec_b32 s27, s26
	s_cbranch_execz .LBB32_2
; %bb.10:                               ;   in Loop: Header=BB32_3 Depth=1
	v_mad_u32 v6, s30, v5, v13
	v_mad_u32 v7, s3, v5, v4
	s_mov_b32 s26, 0
.LBB32_11:                              ;   Parent Loop BB32_3 Depth=1
                                        ; =>  This Inner Loop Header: Depth=2
	global_load_b32 v8, v7, s[10:11] scale_offset
	s_wait_xcnt 0x0
	v_dual_add_nc_u32 v5, 1, v5 :: v_dual_add_nc_u32 v7, s3, v7
	s_delay_alu instid0(VALU_DEP_1)
	v_cmp_le_i32_e32 vcc_lo, s18, v5
	s_or_b32 s26, vcc_lo, s26
	s_wait_loadcnt 0x0
	ds_store_b32 v6, v8
	v_add_nc_u32_e32 v6, s30, v6
	s_and_not1_b32 exec_lo, exec_lo, s26
	s_cbranch_execnz .LBB32_11
	s_branch .LBB32_2
.LBB32_12:
	s_or_b32 exec_lo, exec_lo, s13
	s_cmp_lt_i32 s18, 2
	s_wait_dscnt 0x0
	s_barrier_signal -1
	s_barrier_wait -1
	s_cbranch_scc1 .LBB32_37
; %bb.13:
	s_load_b128 s[12:15], s[0:1], 0x10
	v_add_nc_u32_e32 v3, 4, v2
	s_wait_xcnt 0x0
	s_mul_u64 s[0:1], s[8:9], s[20:21]
	s_mul_u64 s[8:9], s[4:5], s[20:21]
	s_lshl_b64 s[0:1], s[0:1], 2
	s_mov_b32 s33, 1
	v_mul_lo_u32 v4, s18, v3
	v_mov_b32_e32 v3, 0
	s_add_nc_u64 s[6:7], s[6:7], s[0:1]
	s_mov_b32 s5, 0
	s_delay_alu instid0(VALU_DEP_2)
	v_add3_u32 v12, v4, v2, 0
	s_wait_kmcnt 0x0
	s_ashr_i32 s1, s14, 31
	s_cmp_lg_u32 s16, 0xb5
	v_mul_lo_u32 v13, v0, s15
	s_mov_b32 s0, s14
	s_cselect_b32 s14, -1, 0
	s_lshl_b64 s[26:27], s[8:9], 2
	s_lshl_b64 s[0:1], s[0:1], 2
	v_add_nc_u64_e32 v[4:5], s[26:27], v[2:3]
	s_add_nc_u64 s[22:23], s[12:13], s[0:1]
	s_add_nc_u64 s[0:1], s[26:27], s[0:1]
	v_add_nc_u32_e32 v3, 0, v2
	s_mov_b32 s24, s15
	s_ashr_i32 s25, s15, 31
	s_add_nc_u64 s[0:1], s[12:13], s[0:1]
	s_add_co_i32 s35, s30, 4
	s_add_co_i32 s16, s17, -2
	s_lshl_b32 s8, s15, 1
	s_lshl_b32 s4, s19, 2
	s_add_nc_u64 s[20:21], s[26:27], 4
	s_lshl_b64 s[24:25], s[24:25], 2
	s_add_nc_u64 s[12:13], s[0:1], 8
	s_mul_i32 s34, s15, s19
	s_mul_i32 s35, s35, s19
	s_mov_b32 s26, s15
	s_branch .LBB32_15
.LBB32_14:                              ;   in Loop: Header=BB32_15 Depth=1
	s_or_b32 exec_lo, exec_lo, s0
	s_add_co_i32 s33, s33, 1
	s_add_co_i32 s16, s16, -1
	s_add_co_i32 s8, s8, s15
	s_add_co_i32 s26, s26, s15
	s_add_nc_u64 s[20:21], s[20:21], 4
	s_cmp_eq_u32 s33, s18
	s_add_nc_u64 s[12:13], s[12:13], 4
	s_wait_dscnt 0x0
	s_barrier_signal -1
	s_barrier_wait -1
	s_cbranch_scc1 .LBB32_37
.LBB32_15:                              ; =>This Loop Header: Depth=1
                                        ;     Child Loop BB32_19 Depth 2
                                        ;       Child Loop BB32_21 Depth 3
                                        ;     Child Loop BB32_28 Depth 2
                                        ;       Child Loop BB32_30 Depth 3
	;; [unrolled: 2-line block ×3, first 2 shown]
	s_mul_i32 s0, s33, s18
	s_not_b32 s1, s33
	s_lshl_b32 s0, s0, 2
	s_add_co_i32 s37, s17, s1
	s_add_co_i32 s36, s31, s0
	v_cmp_gt_u32_e64 s0, s33, v0
	s_and_b32 vcc_lo, exec_lo, s14
	s_mov_b32 s1, -1
	s_cbranch_vccz .LBB32_23
; %bb.16:                               ;   in Loop: Header=BB32_15 Depth=1
	s_and_saveexec_b32 s27, s0
	s_cbranch_execz .LBB32_22
; %bb.17:                               ;   in Loop: Header=BB32_15 Depth=1
	s_load_b32 s38, s[6:7], s33 offset:0x0 scale_offset
	s_ashr_i32 s9, s8, 31
	v_mov_b64_e32 v[6:7], v[4:5]
	s_lshl_b64 s[0:1], s[8:9], 2
	v_mov_b32_e32 v8, v0
	s_cmp_gt_i32 s37, 0
	s_add_nc_u64 s[0:1], s[22:23], s[0:1]
	s_cselect_b32 s9, -1, 0
	s_mov_b32 s39, 0
	s_branch .LBB32_19
.LBB32_18:                              ;   in Loop: Header=BB32_19 Depth=2
	s_wait_xcnt 0x0
	v_dual_lshlrev_b32 v14, 2, v8 :: v_dual_add_nc_u32 v8, s19, v8
	v_add_nc_u64_e32 v[6:7], s[4:5], v[6:7]
	s_delay_alu instid0(VALU_DEP_2) | instskip(NEXT) | instid1(VALU_DEP_3)
	v_add_nc_u32_e32 v15, s36, v14
	v_cmp_le_u32_e32 vcc_lo, s33, v8
	ds_load_b32 v15, v15
	s_or_b32 s39, vcc_lo, s39
	s_wait_dscnt 0x0
	s_wait_kmcnt 0x0
	v_dual_fmac_f32 v15, s38, v9 :: v_dual_add_nc_u32 v9, 0, v14
	ds_store_b32 v9, v15
	s_and_not1_b32 exec_lo, exec_lo, s39
	s_cbranch_execz .LBB32_22
.LBB32_19:                              ;   Parent Loop BB32_15 Depth=1
                                        ; =>  This Loop Header: Depth=2
                                        ;       Child Loop BB32_21 Depth 3
	v_mov_b32_e32 v9, 0
	s_and_not1_b32 vcc_lo, exec_lo, s9
	s_cbranch_vccnz .LBB32_18
; %bb.20:                               ;   in Loop: Header=BB32_19 Depth=2
	s_mov_b32 s40, 0
	s_mov_b64 s[28:29], s[0:1]
.LBB32_21:                              ;   Parent Loop BB32_15 Depth=1
                                        ;     Parent Loop BB32_19 Depth=2
                                        ; =>    This Inner Loop Header: Depth=3
	s_wait_xcnt 0x0
	v_add_nc_u64_e32 v[14:15], s[28:29], v[6:7]
	s_add_nc_u64 s[42:43], s[28:29], s[20:21]
	s_add_co_i32 s40, s40, 1
	s_add_nc_u64 s[28:29], s[28:29], s[24:25]
	s_cmp_eq_u32 s16, s40
	s_load_b32 s41, s[42:43], 0x0
	global_load_b32 v14, v[14:15], off
	s_wait_loadcnt 0x0
	s_wait_kmcnt 0x0
	v_fmac_f32_e32 v9, s41, v14
	s_cbranch_scc0 .LBB32_21
	s_branch .LBB32_18
.LBB32_22:                              ;   in Loop: Header=BB32_15 Depth=1
	s_or_b32 exec_lo, exec_lo, s27
	s_mov_b32 s1, 0
.LBB32_23:                              ;   in Loop: Header=BB32_15 Depth=1
	s_delay_alu instid0(SALU_CYCLE_1)
	s_and_not1_b32 vcc_lo, exec_lo, s1
	s_cbranch_vccnz .LBB32_32
; %bb.24:                               ;   in Loop: Header=BB32_15 Depth=1
	s_mov_b32 s9, exec_lo
	v_cmpx_gt_u32_e64 s33, v0
	s_cbranch_execz .LBB32_31
; %bb.25:                               ;   in Loop: Header=BB32_15 Depth=1
	s_load_b32 s38, s[6:7], s33 offset:0x0 scale_offset
	s_ashr_i32 s27, s26, 31
	v_dual_mov_b32 v6, v13 :: v_dual_mov_b32 v14, v0
	s_lshl_b64 s[0:1], s[26:27], 2
	s_cmp_gt_i32 s37, 0
	s_add_nc_u64 s[0:1], s[12:13], s[0:1]
	s_cselect_b32 s27, -1, 0
	s_mov_b32 s37, 0
	s_branch .LBB32_28
.LBB32_26:                              ;   in Loop: Header=BB32_28 Depth=2
	v_mov_b32_e32 v7, 0
.LBB32_27:                              ;   in Loop: Header=BB32_28 Depth=2
	v_dual_lshlrev_b32 v8, 2, v14 :: v_dual_add_nc_u32 v14, s19, v14
	s_delay_alu instid0(VALU_DEP_1) | instskip(NEXT) | instid1(VALU_DEP_2)
	v_dual_add_nc_u32 v6, s34, v6 :: v_dual_add_nc_u32 v9, s36, v8
	v_cmp_le_u32_e32 vcc_lo, s33, v14
	ds_load_b32 v9, v9
	s_or_b32 s37, vcc_lo, s37
	s_wait_dscnt 0x0
	s_wait_kmcnt 0x0
	v_dual_fmac_f32 v9, s38, v7 :: v_dual_add_nc_u32 v7, 0, v8
	ds_store_b32 v7, v9
	s_and_not1_b32 exec_lo, exec_lo, s37
	s_cbranch_execz .LBB32_31
.LBB32_28:                              ;   Parent Loop BB32_15 Depth=1
                                        ; =>  This Loop Header: Depth=2
                                        ;       Child Loop BB32_30 Depth 3
	s_and_not1_b32 vcc_lo, exec_lo, s27
	s_cbranch_vccnz .LBB32_26
; %bb.29:                               ;   in Loop: Header=BB32_28 Depth=2
	v_ashrrev_i32_e32 v7, 31, v6
	s_mov_b32 s39, 0
	s_mov_b64 s[28:29], s[0:1]
	s_delay_alu instid0(VALU_DEP_1)
	v_lshl_add_u64 v[8:9], v[6:7], 2, s[12:13]
	v_mov_b32_e32 v7, 0
.LBB32_30:                              ;   Parent Loop BB32_15 Depth=1
                                        ;     Parent Loop BB32_28 Depth=2
                                        ; =>    This Inner Loop Header: Depth=3
	global_load_b32 v15, v[8:9], off
	s_load_b32 s40, s[28:29], 0x0
	v_add_nc_u64_e32 v[8:9], 4, v[8:9]
	s_add_co_i32 s39, s39, 1
	s_wait_xcnt 0x0
	s_add_nc_u64 s[28:29], s[28:29], 4
	s_cmp_eq_u32 s16, s39
	s_wait_loadcnt 0x0
	s_wait_kmcnt 0x0
	v_fmac_f32_e32 v7, s40, v15
	s_cbranch_scc0 .LBB32_30
	s_branch .LBB32_27
.LBB32_31:                              ;   in Loop: Header=BB32_15 Depth=1
	s_or_b32 exec_lo, exec_lo, s9
.LBB32_32:                              ;   in Loop: Header=BB32_15 Depth=1
	s_delay_alu instid0(SALU_CYCLE_1)
	s_mov_b32 s0, exec_lo
	s_wait_dscnt 0x0
	s_barrier_signal -1
	s_barrier_wait -1
	v_cmpx_gt_u32_e64 s33, v0
	s_cbranch_execz .LBB32_14
; %bb.33:                               ;   in Loop: Header=BB32_15 Depth=1
	v_dual_mov_b32 v6, v3 :: v_dual_mov_b32 v7, v12
	v_mov_b32_e32 v8, v0
	s_mov_b32 s1, 0
.LBB32_34:                              ;   Parent Loop BB32_15 Depth=1
                                        ; =>  This Loop Header: Depth=2
                                        ;       Child Loop BB32_35 Depth 3
	s_delay_alu instid0(VALU_DEP_2) | instskip(NEXT) | instid1(VALU_DEP_2)
	v_dual_mov_b32 v9, 0 :: v_dual_mov_b32 v14, v6
	v_dual_mov_b32 v15, v7 :: v_dual_mov_b32 v16, v8
	s_mov_b32 s9, 0
.LBB32_35:                              ;   Parent Loop BB32_15 Depth=1
                                        ;     Parent Loop BB32_34 Depth=2
                                        ; =>    This Inner Loop Header: Depth=3
	ds_load_b32 v17, v15
	ds_load_b32 v18, v14
	v_dual_add_nc_u32 v16, 1, v16 :: v_dual_add_nc_u32 v15, s30, v15
	v_add_nc_u32_e32 v14, 4, v14
	s_delay_alu instid0(VALU_DEP_2)
	v_cmp_le_u32_e32 vcc_lo, s33, v16
	s_or_b32 s9, vcc_lo, s9
	s_wait_dscnt 0x0
	v_fmac_f32_e32 v9, v17, v18
	s_and_not1_b32 exec_lo, exec_lo, s9
	s_cbranch_execnz .LBB32_35
; %bb.36:                               ;   in Loop: Header=BB32_34 Depth=2
	s_or_b32 exec_lo, exec_lo, s9
	v_lshl_add_u32 v14, v8, 2, s36
	v_dual_add_nc_u32 v8, s19, v8 :: v_dual_add_nc_u32 v7, s35, v7
	v_add_nc_u32_e32 v6, s4, v6
	ds_store_b32 v14, v9
	v_cmp_le_u32_e32 vcc_lo, s33, v8
	s_or_b32 s1, vcc_lo, s1
	s_delay_alu instid0(SALU_CYCLE_1)
	s_and_not1_b32 exec_lo, exec_lo, s1
	s_cbranch_execnz .LBB32_34
	s_branch .LBB32_14
.LBB32_37:
	s_and_saveexec_b32 s0, s2
	s_cbranch_execz .LBB32_49
; %bb.38:
	s_lshl_b32 s0, s19, 1
	s_cmp_lg_u32 s3, 1
	v_add3_u32 v8, 0, s30, v2
	v_dual_mov_b32 v9, v1 :: v_dual_mov_b32 v2, v0
	s_cselect_b32 s6, -1, 0
	s_mov_b32 s1, s18
	s_mov_b32 s2, s18
	;; [unrolled: 1-line block ×3, first 2 shown]
	s_lshl_b32 s5, s19, 2
	s_xor_b32 s6, s6, -1
	s_mov_b32 s7, 0
	s_branch .LBB32_40
.LBB32_39:                              ;   in Loop: Header=BB32_40 Depth=1
	s_or_b32 exec_lo, exec_lo, s9
	v_dual_add_nc_u32 v2, s19, v2 :: v_dual_add_nc_u32 v9, s0, v9
	v_subrev_nc_u32_e32 v11, s19, v11
	v_add_nc_u32_e32 v8, s5, v8
	s_add_co_i32 s7, s7, 1
	s_delay_alu instid0(VALU_DEP_3) | instskip(SKIP_1) | instid1(SALU_CYCLE_1)
	v_cmp_le_i32_e32 vcc_lo, s18, v2
	s_or_b32 s4, vcc_lo, s4
	s_and_not1_b32 exec_lo, exec_lo, s4
	s_cbranch_execz .LBB32_49
.LBB32_40:                              ; =>This Loop Header: Depth=1
                                        ;     Child Loop BB32_43 Depth 2
                                        ;     Child Loop BB32_48 Depth 2
	s_mul_i32 s12, s7, s19
	s_mov_b32 s9, exec_lo
	v_add_nc_u32_e32 v3, s12, v0
	s_delay_alu instid0(VALU_DEP_1) | instskip(NEXT) | instid1(VALU_DEP_1)
	v_dual_mov_b32 v3, v2 :: v_dual_sub_nc_u32 v12, s18, v3
	v_cmp_gt_u32_e64 s8, 4, v12
	v_cmpx_lt_u32_e32 3, v12
	s_cbranch_execz .LBB32_46
; %bb.41:                               ;   in Loop: Header=BB32_40 Depth=1
	v_mad_u32 v3, s0, s7, v1
	v_subrev_nc_u32_e32 v4, s12, v10
	s_mov_b32 s13, -1
	s_delay_alu instid0(VALU_DEP_1) | instskip(NEXT) | instid1(VALU_DEP_1)
	v_add_nc_u32_e32 v4, v3, v4
	v_cmp_ge_i32_e32 vcc_lo, v4, v3
	v_mov_b32_e32 v3, v2
	s_and_b32 s14, s6, vcc_lo
	s_delay_alu instid0(SALU_CYCLE_1)
	s_and_saveexec_b32 s12, s14
	s_cbranch_execz .LBB32_45
; %bb.42:                               ;   in Loop: Header=BB32_40 Depth=1
	v_dual_add_nc_u32 v3, 1, v2 :: v_dual_bitop2_b32 v13, -2, v11 bitop3:0x40
	v_lshl_add_u32 v14, v2, 2, s31
	v_mov_b32_e32 v4, v9
	s_mov_b32 s13, 0
	s_delay_alu instid0(VALU_DEP_3)
	v_mov_b64_e32 v[6:7], v[2:3]
.LBB32_43:                              ;   Parent Loop BB32_40 Depth=1
                                        ; =>  This Inner Loop Header: Depth=2
	s_delay_alu instid0(VALU_DEP_1) | instskip(NEXT) | instid1(VALU_DEP_2)
	v_mul_lo_u32 v3, v6, s1
	v_mul_lo_u32 v5, v7, s2
	v_dual_add_nc_u32 v13, -2, v13 :: v_dual_add_nc_u32 v7, 2, v7
	v_add_nc_u32_e32 v6, 2, v6
	s_delay_alu instid0(VALU_DEP_4) | instskip(NEXT) | instid1(VALU_DEP_4)
	v_lshl_add_u32 v3, v3, 2, v14
	v_lshl_add_u32 v5, v5, 2, v14
	ds_load_b32 v16, v3
	ds_load_b32 v17, v5
	v_ashrrev_i32_e32 v5, 31, v4
	v_cmp_eq_u32_e32 vcc_lo, 0, v13
	s_delay_alu instid0(VALU_DEP_2)
	v_lshl_add_u64 v[18:19], v[4:5], 2, s[10:11]
	v_add_nc_u32_e32 v4, 2, v4
	s_or_b32 s13, vcc_lo, s13
	s_wait_dscnt 0x0
	global_store_b64 v[18:19], v[16:17], off
	s_wait_xcnt 0x0
	s_and_not1_b32 exec_lo, exec_lo, s13
	s_cbranch_execnz .LBB32_43
; %bb.44:                               ;   in Loop: Header=BB32_40 Depth=1
	s_or_b32 exec_lo, exec_lo, s13
	v_and_b32_e32 v3, -2, v12
	s_delay_alu instid0(VALU_DEP_1)
	v_cmp_ne_u32_e32 vcc_lo, v12, v3
	v_add_nc_u32_e32 v3, v2, v3
	s_or_not1_b32 s13, vcc_lo, exec_lo
.LBB32_45:                              ;   in Loop: Header=BB32_40 Depth=1
	s_or_b32 exec_lo, exec_lo, s12
	s_delay_alu instid0(SALU_CYCLE_1) | instskip(SKIP_1) | instid1(SALU_CYCLE_1)
	s_and_not1_b32 s8, s8, exec_lo
	s_and_b32 s12, s13, exec_lo
	s_or_b32 s8, s8, s12
.LBB32_46:                              ;   in Loop: Header=BB32_40 Depth=1
	s_or_b32 exec_lo, exec_lo, s9
	s_and_saveexec_b32 s9, s8
	s_cbranch_execz .LBB32_39
; %bb.47:                               ;   in Loop: Header=BB32_40 Depth=1
	v_mad_u32 v4, s3, v3, v2
	v_mad_u32 v5, s30, v3, v8
	s_mov_b32 s8, 0
.LBB32_48:                              ;   Parent Loop BB32_40 Depth=1
                                        ; =>  This Inner Loop Header: Depth=2
	ds_load_b32 v6, v5
	v_dual_add_nc_u32 v3, 1, v3 :: v_dual_add_nc_u32 v5, s30, v5
	s_delay_alu instid0(VALU_DEP_1)
	v_cmp_le_i32_e32 vcc_lo, s18, v3
	s_or_b32 s8, vcc_lo, s8
	s_wait_dscnt 0x0
	global_store_b32 v4, v6, s[10:11] scale_offset
	s_wait_xcnt 0x0
	v_add_nc_u32_e32 v4, s3, v4
	s_and_not1_b32 exec_lo, exec_lo, s8
	s_cbranch_execnz .LBB32_48
	s_branch .LBB32_39
.LBB32_49:
	s_endpgm
	.section	.rodata,"a",@progbits
	.p2align	6, 0x0
	.amdhsa_kernel _ZN9rocsolver6v33100L20larft_kernel_forwardIfPfEEv15rocblas_storev_iiT0_iilPT_lS6_il
		.amdhsa_group_segment_fixed_size 0
		.amdhsa_private_segment_fixed_size 0
		.amdhsa_kernarg_size 336
		.amdhsa_user_sgpr_count 2
		.amdhsa_user_sgpr_dispatch_ptr 0
		.amdhsa_user_sgpr_queue_ptr 0
		.amdhsa_user_sgpr_kernarg_segment_ptr 1
		.amdhsa_user_sgpr_dispatch_id 0
		.amdhsa_user_sgpr_kernarg_preload_length 0
		.amdhsa_user_sgpr_kernarg_preload_offset 0
		.amdhsa_user_sgpr_private_segment_size 0
		.amdhsa_wavefront_size32 1
		.amdhsa_uses_dynamic_stack 0
		.amdhsa_enable_private_segment 0
		.amdhsa_system_sgpr_workgroup_id_x 1
		.amdhsa_system_sgpr_workgroup_id_y 1
		.amdhsa_system_sgpr_workgroup_id_z 0
		.amdhsa_system_sgpr_workgroup_info 0
		.amdhsa_system_vgpr_workitem_id 0
		.amdhsa_next_free_vgpr 20
		.amdhsa_next_free_sgpr 44
		.amdhsa_named_barrier_count 0
		.amdhsa_reserve_vcc 1
		.amdhsa_float_round_mode_32 0
		.amdhsa_float_round_mode_16_64 0
		.amdhsa_float_denorm_mode_32 3
		.amdhsa_float_denorm_mode_16_64 3
		.amdhsa_fp16_overflow 0
		.amdhsa_memory_ordered 1
		.amdhsa_forward_progress 1
		.amdhsa_inst_pref_size 17
		.amdhsa_round_robin_scheduling 0
		.amdhsa_exception_fp_ieee_invalid_op 0
		.amdhsa_exception_fp_denorm_src 0
		.amdhsa_exception_fp_ieee_div_zero 0
		.amdhsa_exception_fp_ieee_overflow 0
		.amdhsa_exception_fp_ieee_underflow 0
		.amdhsa_exception_fp_ieee_inexact 0
		.amdhsa_exception_int_div_zero 0
	.end_amdhsa_kernel
	.section	.text._ZN9rocsolver6v33100L20larft_kernel_forwardIfPfEEv15rocblas_storev_iiT0_iilPT_lS6_il,"axG",@progbits,_ZN9rocsolver6v33100L20larft_kernel_forwardIfPfEEv15rocblas_storev_iiT0_iilPT_lS6_il,comdat
.Lfunc_end32:
	.size	_ZN9rocsolver6v33100L20larft_kernel_forwardIfPfEEv15rocblas_storev_iiT0_iilPT_lS6_il, .Lfunc_end32-_ZN9rocsolver6v33100L20larft_kernel_forwardIfPfEEv15rocblas_storev_iiT0_iilPT_lS6_il
                                        ; -- End function
	.set _ZN9rocsolver6v33100L20larft_kernel_forwardIfPfEEv15rocblas_storev_iiT0_iilPT_lS6_il.num_vgpr, 20
	.set _ZN9rocsolver6v33100L20larft_kernel_forwardIfPfEEv15rocblas_storev_iiT0_iilPT_lS6_il.num_agpr, 0
	.set _ZN9rocsolver6v33100L20larft_kernel_forwardIfPfEEv15rocblas_storev_iiT0_iilPT_lS6_il.numbered_sgpr, 44
	.set _ZN9rocsolver6v33100L20larft_kernel_forwardIfPfEEv15rocblas_storev_iiT0_iilPT_lS6_il.num_named_barrier, 0
	.set _ZN9rocsolver6v33100L20larft_kernel_forwardIfPfEEv15rocblas_storev_iiT0_iilPT_lS6_il.private_seg_size, 0
	.set _ZN9rocsolver6v33100L20larft_kernel_forwardIfPfEEv15rocblas_storev_iiT0_iilPT_lS6_il.uses_vcc, 1
	.set _ZN9rocsolver6v33100L20larft_kernel_forwardIfPfEEv15rocblas_storev_iiT0_iilPT_lS6_il.uses_flat_scratch, 0
	.set _ZN9rocsolver6v33100L20larft_kernel_forwardIfPfEEv15rocblas_storev_iiT0_iilPT_lS6_il.has_dyn_sized_stack, 0
	.set _ZN9rocsolver6v33100L20larft_kernel_forwardIfPfEEv15rocblas_storev_iiT0_iilPT_lS6_il.has_recursion, 0
	.set _ZN9rocsolver6v33100L20larft_kernel_forwardIfPfEEv15rocblas_storev_iiT0_iilPT_lS6_il.has_indirect_call, 0
	.section	.AMDGPU.csdata,"",@progbits
; Kernel info:
; codeLenInByte = 2156
; TotalNumSgprs: 46
; NumVgprs: 20
; ScratchSize: 0
; MemoryBound: 0
; FloatMode: 240
; IeeeMode: 1
; LDSByteSize: 0 bytes/workgroup (compile time only)
; SGPRBlocks: 0
; VGPRBlocks: 1
; NumSGPRsForWavesPerEU: 46
; NumVGPRsForWavesPerEU: 20
; NamedBarCnt: 0
; Occupancy: 16
; WaveLimiterHint : 0
; COMPUTE_PGM_RSRC2:SCRATCH_EN: 0
; COMPUTE_PGM_RSRC2:USER_SGPR: 2
; COMPUTE_PGM_RSRC2:TRAP_HANDLER: 0
; COMPUTE_PGM_RSRC2:TGID_X_EN: 1
; COMPUTE_PGM_RSRC2:TGID_Y_EN: 1
; COMPUTE_PGM_RSRC2:TGID_Z_EN: 0
; COMPUTE_PGM_RSRC2:TIDIG_COMP_CNT: 0
	.section	.text._ZN9rocsolver6v33100L21larft_kernel_backwardIfPfEEv15rocblas_storev_iiT0_iilPT_lS6_il,"axG",@progbits,_ZN9rocsolver6v33100L21larft_kernel_backwardIfPfEEv15rocblas_storev_iiT0_iilPT_lS6_il,comdat
	.globl	_ZN9rocsolver6v33100L21larft_kernel_backwardIfPfEEv15rocblas_storev_iiT0_iilPT_lS6_il ; -- Begin function _ZN9rocsolver6v33100L21larft_kernel_backwardIfPfEEv15rocblas_storev_iiT0_iilPT_lS6_il
	.p2align	8
	.type	_ZN9rocsolver6v33100L21larft_kernel_backwardIfPfEEv15rocblas_storev_iiT0_iilPT_lS6_il,@function
_ZN9rocsolver6v33100L21larft_kernel_backwardIfPfEEv15rocblas_storev_iiT0_iilPT_lS6_il: ; @_ZN9rocsolver6v33100L21larft_kernel_backwardIfPfEEv15rocblas_storev_iiT0_iilPT_lS6_il
; %bb.0:
	s_clause 0x4
	s_load_b32 s2, s[0:1], 0x5c
	s_load_b96 s[16:18], s[0:1], 0x0
	s_load_b64 s[12:13], s[0:1], 0x48
	s_load_b256 s[4:11], s[0:1], 0x20
	s_load_b32 s3, s[0:1], 0x40
	s_bfe_u32 s14, ttmp6, 0x40010
	s_bfe_u32 s15, ttmp6, 0x40004
	s_add_co_i32 s14, s14, 1
	s_getreg_b32 s20, hwreg(HW_REG_IB_STS2, 6, 4)
	s_mul_i32 s14, ttmp7, s14
	v_dual_add_nc_u32 v1, 1, v0 :: v_dual_lshlrev_b32 v2, 2, v0
	s_add_co_i32 s15, s15, s14
	s_wait_kmcnt 0x0
	s_and_b32 s19, s2, 0xffff
	s_cmp_eq_u32 s20, 0
	v_cmp_gt_i32_e64 s2, s18, v0
	s_cselect_b32 s20, ttmp7, s15
	s_delay_alu instid0(SALU_CYCLE_1) | instskip(NEXT) | instid1(SALU_CYCLE_1)
	s_ashr_i32 s21, s20, 31
	s_mul_u64 s[12:13], s[12:13], s[20:21]
	s_delay_alu instid0(SALU_CYCLE_1)
	s_lshl_b64 s[14:15], s[12:13], 2
	s_mov_b32 s12, 0
	s_add_nc_u64 s[10:11], s[10:11], s[14:15]
	s_and_saveexec_b32 s13, s2
	s_cbranch_execz .LBB33_12
; %bb.1:
	s_cmp_lg_u32 s3, 1
	v_dual_add_nc_u32 v3, 1, v0 :: v_dual_mov_b32 v5, v0
	s_cselect_b32 s15, -1, 0
	s_cmp_lg_u32 s18, 1
	s_cselect_b32 s22, -1, 0
	s_lshl_b32 s14, s18, 2
	s_or_b32 s22, s15, s22
	v_add3_u32 v4, 0, s14, v2
	s_lshl_b32 s15, s19, 2
	s_xor_b32 s22, s22, -1
	s_branch .LBB33_3
.LBB33_2:                               ;   in Loop: Header=BB33_3 Depth=1
	s_or_b32 exec_lo, exec_lo, s24
	v_dual_add_nc_u32 v5, s19, v5 :: v_dual_add_nc_u32 v3, s19, v3
	v_add_nc_u32_e32 v4, s15, v4
	s_delay_alu instid0(VALU_DEP_2) | instskip(SKIP_1) | instid1(SALU_CYCLE_1)
	v_cmp_le_i32_e32 vcc_lo, s18, v5
	s_or_b32 s12, vcc_lo, s12
	s_and_not1_b32 exec_lo, exec_lo, s12
	s_cbranch_execz .LBB33_12
.LBB33_3:                               ; =>This Loop Header: Depth=1
                                        ;     Child Loop BB33_6 Depth 2
                                        ;     Child Loop BB33_11 Depth 2
	v_cmp_gt_u32_e64 s23, 6, v3
	v_mov_b32_e32 v6, 0
	s_mov_b32 s24, exec_lo
	v_cmpx_lt_u32_e32 5, v3
	s_cbranch_execz .LBB33_9
; %bb.4:                                ;   in Loop: Header=BB33_3 Depth=1
	v_lshlrev_b32_e32 v6, 1, v5
	s_mov_b32 s26, -1
	s_delay_alu instid0(VALU_DEP_1) | instskip(SKIP_2) | instid1(SALU_CYCLE_1)
	v_cmp_ge_i32_e32 vcc_lo, v6, v5
	v_mov_b32_e32 v6, 0
	s_and_b32 s27, vcc_lo, s22
	s_and_saveexec_b32 s25, s27
	s_cbranch_execz .LBB33_8
; %bb.5:                                ;   in Loop: Header=BB33_3 Depth=1
	v_dual_mov_b32 v7, v4 :: v_dual_bitop2_b32 v6, -4, v3 bitop3:0x40
	s_mov_b32 s26, 0
	s_mov_b32 s27, 0
.LBB33_6:                               ;   Parent Loop BB33_3 Depth=1
                                        ; =>  This Inner Loop Header: Depth=2
	s_delay_alu instid0(SALU_CYCLE_1) | instskip(SKIP_1) | instid1(SALU_CYCLE_1)
	v_add_nc_u32_e32 v8, s27, v5
	s_add_co_i32 s27, s27, 4
	v_cmp_eq_u32_e32 vcc_lo, s27, v6
	s_delay_alu instid0(VALU_DEP_2) | instskip(SKIP_1) | instid1(VALU_DEP_1)
	v_ashrrev_i32_e32 v9, 31, v8
	s_or_b32 s26, vcc_lo, s26
	v_lshl_add_u64 v[8:9], v[8:9], 2, s[10:11]
	global_load_b128 v[8:11], v[8:9], off
	s_wait_loadcnt 0x0
	ds_store_2addr_b32 v7, v8, v9 offset1:1
	ds_store_2addr_b32 v7, v10, v11 offset0:2 offset1:3
	v_add_nc_u32_e32 v7, 16, v7
	s_wait_xcnt 0x0
	s_and_not1_b32 exec_lo, exec_lo, s26
	s_cbranch_execnz .LBB33_6
; %bb.7:                                ;   in Loop: Header=BB33_3 Depth=1
	s_or_b32 exec_lo, exec_lo, s26
	v_cmp_ne_u32_e32 vcc_lo, v3, v6
	s_or_not1_b32 s26, vcc_lo, exec_lo
.LBB33_8:                               ;   in Loop: Header=BB33_3 Depth=1
	s_or_b32 exec_lo, exec_lo, s25
	s_delay_alu instid0(SALU_CYCLE_1) | instskip(SKIP_1) | instid1(SALU_CYCLE_1)
	s_and_not1_b32 s23, s23, exec_lo
	s_and_b32 s25, s26, exec_lo
	s_or_b32 s23, s23, s25
.LBB33_9:                               ;   in Loop: Header=BB33_3 Depth=1
	s_or_b32 exec_lo, exec_lo, s24
	s_and_saveexec_b32 s24, s23
	s_cbranch_execz .LBB33_2
; %bb.10:                               ;   in Loop: Header=BB33_3 Depth=1
	v_mul_lo_u32 v7, s14, v6
	v_mad_u32 v8, s3, v6, v5
	s_mov_b32 s23, 0
.LBB33_11:                              ;   Parent Loop BB33_3 Depth=1
                                        ; =>  This Inner Loop Header: Depth=2
	global_load_b32 v9, v8, s[10:11] scale_offset
	v_dual_add_nc_u32 v6, 1, v6 :: v_dual_add_nc_u32 v10, v4, v7
	s_wait_xcnt 0x0
	v_dual_add_nc_u32 v7, s14, v7 :: v_dual_add_nc_u32 v8, s3, v8
	s_delay_alu instid0(VALU_DEP_2)
	v_cmp_eq_u32_e32 vcc_lo, v3, v6
	s_or_b32 s23, vcc_lo, s23
	s_wait_loadcnt 0x0
	ds_store_b32 v10, v9
	s_and_not1_b32 exec_lo, exec_lo, s23
	s_cbranch_execnz .LBB33_11
	s_branch .LBB33_2
.LBB33_12:
	s_or_b32 exec_lo, exec_lo, s13
	s_cmp_lt_i32 s18, 2
	s_wait_dscnt 0x0
	s_barrier_signal -1
	s_barrier_wait -1
	s_cbranch_scc1 .LBB33_37
; %bb.13:
	s_load_b128 s[12:15], s[0:1], 0x10
	s_wait_xcnt 0x0
	s_mul_u64 s[0:1], s[8:9], s[20:21]
	s_lshl_b32 s30, s18, 2
	s_lshl_b64 s[0:1], s[0:1], 2
	s_add_co_i32 s8, s18, -2
	s_sub_co_i32 s31, s17, s18
	s_add_co_i32 s33, s30, 0
	s_add_nc_u64 s[6:7], s[6:7], s[0:1]
	s_mov_b32 s9, 0
	s_mul_u64 s[20:21], s[4:5], s[20:21]
	v_mov_b32_e32 v3, 0
	s_mov_b32 s5, s9
	s_wait_kmcnt 0x0
	s_ashr_i32 s1, s14, 31
	s_mov_b32 s0, s14
	s_cmp_lg_u32 s16, 0xb5
	v_mul_lo_u32 v10, v0, s15
	s_cselect_b32 s14, -1, 0
	s_add_co_i32 s34, s17, -2
	s_lshl_b64 s[16:17], s[20:21], 2
	s_lshl_b64 s[0:1], s[0:1], 2
	;; [unrolled: 1-line block ×3, first 2 shown]
	s_add_nc_u64 s[0:1], s[16:17], s[0:1]
	s_add_nc_u64 s[16:17], s[12:13], s[20:21]
	s_add_co_i32 s24, s30, 4
	s_add_nc_u64 s[16:17], s[16:17], s[0:1]
	s_mov_b32 s22, s15
	v_add_nc_u64_e32 v[4:5], s[16:17], v[2:3]
	s_ashr_i32 s23, s15, 31
	s_mul_i32 s24, s18, s24
	s_lshl_b64 s[16:17], s[22:23], 2
	s_add_nc_u64 s[22:23], s[0:1], s[20:21]
	s_add_nc_u64 s[20:21], s[12:13], s[0:1]
	s_add_co_i32 s0, s24, 0
	v_add_nc_u64_e32 v[4:5], 4, v[4:5]
	v_add3_u32 v3, s0, v2, -4
	s_add_co_i32 s9, s18, -1
	s_lshl_b32 s4, s19, 2
	s_add_nc_u64 s[12:13], s[12:13], s[22:23]
	s_mul_i32 s22, s15, s9
	s_mul_i32 s9, s15, s19
	;; [unrolled: 1-line block ×3, first 2 shown]
	s_xor_b32 s35, s30, -4
	s_branch .LBB33_15
.LBB33_14:                              ;   in Loop: Header=BB33_15 Depth=1
	s_or_b32 exec_lo, exec_lo, s0
	v_add_nc_u64_e32 v[4:5], -4, v[4:5]
	v_add_nc_u32_e32 v3, s35, v3
	s_add_co_i32 s0, s8, -1
	s_add_co_i32 s34, s34, -1
	s_sub_co_i32 s22, s22, s15
	s_sub_co_i32 s24, s24, s15
	s_add_nc_u64 s[12:13], s[12:13], -4
	s_cmp_lt_i32 s8, 1
	s_mov_b32 s8, s0
	s_wait_dscnt 0x0
	s_barrier_signal -1
	s_barrier_wait -1
	s_cbranch_scc1 .LBB33_37
.LBB33_15:                              ; =>This Loop Header: Depth=1
                                        ;     Child Loop BB33_19 Depth 2
                                        ;       Child Loop BB33_21 Depth 3
                                        ;     Child Loop BB33_28 Depth 2
                                        ;       Child Loop BB33_30 Depth 3
	;; [unrolled: 2-line block ×3, first 2 shown]
	s_not_b32 s0, s8
	s_lshl_b32 s1, s8, 2
	s_add_co_i32 s36, s18, s0
	s_mul_i32 s0, s8, s18
	s_add_co_i32 s37, s33, s1
	s_lshl_b32 s0, s0, 2
	s_add_co_i32 s26, s8, s31
	s_add_co_i32 s37, s37, s0
	v_cmp_gt_i32_e64 s0, s36, v0
	s_and_b32 vcc_lo, exec_lo, s14
	s_mov_b32 s1, -1
	s_cbranch_vccz .LBB33_23
; %bb.16:                               ;   in Loop: Header=BB33_15 Depth=1
	s_and_saveexec_b32 s23, s0
	s_cbranch_execz .LBB33_22
; %bb.17:                               ;   in Loop: Header=BB33_15 Depth=1
	s_load_b32 s25, s[6:7], s8 offset:0x0 scale_offset
	v_mov_b64_e32 v[6:7], v[4:5]
	v_mov_b32_e32 v8, v0
	s_cmp_gt_i32 s26, 0
	s_mov_b32 s28, 0
	s_cselect_b32 s27, -1, 0
	s_branch .LBB33_19
.LBB33_18:                              ;   in Loop: Header=BB33_19 Depth=2
	v_dual_lshlrev_b32 v11, 2, v8 :: v_dual_add_nc_u32 v8, s19, v8
	v_add_nc_u64_e32 v[6:7], s[4:5], v[6:7]
	s_wait_xcnt 0x0
	s_delay_alu instid0(VALU_DEP_2) | instskip(NEXT) | instid1(VALU_DEP_3)
	v_add_nc_u32_e32 v12, s37, v11
	v_cmp_le_i32_e32 vcc_lo, s36, v8
	ds_load_b32 v12, v12 offset:4
	s_or_b32 s28, vcc_lo, s28
	s_wait_dscnt 0x0
	s_wait_kmcnt 0x0
	v_dual_fmac_f32 v12, s25, v9 :: v_dual_add_nc_u32 v9, 0, v11
	ds_store_b32 v9, v12
	s_and_not1_b32 exec_lo, exec_lo, s28
	s_cbranch_execz .LBB33_22
.LBB33_19:                              ;   Parent Loop BB33_15 Depth=1
                                        ; =>  This Loop Header: Depth=2
                                        ;       Child Loop BB33_21 Depth 3
	v_mov_b32_e32 v9, 0
	s_and_not1_b32 vcc_lo, exec_lo, s27
	s_cbranch_vccnz .LBB33_18
; %bb.20:                               ;   in Loop: Header=BB33_19 Depth=2
	s_mov_b32 s29, 0
	s_mov_b64 s[0:1], 0
.LBB33_21:                              ;   Parent Loop BB33_15 Depth=1
                                        ;     Parent Loop BB33_19 Depth=2
                                        ; =>    This Inner Loop Header: Depth=3
	s_wait_xcnt 0x0
	v_add_nc_u64_e32 v[12:13], s[0:1], v[6:7]
	s_add_nc_u64 s[38:39], s[12:13], s[0:1]
	s_add_co_i32 s29, s29, 1
	s_load_b32 s38, s[38:39], 0x0
	s_cmp_eq_u32 s34, s29
	s_add_nc_u64 s[0:1], s[0:1], s[16:17]
	global_load_b32 v11, v[12:13], off
	s_wait_loadcnt 0x0
	s_wait_kmcnt 0x0
	v_fmac_f32_e32 v9, s38, v11
	s_cbranch_scc0 .LBB33_21
	s_branch .LBB33_18
.LBB33_22:                              ;   in Loop: Header=BB33_15 Depth=1
	s_or_b32 exec_lo, exec_lo, s23
	s_mov_b32 s1, 0
.LBB33_23:                              ;   in Loop: Header=BB33_15 Depth=1
	s_delay_alu instid0(SALU_CYCLE_1)
	s_and_not1_b32 vcc_lo, exec_lo, s1
	s_cbranch_vccnz .LBB33_32
; %bb.24:                               ;   in Loop: Header=BB33_15 Depth=1
	s_mov_b32 s38, exec_lo
	v_cmpx_gt_i32_e64 s36, v0
	s_cbranch_execz .LBB33_31
; %bb.25:                               ;   in Loop: Header=BB33_15 Depth=1
	s_load_b32 s39, s[6:7], s8 offset:0x0 scale_offset
	s_ashr_i32 s23, s22, 31
	s_ashr_i32 s25, s24, 31
	s_lshl_b64 s[28:29], s[22:23], 2
	s_lshl_b64 s[0:1], s[24:25], 2
	v_dual_mov_b32 v6, v10 :: v_dual_mov_b32 v11, v0
	s_cmp_gt_i32 s26, 0
	s_add_nc_u64 s[0:1], s[20:21], s[0:1]
	s_cselect_b32 s23, -1, 0
	s_mov_b32 s25, 0
	s_add_nc_u64 s[26:27], s[20:21], s[28:29]
	s_branch .LBB33_28
.LBB33_26:                              ;   in Loop: Header=BB33_28 Depth=2
	v_mov_b32_e32 v7, 0
.LBB33_27:                              ;   in Loop: Header=BB33_28 Depth=2
	v_dual_lshlrev_b32 v8, 2, v11 :: v_dual_add_nc_u32 v11, s19, v11
	s_delay_alu instid0(VALU_DEP_1) | instskip(NEXT) | instid1(VALU_DEP_2)
	v_dual_add_nc_u32 v6, s9, v6 :: v_dual_add_nc_u32 v9, s37, v8
	v_cmp_le_i32_e32 vcc_lo, s36, v11
	ds_load_b32 v9, v9 offset:4
	s_or_b32 s25, vcc_lo, s25
	s_wait_dscnt 0x0
	s_wait_kmcnt 0x0
	v_dual_fmac_f32 v9, s39, v7 :: v_dual_add_nc_u32 v7, 0, v8
	ds_store_b32 v7, v9
	s_and_not1_b32 exec_lo, exec_lo, s25
	s_cbranch_execz .LBB33_31
.LBB33_28:                              ;   Parent Loop BB33_15 Depth=1
                                        ; =>  This Loop Header: Depth=2
                                        ;       Child Loop BB33_30 Depth 3
	s_and_not1_b32 vcc_lo, exec_lo, s23
	s_cbranch_vccnz .LBB33_26
; %bb.29:                               ;   in Loop: Header=BB33_28 Depth=2
	v_ashrrev_i32_e32 v7, 31, v6
	s_mov_b32 s40, 0
	s_mov_b64 s[28:29], s[0:1]
	s_delay_alu instid0(VALU_DEP_1)
	v_lshl_add_u64 v[8:9], v[6:7], 2, s[26:27]
	v_mov_b32_e32 v7, 0
.LBB33_30:                              ;   Parent Loop BB33_15 Depth=1
                                        ;     Parent Loop BB33_28 Depth=2
                                        ; =>    This Inner Loop Header: Depth=3
	global_load_b32 v12, v[8:9], off
	s_load_b32 s41, s[28:29], 0x0
	v_add_nc_u64_e32 v[8:9], 4, v[8:9]
	s_add_co_i32 s40, s40, 1
	s_wait_xcnt 0x0
	s_add_nc_u64 s[28:29], s[28:29], 4
	s_cmp_eq_u32 s34, s40
	s_wait_loadcnt 0x0
	s_wait_kmcnt 0x0
	v_fmac_f32_e32 v7, s41, v12
	s_cbranch_scc0 .LBB33_30
	s_branch .LBB33_27
.LBB33_31:                              ;   in Loop: Header=BB33_15 Depth=1
	s_or_b32 exec_lo, exec_lo, s38
.LBB33_32:                              ;   in Loop: Header=BB33_15 Depth=1
	s_delay_alu instid0(SALU_CYCLE_1)
	s_mov_b32 s0, exec_lo
	s_wait_dscnt 0x0
	s_barrier_signal -1
	s_barrier_wait -1
	v_cmpx_gt_i32_e64 s36, v0
	s_cbranch_execz .LBB33_14
; %bb.33:                               ;   in Loop: Header=BB33_15 Depth=1
	v_dual_mov_b32 v6, v3 :: v_dual_mov_b32 v7, v0
	s_mov_b32 s1, 0
.LBB33_34:                              ;   Parent Loop BB33_15 Depth=1
                                        ; =>  This Loop Header: Depth=2
                                        ;       Child Loop BB33_35 Depth 3
	s_delay_alu instid0(VALU_DEP_1)
	v_dual_mov_b32 v8, 0 :: v_dual_mov_b32 v9, v6
	s_mov_b32 s25, -1
	s_mov_b32 s23, 0
	s_mov_b32 s26, 0
.LBB33_35:                              ;   Parent Loop BB33_15 Depth=1
                                        ;     Parent Loop BB33_34 Depth=2
                                        ; =>    This Inner Loop Header: Depth=3
	s_delay_alu instid0(SALU_CYCLE_1)
	v_mov_b32_e32 v11, s26
	s_add_co_i32 s25, s25, 1
	s_add_co_i32 s26, s26, 4
	v_cmp_eq_u32_e32 vcc_lo, s25, v7
	ds_load_b32 v12, v9
	ds_load_b32 v11, v11
	v_add_nc_u32_e32 v9, s30, v9
	s_or_b32 s23, vcc_lo, s23
	s_wait_dscnt 0x0
	v_fmac_f32_e32 v8, v12, v11
	s_and_not1_b32 exec_lo, exec_lo, s23
	s_cbranch_execnz .LBB33_35
; %bb.36:                               ;   in Loop: Header=BB33_34 Depth=2
	s_or_b32 exec_lo, exec_lo, s23
	v_lshl_add_u32 v9, v7, 2, s37
	v_dual_add_nc_u32 v7, s19, v7 :: v_dual_add_nc_u32 v6, s4, v6
	ds_store_b32 v9, v8 offset:4
	v_cmp_le_i32_e32 vcc_lo, s36, v7
	s_or_b32 s1, vcc_lo, s1
	s_delay_alu instid0(SALU_CYCLE_1)
	s_and_not1_b32 exec_lo, exec_lo, s1
	s_cbranch_execnz .LBB33_34
	s_branch .LBB33_14
.LBB33_37:
	s_and_saveexec_b32 s0, s2
	s_cbranch_execz .LBB33_49
; %bb.38:
	s_cmp_lg_u32 s18, 1
	s_cselect_b32 s1, -1, 0
	s_cmp_lg_u32 s3, 1
	s_cselect_b32 s2, -1, 0
	s_lshl_b32 s0, s18, 2
	s_or_b32 s4, s1, s2
	v_add3_u32 v2, 0, s0, v2
	s_mov_b32 s1, 0
	s_lshl_b32 s2, s19, 2
	s_xor_b32 s4, s4, -1
	s_branch .LBB33_40
.LBB33_39:                              ;   in Loop: Header=BB33_40 Depth=1
	s_or_b32 exec_lo, exec_lo, s6
	v_dual_add_nc_u32 v0, s19, v0 :: v_dual_add_nc_u32 v1, s19, v1
	v_add_nc_u32_e32 v2, s2, v2
	s_delay_alu instid0(VALU_DEP_2) | instskip(SKIP_1) | instid1(SALU_CYCLE_1)
	v_cmp_le_i32_e32 vcc_lo, s18, v0
	s_or_b32 s1, vcc_lo, s1
	s_and_not1_b32 exec_lo, exec_lo, s1
	s_cbranch_execz .LBB33_49
.LBB33_40:                              ; =>This Loop Header: Depth=1
                                        ;     Child Loop BB33_43 Depth 2
                                        ;     Child Loop BB33_48 Depth 2
	v_cmp_gt_u32_e64 s5, 6, v1
	v_mov_b32_e32 v3, 0
	s_mov_b32 s6, exec_lo
	v_cmpx_lt_u32_e32 5, v1
	s_cbranch_execz .LBB33_46
; %bb.41:                               ;   in Loop: Header=BB33_40 Depth=1
	v_lshlrev_b32_e32 v3, 1, v0
	s_mov_b32 s8, -1
	s_delay_alu instid0(VALU_DEP_1) | instskip(SKIP_2) | instid1(SALU_CYCLE_1)
	v_cmp_ge_i32_e32 vcc_lo, v3, v0
	v_mov_b32_e32 v3, 0
	s_and_b32 s9, s4, vcc_lo
	s_and_saveexec_b32 s7, s9
	s_cbranch_execz .LBB33_45
; %bb.42:                               ;   in Loop: Header=BB33_40 Depth=1
	v_dual_mov_b32 v4, v2 :: v_dual_bitop2_b32 v3, -4, v1 bitop3:0x40
	s_mov_b32 s8, 0
	s_mov_b32 s9, 0
.LBB33_43:                              ;   Parent Loop BB33_40 Depth=1
                                        ; =>  This Inner Loop Header: Depth=2
	ds_load_2addr_b32 v[6:7], v4 offset1:1
	ds_load_2addr_b32 v[8:9], v4 offset0:2 offset1:3
	v_add_nc_u32_e32 v10, s9, v0
	s_add_co_i32 s9, s9, 4
	v_add_nc_u32_e32 v4, 16, v4
	v_cmp_eq_u32_e32 vcc_lo, s9, v3
	s_delay_alu instid0(VALU_DEP_3) | instskip(SKIP_1) | instid1(VALU_DEP_1)
	v_ashrrev_i32_e32 v11, 31, v10
	s_or_b32 s8, vcc_lo, s8
	v_lshl_add_u64 v[10:11], v[10:11], 2, s[10:11]
	s_wait_dscnt 0x0
	global_store_b128 v[10:11], v[6:9], off
	s_wait_xcnt 0x0
	s_and_not1_b32 exec_lo, exec_lo, s8
	s_cbranch_execnz .LBB33_43
; %bb.44:                               ;   in Loop: Header=BB33_40 Depth=1
	s_or_b32 exec_lo, exec_lo, s8
	v_cmp_ne_u32_e32 vcc_lo, v1, v3
	s_or_not1_b32 s8, vcc_lo, exec_lo
.LBB33_45:                              ;   in Loop: Header=BB33_40 Depth=1
	s_or_b32 exec_lo, exec_lo, s7
	s_delay_alu instid0(SALU_CYCLE_1) | instskip(SKIP_1) | instid1(SALU_CYCLE_1)
	s_and_not1_b32 s5, s5, exec_lo
	s_and_b32 s7, s8, exec_lo
	s_or_b32 s5, s5, s7
.LBB33_46:                              ;   in Loop: Header=BB33_40 Depth=1
	s_or_b32 exec_lo, exec_lo, s6
	s_and_saveexec_b32 s6, s5
	s_cbranch_execz .LBB33_39
; %bb.47:                               ;   in Loop: Header=BB33_40 Depth=1
	v_mad_u32 v4, s3, v3, v0
	v_mul_lo_u32 v5, s0, v3
	s_mov_b32 s5, 0
.LBB33_48:                              ;   Parent Loop BB33_40 Depth=1
                                        ; =>  This Inner Loop Header: Depth=2
	s_delay_alu instid0(VALU_DEP_1)
	v_dual_add_nc_u32 v6, v2, v5 :: v_dual_add_nc_u32 v3, 1, v3
	v_add_nc_u32_e32 v5, s0, v5
	ds_load_b32 v6, v6
	v_cmp_eq_u32_e32 vcc_lo, v1, v3
	s_or_b32 s5, vcc_lo, s5
	s_wait_dscnt 0x0
	global_store_b32 v4, v6, s[10:11] scale_offset
	s_wait_xcnt 0x0
	v_add_nc_u32_e32 v4, s3, v4
	s_and_not1_b32 exec_lo, exec_lo, s5
	s_cbranch_execnz .LBB33_48
	s_branch .LBB33_39
.LBB33_49:
	s_endpgm
	.section	.rodata,"a",@progbits
	.p2align	6, 0x0
	.amdhsa_kernel _ZN9rocsolver6v33100L21larft_kernel_backwardIfPfEEv15rocblas_storev_iiT0_iilPT_lS6_il
		.amdhsa_group_segment_fixed_size 0
		.amdhsa_private_segment_fixed_size 0
		.amdhsa_kernarg_size 336
		.amdhsa_user_sgpr_count 2
		.amdhsa_user_sgpr_dispatch_ptr 0
		.amdhsa_user_sgpr_queue_ptr 0
		.amdhsa_user_sgpr_kernarg_segment_ptr 1
		.amdhsa_user_sgpr_dispatch_id 0
		.amdhsa_user_sgpr_kernarg_preload_length 0
		.amdhsa_user_sgpr_kernarg_preload_offset 0
		.amdhsa_user_sgpr_private_segment_size 0
		.amdhsa_wavefront_size32 1
		.amdhsa_uses_dynamic_stack 0
		.amdhsa_enable_private_segment 0
		.amdhsa_system_sgpr_workgroup_id_x 1
		.amdhsa_system_sgpr_workgroup_id_y 1
		.amdhsa_system_sgpr_workgroup_id_z 0
		.amdhsa_system_sgpr_workgroup_info 0
		.amdhsa_system_vgpr_workitem_id 0
		.amdhsa_next_free_vgpr 14
		.amdhsa_next_free_sgpr 42
		.amdhsa_named_barrier_count 0
		.amdhsa_reserve_vcc 1
		.amdhsa_float_round_mode_32 0
		.amdhsa_float_round_mode_16_64 0
		.amdhsa_float_denorm_mode_32 3
		.amdhsa_float_denorm_mode_16_64 3
		.amdhsa_fp16_overflow 0
		.amdhsa_memory_ordered 1
		.amdhsa_forward_progress 1
		.amdhsa_inst_pref_size 16
		.amdhsa_round_robin_scheduling 0
		.amdhsa_exception_fp_ieee_invalid_op 0
		.amdhsa_exception_fp_denorm_src 0
		.amdhsa_exception_fp_ieee_div_zero 0
		.amdhsa_exception_fp_ieee_overflow 0
		.amdhsa_exception_fp_ieee_underflow 0
		.amdhsa_exception_fp_ieee_inexact 0
		.amdhsa_exception_int_div_zero 0
	.end_amdhsa_kernel
	.section	.text._ZN9rocsolver6v33100L21larft_kernel_backwardIfPfEEv15rocblas_storev_iiT0_iilPT_lS6_il,"axG",@progbits,_ZN9rocsolver6v33100L21larft_kernel_backwardIfPfEEv15rocblas_storev_iiT0_iilPT_lS6_il,comdat
.Lfunc_end33:
	.size	_ZN9rocsolver6v33100L21larft_kernel_backwardIfPfEEv15rocblas_storev_iiT0_iilPT_lS6_il, .Lfunc_end33-_ZN9rocsolver6v33100L21larft_kernel_backwardIfPfEEv15rocblas_storev_iiT0_iilPT_lS6_il
                                        ; -- End function
	.set _ZN9rocsolver6v33100L21larft_kernel_backwardIfPfEEv15rocblas_storev_iiT0_iilPT_lS6_il.num_vgpr, 14
	.set _ZN9rocsolver6v33100L21larft_kernel_backwardIfPfEEv15rocblas_storev_iiT0_iilPT_lS6_il.num_agpr, 0
	.set _ZN9rocsolver6v33100L21larft_kernel_backwardIfPfEEv15rocblas_storev_iiT0_iilPT_lS6_il.numbered_sgpr, 42
	.set _ZN9rocsolver6v33100L21larft_kernel_backwardIfPfEEv15rocblas_storev_iiT0_iilPT_lS6_il.num_named_barrier, 0
	.set _ZN9rocsolver6v33100L21larft_kernel_backwardIfPfEEv15rocblas_storev_iiT0_iilPT_lS6_il.private_seg_size, 0
	.set _ZN9rocsolver6v33100L21larft_kernel_backwardIfPfEEv15rocblas_storev_iiT0_iilPT_lS6_il.uses_vcc, 1
	.set _ZN9rocsolver6v33100L21larft_kernel_backwardIfPfEEv15rocblas_storev_iiT0_iilPT_lS6_il.uses_flat_scratch, 0
	.set _ZN9rocsolver6v33100L21larft_kernel_backwardIfPfEEv15rocblas_storev_iiT0_iilPT_lS6_il.has_dyn_sized_stack, 0
	.set _ZN9rocsolver6v33100L21larft_kernel_backwardIfPfEEv15rocblas_storev_iiT0_iilPT_lS6_il.has_recursion, 0
	.set _ZN9rocsolver6v33100L21larft_kernel_backwardIfPfEEv15rocblas_storev_iiT0_iilPT_lS6_il.has_indirect_call, 0
	.section	.AMDGPU.csdata,"",@progbits
; Kernel info:
; codeLenInByte = 1928
; TotalNumSgprs: 44
; NumVgprs: 14
; ScratchSize: 0
; MemoryBound: 0
; FloatMode: 240
; IeeeMode: 1
; LDSByteSize: 0 bytes/workgroup (compile time only)
; SGPRBlocks: 0
; VGPRBlocks: 0
; NumSGPRsForWavesPerEU: 44
; NumVGPRsForWavesPerEU: 14
; NamedBarCnt: 0
; Occupancy: 16
; WaveLimiterHint : 0
; COMPUTE_PGM_RSRC2:SCRATCH_EN: 0
; COMPUTE_PGM_RSRC2:USER_SGPR: 2
; COMPUTE_PGM_RSRC2:TRAP_HANDLER: 0
; COMPUTE_PGM_RSRC2:TGID_X_EN: 1
; COMPUTE_PGM_RSRC2:TGID_Y_EN: 1
; COMPUTE_PGM_RSRC2:TGID_Z_EN: 0
; COMPUTE_PGM_RSRC2:TIDIG_COMP_CNT: 0
	.section	.text._ZN9rocsolver6v33100L9copymatA1IfPfEEviiT0_iilPT_,"axG",@progbits,_ZN9rocsolver6v33100L9copymatA1IfPfEEviiT0_iilPT_,comdat
	.globl	_ZN9rocsolver6v33100L9copymatA1IfPfEEviiT0_iilPT_ ; -- Begin function _ZN9rocsolver6v33100L9copymatA1IfPfEEviiT0_iilPT_
	.p2align	8
	.type	_ZN9rocsolver6v33100L9copymatA1IfPfEEviiT0_iilPT_,@function
_ZN9rocsolver6v33100L9copymatA1IfPfEEviiT0_iilPT_: ; @_ZN9rocsolver6v33100L9copymatA1IfPfEEviiT0_iilPT_
; %bb.0:
	s_clause 0x1
	s_load_b32 s2, s[0:1], 0x34
	s_load_b64 s[12:13], s[0:1], 0x0
	s_bfe_u32 s4, ttmp6, 0x40010
	s_bfe_u32 s7, ttmp6, 0x4000c
	s_and_b32 s3, ttmp7, 0xffff
	s_add_co_i32 s4, s4, 1
	s_add_co_i32 s7, s7, 1
	s_bfe_u32 s5, ttmp6, 0x40004
	s_and_b32 s6, ttmp6, 15
	s_mul_i32 s4, s3, s4
	s_mul_i32 s7, ttmp9, s7
	s_getreg_b32 s14, hwreg(HW_REG_IB_STS2, 6, 4)
	v_and_b32_e32 v1, 0x3ff, v0
	v_bfe_u32 v0, v0, 10, 10
	s_add_co_i32 s5, s5, s4
	s_add_co_i32 s6, s6, s7
	s_wait_kmcnt 0x0
	s_lshr_b32 s4, s2, 16
	s_and_b32 s2, s2, 0xffff
	s_cmp_eq_u32 s14, 0
	s_cselect_b32 s3, s3, s5
	s_cselect_b32 s5, ttmp9, s6
	v_mad_u32 v0, s3, s4, v0
	v_mad_u32 v1, s5, s2, v1
	s_mov_b32 s3, 0
	s_delay_alu instid0(VALU_DEP_2) | instskip(NEXT) | instid1(VALU_DEP_2)
	v_cmp_gt_u32_e32 vcc_lo, s12, v0
	v_cmp_gt_u32_e64 s2, s13, v1
	s_and_b32 s2, s2, vcc_lo
	s_delay_alu instid0(SALU_CYCLE_1)
	s_and_saveexec_b32 s4, s2
	s_cbranch_execz .LBB34_2
; %bb.1:
	s_load_b256 s[4:11], s[0:1], 0x8
	s_wait_xcnt 0x0
	s_bfe_u32 s0, ttmp6, 0x40014
	s_lshr_b32 s2, ttmp7, 16
	s_add_co_i32 s0, s0, 1
	s_bfe_u32 s16, ttmp6, 0x40008
	s_mul_i32 s0, s2, s0
	s_ashr_i32 s1, s12, 31
	s_ashr_i32 s15, s13, 31
	s_add_co_i32 s16, s16, s0
	s_cmp_eq_u32 s14, 0
	s_mov_b32 s0, s12
	s_cselect_b32 s2, s2, s16
	s_mov_b32 s14, s13
	s_mul_u64 s[0:1], s[0:1], s[2:3]
	s_delay_alu instid0(SALU_CYCLE_1) | instskip(NEXT) | instid1(SALU_CYCLE_1)
	s_mul_u64 s[0:1], s[0:1], s[14:15]
	s_lshl_b64 s[0:1], s[0:1], 2
	s_wait_kmcnt 0x0
	v_mad_u32 v2, v1, s7, v0
	s_mul_u64 s[8:9], s[8:9], s[2:3]
	s_ashr_i32 s7, s6, 31
	s_lshl_b64 s[8:9], s[8:9], 2
	s_lshl_b64 s[6:7], s[6:7], 2
	s_add_nc_u64 s[4:5], s[4:5], s[8:9]
	v_mad_u32 v0, v1, s12, v0
	s_add_nc_u64 s[4:5], s[4:5], s[6:7]
	s_add_nc_u64 s[0:1], s[10:11], s[0:1]
	global_load_b32 v2, v2, s[4:5] scale_offset
	s_wait_loadcnt 0x0
	global_store_b32 v0, v2, s[0:1] scale_offset
.LBB34_2:
	s_endpgm
	.section	.rodata,"a",@progbits
	.p2align	6, 0x0
	.amdhsa_kernel _ZN9rocsolver6v33100L9copymatA1IfPfEEviiT0_iilPT_
		.amdhsa_group_segment_fixed_size 0
		.amdhsa_private_segment_fixed_size 0
		.amdhsa_kernarg_size 296
		.amdhsa_user_sgpr_count 2
		.amdhsa_user_sgpr_dispatch_ptr 0
		.amdhsa_user_sgpr_queue_ptr 0
		.amdhsa_user_sgpr_kernarg_segment_ptr 1
		.amdhsa_user_sgpr_dispatch_id 0
		.amdhsa_user_sgpr_kernarg_preload_length 0
		.amdhsa_user_sgpr_kernarg_preload_offset 0
		.amdhsa_user_sgpr_private_segment_size 0
		.amdhsa_wavefront_size32 1
		.amdhsa_uses_dynamic_stack 0
		.amdhsa_enable_private_segment 0
		.amdhsa_system_sgpr_workgroup_id_x 1
		.amdhsa_system_sgpr_workgroup_id_y 1
		.amdhsa_system_sgpr_workgroup_id_z 1
		.amdhsa_system_sgpr_workgroup_info 0
		.amdhsa_system_vgpr_workitem_id 1
		.amdhsa_next_free_vgpr 3
		.amdhsa_next_free_sgpr 17
		.amdhsa_named_barrier_count 0
		.amdhsa_reserve_vcc 1
		.amdhsa_float_round_mode_32 0
		.amdhsa_float_round_mode_16_64 0
		.amdhsa_float_denorm_mode_32 3
		.amdhsa_float_denorm_mode_16_64 3
		.amdhsa_fp16_overflow 0
		.amdhsa_memory_ordered 1
		.amdhsa_forward_progress 1
		.amdhsa_inst_pref_size 3
		.amdhsa_round_robin_scheduling 0
		.amdhsa_exception_fp_ieee_invalid_op 0
		.amdhsa_exception_fp_denorm_src 0
		.amdhsa_exception_fp_ieee_div_zero 0
		.amdhsa_exception_fp_ieee_overflow 0
		.amdhsa_exception_fp_ieee_underflow 0
		.amdhsa_exception_fp_ieee_inexact 0
		.amdhsa_exception_int_div_zero 0
	.end_amdhsa_kernel
	.section	.text._ZN9rocsolver6v33100L9copymatA1IfPfEEviiT0_iilPT_,"axG",@progbits,_ZN9rocsolver6v33100L9copymatA1IfPfEEviiT0_iilPT_,comdat
.Lfunc_end34:
	.size	_ZN9rocsolver6v33100L9copymatA1IfPfEEviiT0_iilPT_, .Lfunc_end34-_ZN9rocsolver6v33100L9copymatA1IfPfEEviiT0_iilPT_
                                        ; -- End function
	.set _ZN9rocsolver6v33100L9copymatA1IfPfEEviiT0_iilPT_.num_vgpr, 3
	.set _ZN9rocsolver6v33100L9copymatA1IfPfEEviiT0_iilPT_.num_agpr, 0
	.set _ZN9rocsolver6v33100L9copymatA1IfPfEEviiT0_iilPT_.numbered_sgpr, 17
	.set _ZN9rocsolver6v33100L9copymatA1IfPfEEviiT0_iilPT_.num_named_barrier, 0
	.set _ZN9rocsolver6v33100L9copymatA1IfPfEEviiT0_iilPT_.private_seg_size, 0
	.set _ZN9rocsolver6v33100L9copymatA1IfPfEEviiT0_iilPT_.uses_vcc, 1
	.set _ZN9rocsolver6v33100L9copymatA1IfPfEEviiT0_iilPT_.uses_flat_scratch, 0
	.set _ZN9rocsolver6v33100L9copymatA1IfPfEEviiT0_iilPT_.has_dyn_sized_stack, 0
	.set _ZN9rocsolver6v33100L9copymatA1IfPfEEviiT0_iilPT_.has_recursion, 0
	.set _ZN9rocsolver6v33100L9copymatA1IfPfEEviiT0_iilPT_.has_indirect_call, 0
	.section	.AMDGPU.csdata,"",@progbits
; Kernel info:
; codeLenInByte = 344
; TotalNumSgprs: 19
; NumVgprs: 3
; ScratchSize: 0
; MemoryBound: 0
; FloatMode: 240
; IeeeMode: 1
; LDSByteSize: 0 bytes/workgroup (compile time only)
; SGPRBlocks: 0
; VGPRBlocks: 0
; NumSGPRsForWavesPerEU: 19
; NumVGPRsForWavesPerEU: 3
; NamedBarCnt: 0
; Occupancy: 16
; WaveLimiterHint : 0
; COMPUTE_PGM_RSRC2:SCRATCH_EN: 0
; COMPUTE_PGM_RSRC2:USER_SGPR: 2
; COMPUTE_PGM_RSRC2:TRAP_HANDLER: 0
; COMPUTE_PGM_RSRC2:TGID_X_EN: 1
; COMPUTE_PGM_RSRC2:TGID_Y_EN: 1
; COMPUTE_PGM_RSRC2:TGID_Z_EN: 1
; COMPUTE_PGM_RSRC2:TIDIG_COMP_CNT: 1
	.section	.text._ZN9rocsolver6v33100L8addmatA1IfPfEEviiT0_iilPT_,"axG",@progbits,_ZN9rocsolver6v33100L8addmatA1IfPfEEviiT0_iilPT_,comdat
	.globl	_ZN9rocsolver6v33100L8addmatA1IfPfEEviiT0_iilPT_ ; -- Begin function _ZN9rocsolver6v33100L8addmatA1IfPfEEviiT0_iilPT_
	.p2align	8
	.type	_ZN9rocsolver6v33100L8addmatA1IfPfEEviiT0_iilPT_,@function
_ZN9rocsolver6v33100L8addmatA1IfPfEEviiT0_iilPT_: ; @_ZN9rocsolver6v33100L8addmatA1IfPfEEviiT0_iilPT_
; %bb.0:
	s_clause 0x1
	s_load_b32 s2, s[0:1], 0x34
	s_load_b64 s[12:13], s[0:1], 0x0
	s_bfe_u32 s4, ttmp6, 0x40010
	s_bfe_u32 s7, ttmp6, 0x4000c
	s_and_b32 s3, ttmp7, 0xffff
	s_add_co_i32 s4, s4, 1
	s_add_co_i32 s7, s7, 1
	s_bfe_u32 s5, ttmp6, 0x40004
	s_and_b32 s6, ttmp6, 15
	s_mul_i32 s4, s3, s4
	s_mul_i32 s7, ttmp9, s7
	s_getreg_b32 s14, hwreg(HW_REG_IB_STS2, 6, 4)
	v_and_b32_e32 v1, 0x3ff, v0
	v_bfe_u32 v0, v0, 10, 10
	s_add_co_i32 s5, s5, s4
	s_add_co_i32 s6, s6, s7
	s_wait_kmcnt 0x0
	s_lshr_b32 s4, s2, 16
	s_and_b32 s2, s2, 0xffff
	s_cmp_eq_u32 s14, 0
	s_cselect_b32 s3, s3, s5
	s_cselect_b32 s5, ttmp9, s6
	v_mad_u32 v0, s3, s4, v0
	v_mad_u32 v1, s5, s2, v1
	s_mov_b32 s3, 0
	s_delay_alu instid0(VALU_DEP_2) | instskip(NEXT) | instid1(VALU_DEP_2)
	v_cmp_gt_u32_e32 vcc_lo, s12, v0
	v_cmp_gt_u32_e64 s2, s13, v1
	s_and_b32 s2, s2, vcc_lo
	s_delay_alu instid0(SALU_CYCLE_1)
	s_and_saveexec_b32 s4, s2
	s_cbranch_execz .LBB35_2
; %bb.1:
	s_load_b256 s[4:11], s[0:1], 0x8
	s_wait_xcnt 0x0
	s_bfe_u32 s0, ttmp6, 0x40014
	s_lshr_b32 s2, ttmp7, 16
	s_add_co_i32 s0, s0, 1
	s_bfe_u32 s16, ttmp6, 0x40008
	s_mul_i32 s0, s2, s0
	s_ashr_i32 s1, s12, 31
	s_ashr_i32 s15, s13, 31
	s_add_co_i32 s16, s16, s0
	s_cmp_eq_u32 s14, 0
	v_mad_u32 v2, v1, s12, v0
	s_mov_b32 s0, s12
	s_cselect_b32 s2, s2, s16
	s_mov_b32 s14, s13
	s_mul_u64 s[0:1], s[0:1], s[2:3]
	s_delay_alu instid0(SALU_CYCLE_1) | instskip(NEXT) | instid1(SALU_CYCLE_1)
	s_mul_u64 s[0:1], s[0:1], s[14:15]
	s_lshl_b64 s[0:1], s[0:1], 2
	s_wait_kmcnt 0x0
	v_mad_u32 v0, v1, s7, v0
	s_mul_u64 s[2:3], s[8:9], s[2:3]
	s_ashr_i32 s7, s6, 31
	s_lshl_b64 s[2:3], s[2:3], 2
	s_add_nc_u64 s[0:1], s[10:11], s[0:1]
	s_add_nc_u64 s[2:3], s[4:5], s[2:3]
	s_lshl_b64 s[4:5], s[6:7], 2
	s_delay_alu instid0(SALU_CYCLE_1)
	s_add_nc_u64 s[2:3], s[2:3], s[4:5]
	global_load_b32 v1, v2, s[0:1] scale_offset
	global_load_b32 v3, v0, s[2:3] scale_offset
	s_wait_loadcnt 0x0
	v_sub_f32_e32 v1, v3, v1
	global_store_b32 v0, v1, s[2:3] scale_offset
.LBB35_2:
	s_endpgm
	.section	.rodata,"a",@progbits
	.p2align	6, 0x0
	.amdhsa_kernel _ZN9rocsolver6v33100L8addmatA1IfPfEEviiT0_iilPT_
		.amdhsa_group_segment_fixed_size 0
		.amdhsa_private_segment_fixed_size 0
		.amdhsa_kernarg_size 296
		.amdhsa_user_sgpr_count 2
		.amdhsa_user_sgpr_dispatch_ptr 0
		.amdhsa_user_sgpr_queue_ptr 0
		.amdhsa_user_sgpr_kernarg_segment_ptr 1
		.amdhsa_user_sgpr_dispatch_id 0
		.amdhsa_user_sgpr_kernarg_preload_length 0
		.amdhsa_user_sgpr_kernarg_preload_offset 0
		.amdhsa_user_sgpr_private_segment_size 0
		.amdhsa_wavefront_size32 1
		.amdhsa_uses_dynamic_stack 0
		.amdhsa_enable_private_segment 0
		.amdhsa_system_sgpr_workgroup_id_x 1
		.amdhsa_system_sgpr_workgroup_id_y 1
		.amdhsa_system_sgpr_workgroup_id_z 1
		.amdhsa_system_sgpr_workgroup_info 0
		.amdhsa_system_vgpr_workitem_id 1
		.amdhsa_next_free_vgpr 4
		.amdhsa_next_free_sgpr 17
		.amdhsa_named_barrier_count 0
		.amdhsa_reserve_vcc 1
		.amdhsa_float_round_mode_32 0
		.amdhsa_float_round_mode_16_64 0
		.amdhsa_float_denorm_mode_32 3
		.amdhsa_float_denorm_mode_16_64 3
		.amdhsa_fp16_overflow 0
		.amdhsa_memory_ordered 1
		.amdhsa_forward_progress 1
		.amdhsa_inst_pref_size 3
		.amdhsa_round_robin_scheduling 0
		.amdhsa_exception_fp_ieee_invalid_op 0
		.amdhsa_exception_fp_denorm_src 0
		.amdhsa_exception_fp_ieee_div_zero 0
		.amdhsa_exception_fp_ieee_overflow 0
		.amdhsa_exception_fp_ieee_underflow 0
		.amdhsa_exception_fp_ieee_inexact 0
		.amdhsa_exception_int_div_zero 0
	.end_amdhsa_kernel
	.section	.text._ZN9rocsolver6v33100L8addmatA1IfPfEEviiT0_iilPT_,"axG",@progbits,_ZN9rocsolver6v33100L8addmatA1IfPfEEviiT0_iilPT_,comdat
.Lfunc_end35:
	.size	_ZN9rocsolver6v33100L8addmatA1IfPfEEviiT0_iilPT_, .Lfunc_end35-_ZN9rocsolver6v33100L8addmatA1IfPfEEviiT0_iilPT_
                                        ; -- End function
	.set _ZN9rocsolver6v33100L8addmatA1IfPfEEviiT0_iilPT_.num_vgpr, 4
	.set _ZN9rocsolver6v33100L8addmatA1IfPfEEviiT0_iilPT_.num_agpr, 0
	.set _ZN9rocsolver6v33100L8addmatA1IfPfEEviiT0_iilPT_.numbered_sgpr, 17
	.set _ZN9rocsolver6v33100L8addmatA1IfPfEEviiT0_iilPT_.num_named_barrier, 0
	.set _ZN9rocsolver6v33100L8addmatA1IfPfEEviiT0_iilPT_.private_seg_size, 0
	.set _ZN9rocsolver6v33100L8addmatA1IfPfEEviiT0_iilPT_.uses_vcc, 1
	.set _ZN9rocsolver6v33100L8addmatA1IfPfEEviiT0_iilPT_.uses_flat_scratch, 0
	.set _ZN9rocsolver6v33100L8addmatA1IfPfEEviiT0_iilPT_.has_dyn_sized_stack, 0
	.set _ZN9rocsolver6v33100L8addmatA1IfPfEEviiT0_iilPT_.has_recursion, 0
	.set _ZN9rocsolver6v33100L8addmatA1IfPfEEviiT0_iilPT_.has_indirect_call, 0
	.section	.AMDGPU.csdata,"",@progbits
; Kernel info:
; codeLenInByte = 364
; TotalNumSgprs: 19
; NumVgprs: 4
; ScratchSize: 0
; MemoryBound: 0
; FloatMode: 240
; IeeeMode: 1
; LDSByteSize: 0 bytes/workgroup (compile time only)
; SGPRBlocks: 0
; VGPRBlocks: 0
; NumSGPRsForWavesPerEU: 19
; NumVGPRsForWavesPerEU: 4
; NamedBarCnt: 0
; Occupancy: 16
; WaveLimiterHint : 0
; COMPUTE_PGM_RSRC2:SCRATCH_EN: 0
; COMPUTE_PGM_RSRC2:USER_SGPR: 2
; COMPUTE_PGM_RSRC2:TRAP_HANDLER: 0
; COMPUTE_PGM_RSRC2:TGID_X_EN: 1
; COMPUTE_PGM_RSRC2:TGID_Y_EN: 1
; COMPUTE_PGM_RSRC2:TGID_Z_EN: 1
; COMPUTE_PGM_RSRC2:TIDIG_COMP_CNT: 1
	.section	.text._ZN9rocsolver6v33100L15gesvdj_finalizeIffEEviPT0_lPT_ilS5_il,"axG",@progbits,_ZN9rocsolver6v33100L15gesvdj_finalizeIffEEviPT0_lPT_ilS5_il,comdat
	.globl	_ZN9rocsolver6v33100L15gesvdj_finalizeIffEEviPT0_lPT_ilS5_il ; -- Begin function _ZN9rocsolver6v33100L15gesvdj_finalizeIffEEviPT0_lPT_ilS5_il
	.p2align	8
	.type	_ZN9rocsolver6v33100L15gesvdj_finalizeIffEEviPT0_lPT_ilS5_il,@function
_ZN9rocsolver6v33100L15gesvdj_finalizeIffEEviPT0_lPT_ilS5_il: ; @_ZN9rocsolver6v33100L15gesvdj_finalizeIffEEviPT0_lPT_ilS5_il
; %bb.0:
	s_clause 0x1
	s_load_b32 s3, s[0:1], 0x54
	s_load_b32 s8, s[0:1], 0x0
	s_bfe_u32 s2, ttmp6, 0x4000c
	s_and_b32 s4, ttmp6, 15
	s_add_co_i32 s5, s2, 1
	s_getreg_b32 s2, hwreg(HW_REG_IB_STS2, 6, 4)
	s_mul_i32 s5, ttmp9, s5
	s_mov_b32 s9, 0
	s_add_co_i32 s4, s4, s5
	s_wait_kmcnt 0x0
	s_and_b32 s3, s3, 0xffff
	s_cmp_eq_u32 s2, 0
	s_cselect_b32 s4, ttmp9, s4
	s_delay_alu instid0(SALU_CYCLE_1) | instskip(SKIP_1) | instid1(VALU_DEP_1)
	v_mad_u32 v0, s4, s3, v0
	s_mov_b32 s3, exec_lo
	v_max_i32_e32 v1, 0, v0
	s_delay_alu instid0(VALU_DEP_1)
	v_cmpx_gt_i32_e64 s8, v1
	s_cbranch_execz .LBB36_7
; %bb.1:
	s_clause 0x3
	s_load_b128 s[4:7], s[0:1], 0x8
	s_load_b128 s[12:15], s[0:1], 0x28
	s_load_b64 s[10:11], s[0:1], 0x40
	s_load_b96 s[16:18], s[0:1], 0x18
	s_bfe_u32 s3, ttmp6, 0x40010
	s_wait_xcnt 0x0
	s_load_b32 s1, s[0:1], 0x38
	s_add_co_i32 s3, s3, 1
	s_wait_xcnt 0x0
	s_bfe_u32 s0, ttmp6, 0x40004
	s_mul_i32 s3, ttmp7, s3
	v_mov_b32_e32 v1, 0
	s_add_co_i32 s0, s0, s3
	s_cmp_eq_u32 s2, 0
	s_cselect_b32 s2, ttmp7, s0
	v_cmp_eq_u32_e64 s0, 0, v0
	s_ashr_i32 s3, s2, 31
	s_wait_kmcnt 0x0
	s_mul_u64 s[6:7], s[6:7], s[2:3]
	s_mul_u64 s[12:13], s[12:13], s[2:3]
	;; [unrolled: 1-line block ×3, first 2 shown]
	s_lshl_b64 s[6:7], s[6:7], 2
	s_lshl_b64 s[10:11], s[12:13], 2
	;; [unrolled: 1-line block ×3, first 2 shown]
	s_add_nc_u64 s[2:3], s[4:5], s[6:7]
	s_add_nc_u64 s[4:5], s[16:17], s[10:11]
	;; [unrolled: 1-line block ×3, first 2 shown]
	s_add_co_i32 s10, s18, 1
	s_branch .LBB36_3
.LBB36_2:                               ;   in Loop: Header=BB36_3 Depth=1
	s_wait_xcnt 0x0
	v_add_nc_u32_e32 v0, s1, v0
	s_add_co_i32 s8, s8, -1
	s_add_co_i32 s9, s9, s10
	s_cmp_lg_u32 s8, 0
	s_add_nc_u64 s[2:3], s[2:3], 4
	s_cbranch_scc0 .LBB36_7
.LBB36_3:                               ; =>This Inner Loop Header: Depth=1
	v_mov_b32_e32 v2, s9
	global_load_b32 v2, v2, s[4:5] scale_offset
	s_wait_xcnt 0x0
	s_and_saveexec_b32 s11, s0
	s_cbranch_execz .LBB36_5
; %bb.4:                                ;   in Loop: Header=BB36_3 Depth=1
	s_wait_loadcnt 0x0
	v_and_b32_e32 v3, 0x7fffffff, v2
	global_store_b32 v1, v3, s[2:3]
.LBB36_5:                               ;   in Loop: Header=BB36_3 Depth=1
	s_wait_xcnt 0x0
	s_or_b32 exec_lo, exec_lo, s11
	s_wait_loadcnt 0x0
	v_cmp_ngt_f32_e32 vcc_lo, 0, v2
	s_cbranch_vccnz .LBB36_2
; %bb.6:                                ;   in Loop: Header=BB36_3 Depth=1
	global_load_b32 v2, v0, s[6:7] scale_offset
	s_wait_loadcnt 0x0
	v_xor_b32_e32 v2, 0x80000000, v2
	global_store_b32 v0, v2, s[6:7] scale_offset
	s_branch .LBB36_2
.LBB36_7:
	s_endpgm
	.section	.rodata,"a",@progbits
	.p2align	6, 0x0
	.amdhsa_kernel _ZN9rocsolver6v33100L15gesvdj_finalizeIffEEviPT0_lPT_ilS5_il
		.amdhsa_group_segment_fixed_size 0
		.amdhsa_private_segment_fixed_size 0
		.amdhsa_kernarg_size 328
		.amdhsa_user_sgpr_count 2
		.amdhsa_user_sgpr_dispatch_ptr 0
		.amdhsa_user_sgpr_queue_ptr 0
		.amdhsa_user_sgpr_kernarg_segment_ptr 1
		.amdhsa_user_sgpr_dispatch_id 0
		.amdhsa_user_sgpr_kernarg_preload_length 0
		.amdhsa_user_sgpr_kernarg_preload_offset 0
		.amdhsa_user_sgpr_private_segment_size 0
		.amdhsa_wavefront_size32 1
		.amdhsa_uses_dynamic_stack 0
		.amdhsa_enable_private_segment 0
		.amdhsa_system_sgpr_workgroup_id_x 1
		.amdhsa_system_sgpr_workgroup_id_y 1
		.amdhsa_system_sgpr_workgroup_id_z 0
		.amdhsa_system_sgpr_workgroup_info 0
		.amdhsa_system_vgpr_workitem_id 0
		.amdhsa_next_free_vgpr 4
		.amdhsa_next_free_sgpr 19
		.amdhsa_named_barrier_count 0
		.amdhsa_reserve_vcc 1
		.amdhsa_float_round_mode_32 0
		.amdhsa_float_round_mode_16_64 0
		.amdhsa_float_denorm_mode_32 3
		.amdhsa_float_denorm_mode_16_64 3
		.amdhsa_fp16_overflow 0
		.amdhsa_memory_ordered 1
		.amdhsa_forward_progress 1
		.amdhsa_inst_pref_size 4
		.amdhsa_round_robin_scheduling 0
		.amdhsa_exception_fp_ieee_invalid_op 0
		.amdhsa_exception_fp_denorm_src 0
		.amdhsa_exception_fp_ieee_div_zero 0
		.amdhsa_exception_fp_ieee_overflow 0
		.amdhsa_exception_fp_ieee_underflow 0
		.amdhsa_exception_fp_ieee_inexact 0
		.amdhsa_exception_int_div_zero 0
	.end_amdhsa_kernel
	.section	.text._ZN9rocsolver6v33100L15gesvdj_finalizeIffEEviPT0_lPT_ilS5_il,"axG",@progbits,_ZN9rocsolver6v33100L15gesvdj_finalizeIffEEviPT0_lPT_ilS5_il,comdat
.Lfunc_end36:
	.size	_ZN9rocsolver6v33100L15gesvdj_finalizeIffEEviPT0_lPT_ilS5_il, .Lfunc_end36-_ZN9rocsolver6v33100L15gesvdj_finalizeIffEEviPT0_lPT_ilS5_il
                                        ; -- End function
	.set _ZN9rocsolver6v33100L15gesvdj_finalizeIffEEviPT0_lPT_ilS5_il.num_vgpr, 4
	.set _ZN9rocsolver6v33100L15gesvdj_finalizeIffEEviPT0_lPT_ilS5_il.num_agpr, 0
	.set _ZN9rocsolver6v33100L15gesvdj_finalizeIffEEviPT0_lPT_ilS5_il.numbered_sgpr, 19
	.set _ZN9rocsolver6v33100L15gesvdj_finalizeIffEEviPT0_lPT_ilS5_il.num_named_barrier, 0
	.set _ZN9rocsolver6v33100L15gesvdj_finalizeIffEEviPT0_lPT_ilS5_il.private_seg_size, 0
	.set _ZN9rocsolver6v33100L15gesvdj_finalizeIffEEviPT0_lPT_ilS5_il.uses_vcc, 1
	.set _ZN9rocsolver6v33100L15gesvdj_finalizeIffEEviPT0_lPT_ilS5_il.uses_flat_scratch, 0
	.set _ZN9rocsolver6v33100L15gesvdj_finalizeIffEEviPT0_lPT_ilS5_il.has_dyn_sized_stack, 0
	.set _ZN9rocsolver6v33100L15gesvdj_finalizeIffEEviPT0_lPT_ilS5_il.has_recursion, 0
	.set _ZN9rocsolver6v33100L15gesvdj_finalizeIffEEviPT0_lPT_ilS5_il.has_indirect_call, 0
	.section	.AMDGPU.csdata,"",@progbits
; Kernel info:
; codeLenInByte = 404
; TotalNumSgprs: 21
; NumVgprs: 4
; ScratchSize: 0
; MemoryBound: 0
; FloatMode: 240
; IeeeMode: 1
; LDSByteSize: 0 bytes/workgroup (compile time only)
; SGPRBlocks: 0
; VGPRBlocks: 0
; NumSGPRsForWavesPerEU: 21
; NumVGPRsForWavesPerEU: 4
; NamedBarCnt: 0
; Occupancy: 16
; WaveLimiterHint : 0
; COMPUTE_PGM_RSRC2:SCRATCH_EN: 0
; COMPUTE_PGM_RSRC2:USER_SGPR: 2
; COMPUTE_PGM_RSRC2:TRAP_HANDLER: 0
; COMPUTE_PGM_RSRC2:TGID_X_EN: 1
; COMPUTE_PGM_RSRC2:TGID_Y_EN: 1
; COMPUTE_PGM_RSRC2:TGID_Z_EN: 0
; COMPUTE_PGM_RSRC2:TIDIG_COMP_CNT: 0
	.section	.text._ZN9rocsolver6v33100L16org2r_init_identIfPfEEviiiT0_iil,"axG",@progbits,_ZN9rocsolver6v33100L16org2r_init_identIfPfEEviiiT0_iil,comdat
	.globl	_ZN9rocsolver6v33100L16org2r_init_identIfPfEEviiiT0_iil ; -- Begin function _ZN9rocsolver6v33100L16org2r_init_identIfPfEEviiiT0_iil
	.p2align	8
	.type	_ZN9rocsolver6v33100L16org2r_init_identIfPfEEviiiT0_iil,@function
_ZN9rocsolver6v33100L16org2r_init_identIfPfEEviiiT0_iil: ; @_ZN9rocsolver6v33100L16org2r_init_identIfPfEEviiiT0_iil
; %bb.0:
	s_clause 0x1
	s_load_b32 s2, s[0:1], 0x34
	s_load_b96 s[4:6], s[0:1], 0x0
	s_bfe_u32 s8, ttmp6, 0x4000c
	s_bfe_u32 s10, ttmp6, 0x40010
	s_and_b32 s9, ttmp7, 0xffff
	s_add_co_i32 s8, s8, 1
	s_add_co_i32 s10, s10, 1
	s_and_b32 s3, ttmp6, 15
	s_bfe_u32 s11, ttmp6, 0x40004
	s_mul_i32 s8, ttmp9, s8
	s_mul_i32 s10, s9, s10
	s_getreg_b32 s7, hwreg(HW_REG_IB_STS2, 6, 4)
	v_bfe_u32 v1, v0, 10, 10
	v_and_b32_e32 v0, 0x3ff, v0
	s_add_co_i32 s3, s3, s8
	s_add_co_i32 s11, s11, s10
	s_wait_kmcnt 0x0
	s_lshr_b32 s8, s2, 16
	s_and_b32 s2, s2, 0xffff
	s_cmp_eq_u32 s7, 0
	s_cselect_b32 s3, ttmp9, s3
	s_cselect_b32 s9, s9, s11
	v_mad_u32 v2, s3, s2, v0
	v_mad_u32 v1, s9, s8, v1
	s_delay_alu instid0(VALU_DEP_2) | instskip(NEXT) | instid1(VALU_DEP_2)
	v_cmp_gt_u32_e32 vcc_lo, s4, v2
	v_cmp_gt_u32_e64 s2, s5, v1
	s_mov_b32 s5, 0
	s_and_b32 s2, vcc_lo, s2
	s_delay_alu instid0(SALU_CYCLE_1)
	s_and_saveexec_b32 s3, s2
	s_cbranch_execz .LBB37_5
; %bb.1:
	s_load_b64 s[2:3], s[0:1], 0x18
	s_mov_b32 s4, exec_lo
                                        ; implicit-def: $vgpr0
	v_cmpx_ne_u32_e64 v2, v1
	s_xor_b32 s4, exec_lo, s4
	s_cbranch_execnz .LBB37_6
; %bb.2:
	s_or_saveexec_b32 s4, s4
	v_mov_b32_e32 v2, 0
	s_xor_b32 exec_lo, exec_lo, s4
	s_cbranch_execnz .LBB37_13
.LBB37_3:
	s_or_b32 exec_lo, exec_lo, s4
	s_delay_alu instid0(SALU_CYCLE_1)
	s_and_b32 exec_lo, exec_lo, s5
	s_cbranch_execz .LBB37_5
.LBB37_4:
	s_clause 0x1
	s_load_b64 s[4:5], s[0:1], 0x20
	s_load_b64 s[8:9], s[0:1], 0x10
	s_wait_xcnt 0x0
	s_bfe_u32 s0, ttmp6, 0x40014
	s_lshr_b32 s6, ttmp7, 16
	s_add_co_i32 s0, s0, 1
	s_bfe_u32 s1, ttmp6, 0x40008
	s_mul_i32 s0, s6, s0
	s_wait_kmcnt 0x0
	s_ashr_i32 s3, s2, 31
	s_add_co_i32 s0, s1, s0
	s_cmp_eq_u32 s7, 0
	s_mov_b32 s1, 0
	s_cselect_b32 s0, s6, s0
	s_lshl_b64 s[2:3], s[2:3], 2
	s_mul_u64 s[0:1], s[4:5], s[0:1]
	s_delay_alu instid0(SALU_CYCLE_1) | instskip(NEXT) | instid1(SALU_CYCLE_1)
	s_lshl_b64 s[0:1], s[0:1], 2
	s_add_nc_u64 s[0:1], s[8:9], s[0:1]
	s_delay_alu instid0(SALU_CYCLE_1)
	s_add_nc_u64 s[0:1], s[0:1], s[2:3]
	global_store_b32 v0, v2, s[0:1] scale_offset
.LBB37_5:
	s_endpgm
.LBB37_6:
	s_mov_b32 s8, exec_lo
                                        ; implicit-def: $vgpr0
	v_cmpx_le_u32_e64 v1, v2
	s_xor_b32 s8, exec_lo, s8
	s_cbranch_execz .LBB37_10
; %bb.7:
	v_cmp_le_u32_e32 vcc_lo, s6, v1
                                        ; implicit-def: $vgpr0
	s_and_saveexec_b32 s6, vcc_lo
	s_delay_alu instid0(SALU_CYCLE_1)
	s_xor_b32 s6, exec_lo, s6
	s_cbranch_execz .LBB37_9
; %bb.8:
	s_wait_kmcnt 0x0
	v_mad_u32 v0, v1, s3, v2
	s_mov_b32 s5, exec_lo
.LBB37_9:
	s_or_b32 exec_lo, exec_lo, s6
	s_delay_alu instid0(SALU_CYCLE_1)
	s_and_b32 s5, s5, exec_lo
                                        ; implicit-def: $vgpr1
                                        ; implicit-def: $vgpr2
.LBB37_10:
	s_and_not1_saveexec_b32 s6, s8
	s_cbranch_execz .LBB37_12
; %bb.11:
	s_wait_kmcnt 0x0
	v_mad_u32 v0, v1, s3, v2
	s_or_b32 s5, s5, exec_lo
.LBB37_12:
	s_or_b32 exec_lo, exec_lo, s6
	s_delay_alu instid0(SALU_CYCLE_1)
	s_and_b32 s5, s5, exec_lo
                                        ; implicit-def: $vgpr1
	s_or_saveexec_b32 s4, s4
	v_mov_b32_e32 v2, 0
	s_xor_b32 exec_lo, exec_lo, s4
	s_cbranch_execz .LBB37_3
.LBB37_13:
	s_wait_kmcnt 0x0
	v_mad_u32 v0, v1, s3, v1
	v_mov_b32_e32 v2, 1.0
	s_or_b32 s5, s5, exec_lo
	s_or_b32 exec_lo, exec_lo, s4
	s_delay_alu instid0(SALU_CYCLE_1)
	s_and_b32 exec_lo, exec_lo, s5
	s_cbranch_execnz .LBB37_4
	s_branch .LBB37_5
	.section	.rodata,"a",@progbits
	.p2align	6, 0x0
	.amdhsa_kernel _ZN9rocsolver6v33100L16org2r_init_identIfPfEEviiiT0_iil
		.amdhsa_group_segment_fixed_size 0
		.amdhsa_private_segment_fixed_size 0
		.amdhsa_kernarg_size 296
		.amdhsa_user_sgpr_count 2
		.amdhsa_user_sgpr_dispatch_ptr 0
		.amdhsa_user_sgpr_queue_ptr 0
		.amdhsa_user_sgpr_kernarg_segment_ptr 1
		.amdhsa_user_sgpr_dispatch_id 0
		.amdhsa_user_sgpr_kernarg_preload_length 0
		.amdhsa_user_sgpr_kernarg_preload_offset 0
		.amdhsa_user_sgpr_private_segment_size 0
		.amdhsa_wavefront_size32 1
		.amdhsa_uses_dynamic_stack 0
		.amdhsa_enable_private_segment 0
		.amdhsa_system_sgpr_workgroup_id_x 1
		.amdhsa_system_sgpr_workgroup_id_y 1
		.amdhsa_system_sgpr_workgroup_id_z 1
		.amdhsa_system_sgpr_workgroup_info 0
		.amdhsa_system_vgpr_workitem_id 1
		.amdhsa_next_free_vgpr 3
		.amdhsa_next_free_sgpr 12
		.amdhsa_named_barrier_count 0
		.amdhsa_reserve_vcc 1
		.amdhsa_float_round_mode_32 0
		.amdhsa_float_round_mode_16_64 0
		.amdhsa_float_denorm_mode_32 3
		.amdhsa_float_denorm_mode_16_64 3
		.amdhsa_fp16_overflow 0
		.amdhsa_memory_ordered 1
		.amdhsa_forward_progress 1
		.amdhsa_inst_pref_size 5
		.amdhsa_round_robin_scheduling 0
		.amdhsa_exception_fp_ieee_invalid_op 0
		.amdhsa_exception_fp_denorm_src 0
		.amdhsa_exception_fp_ieee_div_zero 0
		.amdhsa_exception_fp_ieee_overflow 0
		.amdhsa_exception_fp_ieee_underflow 0
		.amdhsa_exception_fp_ieee_inexact 0
		.amdhsa_exception_int_div_zero 0
	.end_amdhsa_kernel
	.section	.text._ZN9rocsolver6v33100L16org2r_init_identIfPfEEviiiT0_iil,"axG",@progbits,_ZN9rocsolver6v33100L16org2r_init_identIfPfEEviiiT0_iil,comdat
.Lfunc_end37:
	.size	_ZN9rocsolver6v33100L16org2r_init_identIfPfEEviiiT0_iil, .Lfunc_end37-_ZN9rocsolver6v33100L16org2r_init_identIfPfEEviiiT0_iil
                                        ; -- End function
	.set _ZN9rocsolver6v33100L16org2r_init_identIfPfEEviiiT0_iil.num_vgpr, 3
	.set _ZN9rocsolver6v33100L16org2r_init_identIfPfEEviiiT0_iil.num_agpr, 0
	.set _ZN9rocsolver6v33100L16org2r_init_identIfPfEEviiiT0_iil.numbered_sgpr, 12
	.set _ZN9rocsolver6v33100L16org2r_init_identIfPfEEviiiT0_iil.num_named_barrier, 0
	.set _ZN9rocsolver6v33100L16org2r_init_identIfPfEEviiiT0_iil.private_seg_size, 0
	.set _ZN9rocsolver6v33100L16org2r_init_identIfPfEEviiiT0_iil.uses_vcc, 1
	.set _ZN9rocsolver6v33100L16org2r_init_identIfPfEEviiiT0_iil.uses_flat_scratch, 0
	.set _ZN9rocsolver6v33100L16org2r_init_identIfPfEEviiiT0_iil.has_dyn_sized_stack, 0
	.set _ZN9rocsolver6v33100L16org2r_init_identIfPfEEviiiT0_iil.has_recursion, 0
	.set _ZN9rocsolver6v33100L16org2r_init_identIfPfEEviiiT0_iil.has_indirect_call, 0
	.section	.AMDGPU.csdata,"",@progbits
; Kernel info:
; codeLenInByte = 520
; TotalNumSgprs: 14
; NumVgprs: 3
; ScratchSize: 0
; MemoryBound: 0
; FloatMode: 240
; IeeeMode: 1
; LDSByteSize: 0 bytes/workgroup (compile time only)
; SGPRBlocks: 0
; VGPRBlocks: 0
; NumSGPRsForWavesPerEU: 14
; NumVGPRsForWavesPerEU: 3
; NamedBarCnt: 0
; Occupancy: 16
; WaveLimiterHint : 0
; COMPUTE_PGM_RSRC2:SCRATCH_EN: 0
; COMPUTE_PGM_RSRC2:USER_SGPR: 2
; COMPUTE_PGM_RSRC2:TRAP_HANDLER: 0
; COMPUTE_PGM_RSRC2:TGID_X_EN: 1
; COMPUTE_PGM_RSRC2:TGID_Y_EN: 1
; COMPUTE_PGM_RSRC2:TGID_Z_EN: 1
; COMPUTE_PGM_RSRC2:TIDIG_COMP_CNT: 1
	.section	.text._ZN9rocsolver6v33100L12subtract_tauIfPfEEviiT0_iilPT_l,"axG",@progbits,_ZN9rocsolver6v33100L12subtract_tauIfPfEEviiT0_iilPT_l,comdat
	.globl	_ZN9rocsolver6v33100L12subtract_tauIfPfEEviiT0_iilPT_l ; -- Begin function _ZN9rocsolver6v33100L12subtract_tauIfPfEEviiT0_iilPT_l
	.p2align	8
	.type	_ZN9rocsolver6v33100L12subtract_tauIfPfEEviiT0_iilPT_l,@function
_ZN9rocsolver6v33100L12subtract_tauIfPfEEviiT0_iilPT_l: ; @_ZN9rocsolver6v33100L12subtract_tauIfPfEEviiT0_iilPT_l
; %bb.0:
	s_clause 0x2
	s_load_b64 s[8:9], s[0:1], 0x10
	s_load_b64 s[2:3], s[0:1], 0x28
	s_load_b128 s[4:7], s[0:1], 0x18
	s_bfe_u32 s10, ttmp6, 0x4000c
	s_and_b32 s11, ttmp6, 15
	s_add_co_i32 s10, s10, 1
	s_getreg_b32 s12, hwreg(HW_REG_IB_STS2, 6, 4)
	s_mul_i32 s10, ttmp9, s10
	s_mov_b32 s13, 0
	s_add_co_i32 s10, s11, s10
	s_wait_kmcnt 0x0
	s_ashr_i32 s11, s8, 31
	s_cmp_eq_u32 s12, 0
	s_cselect_b32 s12, ttmp9, s10
	s_mov_b32 s10, s8
	s_mul_u64 s[2:3], s[2:3], s[12:13]
	s_mul_u64 s[4:5], s[4:5], s[12:13]
	s_lshl_b64 s[14:15], s[2:3], 2
	s_load_b128 s[0:3], s[0:1], 0x0
	s_add_nc_u64 s[6:7], s[6:7], s[14:15]
	s_lshl_b64 s[4:5], s[4:5], 2
	s_load_b32 s14, s[6:7], 0x0
	s_wait_kmcnt 0x0
	s_mul_i32 s1, s9, s1
	s_add_nc_u64 s[2:3], s[2:3], s[4:5]
	s_add_co_i32 s0, s1, s0
	s_sub_f32 s5, 1.0, s14
	s_xor_b32 s4, s14, 0x80000000
	s_delay_alu instid0(SALU_CYCLE_1) | instskip(NEXT) | instid1(SALU_CYCLE_1)
	v_dual_mov_b32 v0, 0 :: v_dual_mov_b32 v1, s4
	v_dual_mov_b32 v2, s0 :: v_dual_mov_b32 v3, s5
	s_lshl_b64 s[0:1], s[10:11], 2
	s_delay_alu instid0(SALU_CYCLE_1)
	s_add_nc_u64 s[0:1], s[2:3], s[0:1]
	global_store_b32 v0, v1, s[6:7]
	global_store_b32 v2, v3, s[0:1] scale_offset
	s_endpgm
	.section	.rodata,"a",@progbits
	.p2align	6, 0x0
	.amdhsa_kernel _ZN9rocsolver6v33100L12subtract_tauIfPfEEviiT0_iilPT_l
		.amdhsa_group_segment_fixed_size 0
		.amdhsa_private_segment_fixed_size 0
		.amdhsa_kernarg_size 48
		.amdhsa_user_sgpr_count 2
		.amdhsa_user_sgpr_dispatch_ptr 0
		.amdhsa_user_sgpr_queue_ptr 0
		.amdhsa_user_sgpr_kernarg_segment_ptr 1
		.amdhsa_user_sgpr_dispatch_id 0
		.amdhsa_user_sgpr_kernarg_preload_length 0
		.amdhsa_user_sgpr_kernarg_preload_offset 0
		.amdhsa_user_sgpr_private_segment_size 0
		.amdhsa_wavefront_size32 1
		.amdhsa_uses_dynamic_stack 0
		.amdhsa_enable_private_segment 0
		.amdhsa_system_sgpr_workgroup_id_x 1
		.amdhsa_system_sgpr_workgroup_id_y 0
		.amdhsa_system_sgpr_workgroup_id_z 0
		.amdhsa_system_sgpr_workgroup_info 0
		.amdhsa_system_vgpr_workitem_id 0
		.amdhsa_next_free_vgpr 4
		.amdhsa_next_free_sgpr 16
		.amdhsa_named_barrier_count 0
		.amdhsa_reserve_vcc 0
		.amdhsa_float_round_mode_32 0
		.amdhsa_float_round_mode_16_64 0
		.amdhsa_float_denorm_mode_32 3
		.amdhsa_float_denorm_mode_16_64 3
		.amdhsa_fp16_overflow 0
		.amdhsa_memory_ordered 1
		.amdhsa_forward_progress 1
		.amdhsa_inst_pref_size 2
		.amdhsa_round_robin_scheduling 0
		.amdhsa_exception_fp_ieee_invalid_op 0
		.amdhsa_exception_fp_denorm_src 0
		.amdhsa_exception_fp_ieee_div_zero 0
		.amdhsa_exception_fp_ieee_overflow 0
		.amdhsa_exception_fp_ieee_underflow 0
		.amdhsa_exception_fp_ieee_inexact 0
		.amdhsa_exception_int_div_zero 0
	.end_amdhsa_kernel
	.section	.text._ZN9rocsolver6v33100L12subtract_tauIfPfEEviiT0_iilPT_l,"axG",@progbits,_ZN9rocsolver6v33100L12subtract_tauIfPfEEviiT0_iilPT_l,comdat
.Lfunc_end38:
	.size	_ZN9rocsolver6v33100L12subtract_tauIfPfEEviiT0_iilPT_l, .Lfunc_end38-_ZN9rocsolver6v33100L12subtract_tauIfPfEEviiT0_iilPT_l
                                        ; -- End function
	.set _ZN9rocsolver6v33100L12subtract_tauIfPfEEviiT0_iilPT_l.num_vgpr, 4
	.set _ZN9rocsolver6v33100L12subtract_tauIfPfEEviiT0_iilPT_l.num_agpr, 0
	.set _ZN9rocsolver6v33100L12subtract_tauIfPfEEviiT0_iilPT_l.numbered_sgpr, 16
	.set _ZN9rocsolver6v33100L12subtract_tauIfPfEEviiT0_iilPT_l.num_named_barrier, 0
	.set _ZN9rocsolver6v33100L12subtract_tauIfPfEEviiT0_iilPT_l.private_seg_size, 0
	.set _ZN9rocsolver6v33100L12subtract_tauIfPfEEviiT0_iilPT_l.uses_vcc, 0
	.set _ZN9rocsolver6v33100L12subtract_tauIfPfEEviiT0_iilPT_l.uses_flat_scratch, 0
	.set _ZN9rocsolver6v33100L12subtract_tauIfPfEEviiT0_iilPT_l.has_dyn_sized_stack, 0
	.set _ZN9rocsolver6v33100L12subtract_tauIfPfEEviiT0_iilPT_l.has_recursion, 0
	.set _ZN9rocsolver6v33100L12subtract_tauIfPfEEviiT0_iilPT_l.has_indirect_call, 0
	.section	.AMDGPU.csdata,"",@progbits
; Kernel info:
; codeLenInByte = 204
; TotalNumSgprs: 16
; NumVgprs: 4
; ScratchSize: 0
; MemoryBound: 0
; FloatMode: 240
; IeeeMode: 1
; LDSByteSize: 0 bytes/workgroup (compile time only)
; SGPRBlocks: 0
; VGPRBlocks: 0
; NumSGPRsForWavesPerEU: 16
; NumVGPRsForWavesPerEU: 4
; NamedBarCnt: 0
; Occupancy: 16
; WaveLimiterHint : 0
; COMPUTE_PGM_RSRC2:SCRATCH_EN: 0
; COMPUTE_PGM_RSRC2:USER_SGPR: 2
; COMPUTE_PGM_RSRC2:TRAP_HANDLER: 0
; COMPUTE_PGM_RSRC2:TGID_X_EN: 1
; COMPUTE_PGM_RSRC2:TGID_Y_EN: 0
; COMPUTE_PGM_RSRC2:TGID_Z_EN: 0
; COMPUTE_PGM_RSRC2:TIDIG_COMP_CNT: 0
	.section	.text._ZN9rocsolver6v33100L6restauIfEEviPT_l,"axG",@progbits,_ZN9rocsolver6v33100L6restauIfEEviPT_l,comdat
	.globl	_ZN9rocsolver6v33100L6restauIfEEviPT_l ; -- Begin function _ZN9rocsolver6v33100L6restauIfEEviPT_l
	.p2align	8
	.type	_ZN9rocsolver6v33100L6restauIfEEviPT_l,@function
_ZN9rocsolver6v33100L6restauIfEEviPT_l: ; @_ZN9rocsolver6v33100L6restauIfEEviPT_l
; %bb.0:
	s_clause 0x1
	s_load_b32 s3, s[0:1], 0x24
	s_load_b32 s4, s[0:1], 0x0
	s_bfe_u32 s2, ttmp6, 0x4000c
	s_and_b32 s5, ttmp6, 15
	s_add_co_i32 s6, s2, 1
	s_getreg_b32 s2, hwreg(HW_REG_IB_STS2, 6, 4)
	s_mul_i32 s6, ttmp9, s6
	s_delay_alu instid0(SALU_CYCLE_1) | instskip(SKIP_4) | instid1(SALU_CYCLE_1)
	s_add_co_i32 s5, s5, s6
	s_wait_kmcnt 0x0
	s_and_b32 s3, s3, 0xffff
	s_cmp_eq_u32 s2, 0
	s_cselect_b32 s5, ttmp9, s5
	v_mad_u32 v0, s5, s3, v0
	s_mov_b32 s3, 0
	s_delay_alu instid0(VALU_DEP_1)
	v_cmp_gt_u32_e32 vcc_lo, s4, v0
	s_and_saveexec_b32 s4, vcc_lo
	s_cbranch_execz .LBB39_2
; %bb.1:
	s_load_b128 s[4:7], s[0:1], 0x8
	s_wait_xcnt 0x0
	s_bfe_u32 s0, ttmp6, 0x40010
	s_bfe_u32 s1, ttmp6, 0x40004
	s_add_co_i32 s0, s0, 1
	s_delay_alu instid0(SALU_CYCLE_1) | instskip(NEXT) | instid1(SALU_CYCLE_1)
	s_mul_i32 s0, ttmp7, s0
	s_add_co_i32 s1, s1, s0
	s_cmp_eq_u32 s2, 0
	s_cselect_b32 s2, ttmp7, s1
	s_wait_kmcnt 0x0
	s_mul_u64 s[0:1], s[6:7], s[2:3]
	s_delay_alu instid0(SALU_CYCLE_1) | instskip(NEXT) | instid1(SALU_CYCLE_1)
	s_lshl_b64 s[0:1], s[0:1], 2
	s_add_nc_u64 s[0:1], s[4:5], s[0:1]
	global_load_b32 v1, v0, s[0:1] scale_offset
	s_wait_loadcnt 0x0
	v_xor_b32_e32 v1, 0x80000000, v1
	global_store_b32 v0, v1, s[0:1] scale_offset
.LBB39_2:
	s_endpgm
	.section	.rodata,"a",@progbits
	.p2align	6, 0x0
	.amdhsa_kernel _ZN9rocsolver6v33100L6restauIfEEviPT_l
		.amdhsa_group_segment_fixed_size 0
		.amdhsa_private_segment_fixed_size 0
		.amdhsa_kernarg_size 280
		.amdhsa_user_sgpr_count 2
		.amdhsa_user_sgpr_dispatch_ptr 0
		.amdhsa_user_sgpr_queue_ptr 0
		.amdhsa_user_sgpr_kernarg_segment_ptr 1
		.amdhsa_user_sgpr_dispatch_id 0
		.amdhsa_user_sgpr_kernarg_preload_length 0
		.amdhsa_user_sgpr_kernarg_preload_offset 0
		.amdhsa_user_sgpr_private_segment_size 0
		.amdhsa_wavefront_size32 1
		.amdhsa_uses_dynamic_stack 0
		.amdhsa_enable_private_segment 0
		.amdhsa_system_sgpr_workgroup_id_x 1
		.amdhsa_system_sgpr_workgroup_id_y 1
		.amdhsa_system_sgpr_workgroup_id_z 0
		.amdhsa_system_sgpr_workgroup_info 0
		.amdhsa_system_vgpr_workitem_id 0
		.amdhsa_next_free_vgpr 2
		.amdhsa_next_free_sgpr 8
		.amdhsa_named_barrier_count 0
		.amdhsa_reserve_vcc 1
		.amdhsa_float_round_mode_32 0
		.amdhsa_float_round_mode_16_64 0
		.amdhsa_float_denorm_mode_32 3
		.amdhsa_float_denorm_mode_16_64 3
		.amdhsa_fp16_overflow 0
		.amdhsa_memory_ordered 1
		.amdhsa_forward_progress 1
		.amdhsa_inst_pref_size 2
		.amdhsa_round_robin_scheduling 0
		.amdhsa_exception_fp_ieee_invalid_op 0
		.amdhsa_exception_fp_denorm_src 0
		.amdhsa_exception_fp_ieee_div_zero 0
		.amdhsa_exception_fp_ieee_overflow 0
		.amdhsa_exception_fp_ieee_underflow 0
		.amdhsa_exception_fp_ieee_inexact 0
		.amdhsa_exception_int_div_zero 0
	.end_amdhsa_kernel
	.section	.text._ZN9rocsolver6v33100L6restauIfEEviPT_l,"axG",@progbits,_ZN9rocsolver6v33100L6restauIfEEviPT_l,comdat
.Lfunc_end39:
	.size	_ZN9rocsolver6v33100L6restauIfEEviPT_l, .Lfunc_end39-_ZN9rocsolver6v33100L6restauIfEEviPT_l
                                        ; -- End function
	.set _ZN9rocsolver6v33100L6restauIfEEviPT_l.num_vgpr, 2
	.set _ZN9rocsolver6v33100L6restauIfEEviPT_l.num_agpr, 0
	.set _ZN9rocsolver6v33100L6restauIfEEviPT_l.numbered_sgpr, 8
	.set _ZN9rocsolver6v33100L6restauIfEEviPT_l.num_named_barrier, 0
	.set _ZN9rocsolver6v33100L6restauIfEEviPT_l.private_seg_size, 0
	.set _ZN9rocsolver6v33100L6restauIfEEviPT_l.uses_vcc, 1
	.set _ZN9rocsolver6v33100L6restauIfEEviPT_l.uses_flat_scratch, 0
	.set _ZN9rocsolver6v33100L6restauIfEEviPT_l.has_dyn_sized_stack, 0
	.set _ZN9rocsolver6v33100L6restauIfEEviPT_l.has_recursion, 0
	.set _ZN9rocsolver6v33100L6restauIfEEviPT_l.has_indirect_call, 0
	.section	.AMDGPU.csdata,"",@progbits
; Kernel info:
; codeLenInByte = 212
; TotalNumSgprs: 10
; NumVgprs: 2
; ScratchSize: 0
; MemoryBound: 0
; FloatMode: 240
; IeeeMode: 1
; LDSByteSize: 0 bytes/workgroup (compile time only)
; SGPRBlocks: 0
; VGPRBlocks: 0
; NumSGPRsForWavesPerEU: 10
; NumVGPRsForWavesPerEU: 2
; NamedBarCnt: 0
; Occupancy: 16
; WaveLimiterHint : 0
; COMPUTE_PGM_RSRC2:SCRATCH_EN: 0
; COMPUTE_PGM_RSRC2:USER_SGPR: 2
; COMPUTE_PGM_RSRC2:TRAP_HANDLER: 0
; COMPUTE_PGM_RSRC2:TGID_X_EN: 1
; COMPUTE_PGM_RSRC2:TGID_Y_EN: 1
; COMPUTE_PGM_RSRC2:TGID_Z_EN: 0
; COMPUTE_PGM_RSRC2:TIDIG_COMP_CNT: 0
	.section	.text._ZN9rocsolver6v33100L8set_zeroIfPfEEviiT0_iil13rocblas_fill_,"axG",@progbits,_ZN9rocsolver6v33100L8set_zeroIfPfEEviiT0_iil13rocblas_fill_,comdat
	.globl	_ZN9rocsolver6v33100L8set_zeroIfPfEEviiT0_iil13rocblas_fill_ ; -- Begin function _ZN9rocsolver6v33100L8set_zeroIfPfEEviiT0_iil13rocblas_fill_
	.p2align	8
	.type	_ZN9rocsolver6v33100L8set_zeroIfPfEEviiT0_iil13rocblas_fill_,@function
_ZN9rocsolver6v33100L8set_zeroIfPfEEviiT0_iil13rocblas_fill_: ; @_ZN9rocsolver6v33100L8set_zeroIfPfEEviiT0_iil13rocblas_fill_
; %bb.0:
	s_clause 0x1
	s_load_b32 s2, s[0:1], 0x34
	s_load_b64 s[4:5], s[0:1], 0x0
	s_bfe_u32 s7, ttmp6, 0x40010
	s_bfe_u32 s10, ttmp6, 0x4000c
	s_and_b32 s6, ttmp7, 0xffff
	s_add_co_i32 s7, s7, 1
	s_add_co_i32 s10, s10, 1
	s_bfe_u32 s8, ttmp6, 0x40004
	s_and_b32 s9, ttmp6, 15
	s_mul_i32 s7, s6, s7
	s_mul_i32 s10, ttmp9, s10
	s_getreg_b32 s3, hwreg(HW_REG_IB_STS2, 6, 4)
	v_and_b32_e32 v1, 0x3ff, v0
	v_bfe_u32 v2, v0, 10, 10
	s_add_co_i32 s8, s8, s7
	s_add_co_i32 s9, s9, s10
	s_wait_kmcnt 0x0
	s_lshr_b32 s7, s2, 16
	s_and_b32 s2, s2, 0xffff
	s_cmp_eq_u32 s3, 0
	s_cselect_b32 s9, ttmp9, s9
	s_cselect_b32 s6, s6, s8
	v_mad_u32 v0, s9, s2, v1
	v_mad_u32 v1, s6, s7, v2
	s_delay_alu instid0(VALU_DEP_2) | instskip(NEXT) | instid1(VALU_DEP_2)
	v_cmp_gt_u32_e32 vcc_lo, s4, v0
	v_cmp_gt_u32_e64 s2, s5, v1
	s_and_b32 s2, vcc_lo, s2
	s_delay_alu instid0(SALU_CYCLE_1)
	s_and_saveexec_b32 s4, s2
	s_cbranch_execz .LBB40_12
; %bb.1:
	s_load_b32 s4, s[0:1], 0x20
	s_wait_kmcnt 0x0
	s_cmp_lt_i32 s4, 0x7a
	s_cbranch_scc1 .LBB40_4
; %bb.2:
	s_cmp_gt_i32 s4, 0x7a
	s_cbranch_scc0 .LBB40_5
; %bb.3:
	s_cmp_eq_u32 s4, 0x7b
	s_cselect_b32 s2, -1, 0
	s_cbranch_execz .LBB40_6
	s_branch .LBB40_7
.LBB40_4:
	s_mov_b32 s2, 0
	s_cbranch_execnz .LBB40_8
	s_branch .LBB40_10
.LBB40_5:
	s_mov_b32 s2, 0
.LBB40_6:
	v_cmp_gt_u32_e32 vcc_lo, v1, v0
	s_and_not1_b32 s2, s2, exec_lo
	s_and_b32 s5, vcc_lo, exec_lo
	s_delay_alu instid0(SALU_CYCLE_1)
	s_or_b32 s2, s2, s5
.LBB40_7:
	s_branch .LBB40_10
.LBB40_8:
	s_cmp_eq_u32 s4, 0x79
	s_cbranch_scc0 .LBB40_10
; %bb.9:
	v_cmp_gt_u32_e32 vcc_lo, v0, v1
	s_and_not1_b32 s2, s2, exec_lo
	s_and_b32 s4, vcc_lo, exec_lo
	s_delay_alu instid0(SALU_CYCLE_1)
	s_or_b32 s2, s2, s4
.LBB40_10:
	s_delay_alu instid0(SALU_CYCLE_1)
	s_and_b32 exec_lo, exec_lo, s2
	s_cbranch_execz .LBB40_12
; %bb.11:
	s_clause 0x1
	s_load_b128 s[4:7], s[0:1], 0x8
	s_load_b64 s[8:9], s[0:1], 0x18
	s_wait_xcnt 0x0
	s_bfe_u32 s0, ttmp6, 0x40014
	s_lshr_b32 s2, ttmp7, 16
	s_add_co_i32 s0, s0, 1
	s_bfe_u32 s10, ttmp6, 0x40008
	s_mul_i32 s0, s2, s0
	s_mov_b32 s1, 0
	s_add_co_i32 s10, s10, s0
	s_wait_kmcnt 0x0
	s_ashr_i32 s11, s6, 31
	s_cmp_eq_u32 s3, 0
	v_mad_u32 v0, v1, s7, v0
	s_cselect_b32 s0, s2, s10
	s_mov_b32 s10, s6
	s_mul_u64 s[0:1], s[8:9], s[0:1]
	v_mov_b32_e32 v1, 0
	s_lshl_b64 s[0:1], s[0:1], 2
	s_lshl_b64 s[2:3], s[10:11], 2
	s_add_nc_u64 s[0:1], s[4:5], s[0:1]
	s_delay_alu instid0(SALU_CYCLE_1)
	s_add_nc_u64 s[0:1], s[0:1], s[2:3]
	global_store_b32 v0, v1, s[0:1] scale_offset
.LBB40_12:
	s_endpgm
	.section	.rodata,"a",@progbits
	.p2align	6, 0x0
	.amdhsa_kernel _ZN9rocsolver6v33100L8set_zeroIfPfEEviiT0_iil13rocblas_fill_
		.amdhsa_group_segment_fixed_size 0
		.amdhsa_private_segment_fixed_size 0
		.amdhsa_kernarg_size 296
		.amdhsa_user_sgpr_count 2
		.amdhsa_user_sgpr_dispatch_ptr 0
		.amdhsa_user_sgpr_queue_ptr 0
		.amdhsa_user_sgpr_kernarg_segment_ptr 1
		.amdhsa_user_sgpr_dispatch_id 0
		.amdhsa_user_sgpr_kernarg_preload_length 0
		.amdhsa_user_sgpr_kernarg_preload_offset 0
		.amdhsa_user_sgpr_private_segment_size 0
		.amdhsa_wavefront_size32 1
		.amdhsa_uses_dynamic_stack 0
		.amdhsa_enable_private_segment 0
		.amdhsa_system_sgpr_workgroup_id_x 1
		.amdhsa_system_sgpr_workgroup_id_y 1
		.amdhsa_system_sgpr_workgroup_id_z 1
		.amdhsa_system_sgpr_workgroup_info 0
		.amdhsa_system_vgpr_workitem_id 1
		.amdhsa_next_free_vgpr 3
		.amdhsa_next_free_sgpr 12
		.amdhsa_named_barrier_count 0
		.amdhsa_reserve_vcc 1
		.amdhsa_float_round_mode_32 0
		.amdhsa_float_round_mode_16_64 0
		.amdhsa_float_denorm_mode_32 3
		.amdhsa_float_denorm_mode_16_64 3
		.amdhsa_fp16_overflow 0
		.amdhsa_memory_ordered 1
		.amdhsa_forward_progress 1
		.amdhsa_inst_pref_size 4
		.amdhsa_round_robin_scheduling 0
		.amdhsa_exception_fp_ieee_invalid_op 0
		.amdhsa_exception_fp_denorm_src 0
		.amdhsa_exception_fp_ieee_div_zero 0
		.amdhsa_exception_fp_ieee_overflow 0
		.amdhsa_exception_fp_ieee_underflow 0
		.amdhsa_exception_fp_ieee_inexact 0
		.amdhsa_exception_int_div_zero 0
	.end_amdhsa_kernel
	.section	.text._ZN9rocsolver6v33100L8set_zeroIfPfEEviiT0_iil13rocblas_fill_,"axG",@progbits,_ZN9rocsolver6v33100L8set_zeroIfPfEEviiT0_iil13rocblas_fill_,comdat
.Lfunc_end40:
	.size	_ZN9rocsolver6v33100L8set_zeroIfPfEEviiT0_iil13rocblas_fill_, .Lfunc_end40-_ZN9rocsolver6v33100L8set_zeroIfPfEEviiT0_iil13rocblas_fill_
                                        ; -- End function
	.set _ZN9rocsolver6v33100L8set_zeroIfPfEEviiT0_iil13rocblas_fill_.num_vgpr, 3
	.set _ZN9rocsolver6v33100L8set_zeroIfPfEEviiT0_iil13rocblas_fill_.num_agpr, 0
	.set _ZN9rocsolver6v33100L8set_zeroIfPfEEviiT0_iil13rocblas_fill_.numbered_sgpr, 12
	.set _ZN9rocsolver6v33100L8set_zeroIfPfEEviiT0_iil13rocblas_fill_.num_named_barrier, 0
	.set _ZN9rocsolver6v33100L8set_zeroIfPfEEviiT0_iil13rocblas_fill_.private_seg_size, 0
	.set _ZN9rocsolver6v33100L8set_zeroIfPfEEviiT0_iil13rocblas_fill_.uses_vcc, 1
	.set _ZN9rocsolver6v33100L8set_zeroIfPfEEviiT0_iil13rocblas_fill_.uses_flat_scratch, 0
	.set _ZN9rocsolver6v33100L8set_zeroIfPfEEviiT0_iil13rocblas_fill_.has_dyn_sized_stack, 0
	.set _ZN9rocsolver6v33100L8set_zeroIfPfEEviiT0_iil13rocblas_fill_.has_recursion, 0
	.set _ZN9rocsolver6v33100L8set_zeroIfPfEEviiT0_iil13rocblas_fill_.has_indirect_call, 0
	.section	.AMDGPU.csdata,"",@progbits
; Kernel info:
; codeLenInByte = 448
; TotalNumSgprs: 14
; NumVgprs: 3
; ScratchSize: 0
; MemoryBound: 0
; FloatMode: 240
; IeeeMode: 1
; LDSByteSize: 0 bytes/workgroup (compile time only)
; SGPRBlocks: 0
; VGPRBlocks: 0
; NumSGPRsForWavesPerEU: 14
; NumVGPRsForWavesPerEU: 3
; NamedBarCnt: 0
; Occupancy: 16
; WaveLimiterHint : 0
; COMPUTE_PGM_RSRC2:SCRATCH_EN: 0
; COMPUTE_PGM_RSRC2:USER_SGPR: 2
; COMPUTE_PGM_RSRC2:TRAP_HANDLER: 0
; COMPUTE_PGM_RSRC2:TGID_X_EN: 1
; COMPUTE_PGM_RSRC2:TGID_Y_EN: 1
; COMPUTE_PGM_RSRC2:TGID_Z_EN: 1
; COMPUTE_PGM_RSRC2:TIDIG_COMP_CNT: 1
	.section	.text._ZN9rocsolver6v33100L14copy_trans_matIffPfS2_NS0_7no_maskEEEv18rocblas_operation_iiT1_iilT2_iilT3_13rocblas_fill_17rocblas_diagonal_,"axG",@progbits,_ZN9rocsolver6v33100L14copy_trans_matIffPfS2_NS0_7no_maskEEEv18rocblas_operation_iiT1_iilT2_iilT3_13rocblas_fill_17rocblas_diagonal_,comdat
	.globl	_ZN9rocsolver6v33100L14copy_trans_matIffPfS2_NS0_7no_maskEEEv18rocblas_operation_iiT1_iilT2_iilT3_13rocblas_fill_17rocblas_diagonal_ ; -- Begin function _ZN9rocsolver6v33100L14copy_trans_matIffPfS2_NS0_7no_maskEEEv18rocblas_operation_iiT1_iilT2_iilT3_13rocblas_fill_17rocblas_diagonal_
	.p2align	8
	.type	_ZN9rocsolver6v33100L14copy_trans_matIffPfS2_NS0_7no_maskEEEv18rocblas_operation_iiT1_iilT2_iilT3_13rocblas_fill_17rocblas_diagonal_,@function
_ZN9rocsolver6v33100L14copy_trans_matIffPfS2_NS0_7no_maskEEEv18rocblas_operation_iiT1_iilT2_iilT3_13rocblas_fill_17rocblas_diagonal_: ; @_ZN9rocsolver6v33100L14copy_trans_matIffPfS2_NS0_7no_maskEEEv18rocblas_operation_iiT1_iilT2_iilT3_13rocblas_fill_17rocblas_diagonal_
; %bb.0:
	s_clause 0x1
	s_load_b32 s2, s[0:1], 0x5c
	s_load_b96 s[12:14], s[0:1], 0x0
	s_bfe_u32 s4, ttmp6, 0x4000c
	s_bfe_u32 s6, ttmp6, 0x40010
	s_and_b32 s5, ttmp7, 0xffff
	s_add_co_i32 s4, s4, 1
	s_add_co_i32 s6, s6, 1
	s_and_b32 s3, ttmp6, 15
	s_bfe_u32 s7, ttmp6, 0x40004
	s_mul_i32 s4, ttmp9, s4
	s_mul_i32 s6, s5, s6
	s_getreg_b32 s15, hwreg(HW_REG_IB_STS2, 6, 4)
	v_bfe_u32 v1, v0, 10, 10
	v_and_b32_e32 v0, 0x3ff, v0
	s_add_co_i32 s3, s3, s4
	s_add_co_i32 s7, s7, s6
	s_wait_kmcnt 0x0
	s_lshr_b32 s4, s2, 16
	s_and_b32 s2, s2, 0xffff
	s_cmp_eq_u32 s15, 0
	s_cselect_b32 s3, ttmp9, s3
	s_cselect_b32 s5, s5, s7
	v_mad_u32 v0, s3, s2, v0
	v_mad_u32 v1, s5, s4, v1
	s_delay_alu instid0(VALU_DEP_2) | instskip(NEXT) | instid1(VALU_DEP_2)
	v_cmp_gt_u32_e32 vcc_lo, s13, v0
	v_cmp_gt_u32_e64 s2, s14, v1
	s_and_b32 s2, s2, vcc_lo
	s_delay_alu instid0(SALU_CYCLE_1)
	s_and_saveexec_b32 s3, s2
	s_cbranch_execz .LBB41_24
; %bb.1:
	s_load_b64 s[4:5], s[0:1], 0x44
	s_wait_kmcnt 0x0
	s_cmp_lt_i32 s4, 0x7a
	s_cbranch_scc1 .LBB41_4
; %bb.2:
	s_cmp_gt_i32 s4, 0x7a
	s_cbranch_scc0 .LBB41_5
; %bb.3:
	s_cmp_lg_u32 s4, 0x7b
	s_mov_b32 s3, -1
	s_cselect_b32 s6, -1, 0
	s_cbranch_execz .LBB41_6
	s_branch .LBB41_7
.LBB41_4:
	s_mov_b32 s6, 0
	s_mov_b32 s3, 0
	s_cbranch_execnz .LBB41_8
	s_branch .LBB41_10
.LBB41_5:
	s_mov_b32 s3, 0
	s_mov_b32 s6, 0
.LBB41_6:
	v_cmp_gt_u32_e32 vcc_lo, v0, v1
	v_cmp_le_u32_e64 s2, v0, v1
	s_and_not1_b32 s3, s3, exec_lo
	s_and_not1_b32 s6, s6, exec_lo
	s_and_b32 s7, vcc_lo, exec_lo
	s_and_b32 s2, s2, exec_lo
	s_or_b32 s3, s3, s7
	s_or_b32 s6, s6, s2
.LBB41_7:
	s_branch .LBB41_10
.LBB41_8:
	s_cmp_eq_u32 s4, 0x79
	s_mov_b32 s6, -1
	s_cbranch_scc0 .LBB41_10
; %bb.9:
	v_cmp_gt_u32_e32 vcc_lo, v1, v0
	v_cmp_le_u32_e64 s2, v1, v0
	s_and_not1_b32 s3, s3, exec_lo
	s_and_b32 s4, vcc_lo, exec_lo
	s_or_not1_b32 s6, s2, exec_lo
	s_or_b32 s3, s3, s4
.LBB41_10:
	s_and_saveexec_b32 s2, s6
; %bb.11:
	v_cmp_eq_u32_e32 vcc_lo, v0, v1
	s_cmp_eq_u32 s5, 0x83
	s_cselect_b32 s4, -1, 0
	s_and_not1_b32 s3, s3, exec_lo
	s_and_b32 s4, s4, vcc_lo
	s_delay_alu instid0(SALU_CYCLE_1) | instskip(NEXT) | instid1(SALU_CYCLE_1)
	s_and_b32 s4, s4, exec_lo
	s_or_b32 s3, s3, s4
; %bb.12:
	s_or_b32 exec_lo, exec_lo, s2
	s_delay_alu instid0(SALU_CYCLE_1)
	s_and_b32 exec_lo, exec_lo, s3
	s_cbranch_execz .LBB41_24
; %bb.13:
	s_load_b256 s[4:11], s[0:1], 0x10
	s_bfe_u32 s2, ttmp6, 0x40014
	s_lshr_b32 s14, ttmp7, 16
	s_add_co_i32 s2, s2, 1
	s_bfe_u32 s16, ttmp6, 0x40008
	s_mul_i32 s2, s14, s2
	s_mov_b32 s13, 0
	s_add_co_i32 s16, s16, s2
	s_mov_b32 s3, s13
	s_wait_kmcnt 0x0
	s_ashr_i32 s17, s6, 31
	s_cmp_eq_u32 s15, 0
	v_mad_u32 v2, v1, s7, v0
	s_cselect_b32 s2, s14, s16
	s_mov_b32 s16, s6
	s_mul_u64 s[8:9], s[8:9], s[2:3]
	s_lshl_b64 s[6:7], s[16:17], 2
	s_lshl_b64 s[8:9], s[8:9], 2
	s_cmp_lt_i32 s12, 0x71
	s_add_nc_u64 s[4:5], s[4:5], s[8:9]
	s_delay_alu instid0(SALU_CYCLE_1)
	s_add_nc_u64 s[4:5], s[4:5], s[6:7]
	global_load_b32 v2, v2, s[4:5] scale_offset
	s_wait_xcnt 0x0
	s_load_b64 s[4:5], s[0:1], 0x30
	s_cbranch_scc1 .LBB41_16
; %bb.14:
	s_cmp_eq_u32 s12, 0x71
	s_cbranch_scc0 .LBB41_17
; %bb.15:
	s_wait_kmcnt 0x0
	v_mad_u32 v3, v0, s5, v1
	s_mov_b32 s6, 0
	s_branch .LBB41_18
.LBB41_16:
	s_mov_b32 s6, 0
                                        ; implicit-def: $vgpr3
	s_cbranch_execnz .LBB41_19
	s_branch .LBB41_20
.LBB41_17:
	s_mov_b32 s6, -1
                                        ; implicit-def: $vgpr3
.LBB41_18:
	s_branch .LBB41_20
.LBB41_19:
	s_cmp_lg_u32 s12, 0x70
	s_mov_b32 s13, -1
	s_cselect_b32 s6, -1, 0
.LBB41_20:
	s_delay_alu instid0(SALU_CYCLE_1)
	s_and_not1_b32 vcc_lo, exec_lo, s6
	s_cbranch_vccz .LBB41_25
; %bb.21:
	s_and_not1_b32 vcc_lo, exec_lo, s13
	s_cbranch_vccnz .LBB41_23
.LBB41_22:
	s_wait_kmcnt 0x0
	v_mad_u32 v3, v0, s5, v1
.LBB41_23:
	s_wait_xcnt 0x0
	s_load_b64 s[0:1], s[0:1], 0x38
	s_wait_kmcnt 0x0
	s_ashr_i32 s5, s4, 31
	s_mul_u64 s[0:1], s[0:1], s[2:3]
	s_lshl_b64 s[2:3], s[4:5], 2
	s_lshl_b64 s[0:1], s[0:1], 2
	s_delay_alu instid0(SALU_CYCLE_1) | instskip(NEXT) | instid1(SALU_CYCLE_1)
	s_add_nc_u64 s[0:1], s[10:11], s[0:1]
	s_add_nc_u64 s[0:1], s[0:1], s[2:3]
	s_wait_loadcnt 0x0
	global_store_b32 v3, v2, s[0:1] scale_offset
.LBB41_24:
	s_endpgm
.LBB41_25:
	s_wait_kmcnt 0x0
	v_mad_u32 v3, v1, s5, v0
	s_cbranch_execz .LBB41_22
	s_branch .LBB41_23
	.section	.rodata,"a",@progbits
	.p2align	6, 0x0
	.amdhsa_kernel _ZN9rocsolver6v33100L14copy_trans_matIffPfS2_NS0_7no_maskEEEv18rocblas_operation_iiT1_iilT2_iilT3_13rocblas_fill_17rocblas_diagonal_
		.amdhsa_group_segment_fixed_size 0
		.amdhsa_private_segment_fixed_size 0
		.amdhsa_kernarg_size 336
		.amdhsa_user_sgpr_count 2
		.amdhsa_user_sgpr_dispatch_ptr 0
		.amdhsa_user_sgpr_queue_ptr 0
		.amdhsa_user_sgpr_kernarg_segment_ptr 1
		.amdhsa_user_sgpr_dispatch_id 0
		.amdhsa_user_sgpr_kernarg_preload_length 0
		.amdhsa_user_sgpr_kernarg_preload_offset 0
		.amdhsa_user_sgpr_private_segment_size 0
		.amdhsa_wavefront_size32 1
		.amdhsa_uses_dynamic_stack 0
		.amdhsa_enable_private_segment 0
		.amdhsa_system_sgpr_workgroup_id_x 1
		.amdhsa_system_sgpr_workgroup_id_y 1
		.amdhsa_system_sgpr_workgroup_id_z 1
		.amdhsa_system_sgpr_workgroup_info 0
		.amdhsa_system_vgpr_workitem_id 1
		.amdhsa_next_free_vgpr 4
		.amdhsa_next_free_sgpr 18
		.amdhsa_named_barrier_count 0
		.amdhsa_reserve_vcc 1
		.amdhsa_float_round_mode_32 0
		.amdhsa_float_round_mode_16_64 0
		.amdhsa_float_denorm_mode_32 3
		.amdhsa_float_denorm_mode_16_64 3
		.amdhsa_fp16_overflow 0
		.amdhsa_memory_ordered 1
		.amdhsa_forward_progress 1
		.amdhsa_inst_pref_size 6
		.amdhsa_round_robin_scheduling 0
		.amdhsa_exception_fp_ieee_invalid_op 0
		.amdhsa_exception_fp_denorm_src 0
		.amdhsa_exception_fp_ieee_div_zero 0
		.amdhsa_exception_fp_ieee_overflow 0
		.amdhsa_exception_fp_ieee_underflow 0
		.amdhsa_exception_fp_ieee_inexact 0
		.amdhsa_exception_int_div_zero 0
	.end_amdhsa_kernel
	.section	.text._ZN9rocsolver6v33100L14copy_trans_matIffPfS2_NS0_7no_maskEEEv18rocblas_operation_iiT1_iilT2_iilT3_13rocblas_fill_17rocblas_diagonal_,"axG",@progbits,_ZN9rocsolver6v33100L14copy_trans_matIffPfS2_NS0_7no_maskEEEv18rocblas_operation_iiT1_iilT2_iilT3_13rocblas_fill_17rocblas_diagonal_,comdat
.Lfunc_end41:
	.size	_ZN9rocsolver6v33100L14copy_trans_matIffPfS2_NS0_7no_maskEEEv18rocblas_operation_iiT1_iilT2_iilT3_13rocblas_fill_17rocblas_diagonal_, .Lfunc_end41-_ZN9rocsolver6v33100L14copy_trans_matIffPfS2_NS0_7no_maskEEEv18rocblas_operation_iiT1_iilT2_iilT3_13rocblas_fill_17rocblas_diagonal_
                                        ; -- End function
	.set _ZN9rocsolver6v33100L14copy_trans_matIffPfS2_NS0_7no_maskEEEv18rocblas_operation_iiT1_iilT2_iilT3_13rocblas_fill_17rocblas_diagonal_.num_vgpr, 4
	.set _ZN9rocsolver6v33100L14copy_trans_matIffPfS2_NS0_7no_maskEEEv18rocblas_operation_iiT1_iilT2_iilT3_13rocblas_fill_17rocblas_diagonal_.num_agpr, 0
	.set _ZN9rocsolver6v33100L14copy_trans_matIffPfS2_NS0_7no_maskEEEv18rocblas_operation_iiT1_iilT2_iilT3_13rocblas_fill_17rocblas_diagonal_.numbered_sgpr, 18
	.set _ZN9rocsolver6v33100L14copy_trans_matIffPfS2_NS0_7no_maskEEEv18rocblas_operation_iiT1_iilT2_iilT3_13rocblas_fill_17rocblas_diagonal_.num_named_barrier, 0
	.set _ZN9rocsolver6v33100L14copy_trans_matIffPfS2_NS0_7no_maskEEEv18rocblas_operation_iiT1_iilT2_iilT3_13rocblas_fill_17rocblas_diagonal_.private_seg_size, 0
	.set _ZN9rocsolver6v33100L14copy_trans_matIffPfS2_NS0_7no_maskEEEv18rocblas_operation_iiT1_iilT2_iilT3_13rocblas_fill_17rocblas_diagonal_.uses_vcc, 1
	.set _ZN9rocsolver6v33100L14copy_trans_matIffPfS2_NS0_7no_maskEEEv18rocblas_operation_iiT1_iilT2_iilT3_13rocblas_fill_17rocblas_diagonal_.uses_flat_scratch, 0
	.set _ZN9rocsolver6v33100L14copy_trans_matIffPfS2_NS0_7no_maskEEEv18rocblas_operation_iiT1_iilT2_iilT3_13rocblas_fill_17rocblas_diagonal_.has_dyn_sized_stack, 0
	.set _ZN9rocsolver6v33100L14copy_trans_matIffPfS2_NS0_7no_maskEEEv18rocblas_operation_iiT1_iilT2_iilT3_13rocblas_fill_17rocblas_diagonal_.has_recursion, 0
	.set _ZN9rocsolver6v33100L14copy_trans_matIffPfS2_NS0_7no_maskEEEv18rocblas_operation_iiT1_iilT2_iilT3_13rocblas_fill_17rocblas_diagonal_.has_indirect_call, 0
	.section	.AMDGPU.csdata,"",@progbits
; Kernel info:
; codeLenInByte = 720
; TotalNumSgprs: 20
; NumVgprs: 4
; ScratchSize: 0
; MemoryBound: 0
; FloatMode: 240
; IeeeMode: 1
; LDSByteSize: 0 bytes/workgroup (compile time only)
; SGPRBlocks: 0
; VGPRBlocks: 0
; NumSGPRsForWavesPerEU: 20
; NumVGPRsForWavesPerEU: 4
; NamedBarCnt: 0
; Occupancy: 16
; WaveLimiterHint : 0
; COMPUTE_PGM_RSRC2:SCRATCH_EN: 0
; COMPUTE_PGM_RSRC2:USER_SGPR: 2
; COMPUTE_PGM_RSRC2:TRAP_HANDLER: 0
; COMPUTE_PGM_RSRC2:TGID_X_EN: 1
; COMPUTE_PGM_RSRC2:TGID_Y_EN: 1
; COMPUTE_PGM_RSRC2:TGID_Z_EN: 1
; COMPUTE_PGM_RSRC2:TIDIG_COMP_CNT: 1
	.section	.text._ZN9rocsolver6v33100L16orgl2_init_identIfPfEEviiiT0_iil,"axG",@progbits,_ZN9rocsolver6v33100L16orgl2_init_identIfPfEEviiiT0_iil,comdat
	.globl	_ZN9rocsolver6v33100L16orgl2_init_identIfPfEEviiiT0_iil ; -- Begin function _ZN9rocsolver6v33100L16orgl2_init_identIfPfEEviiiT0_iil
	.p2align	8
	.type	_ZN9rocsolver6v33100L16orgl2_init_identIfPfEEviiiT0_iil,@function
_ZN9rocsolver6v33100L16orgl2_init_identIfPfEEviiiT0_iil: ; @_ZN9rocsolver6v33100L16orgl2_init_identIfPfEEviiiT0_iil
; %bb.0:
	s_clause 0x1
	s_load_b32 s2, s[0:1], 0x34
	s_load_b96 s[4:6], s[0:1], 0x0
	s_bfe_u32 s8, ttmp6, 0x4000c
	s_bfe_u32 s10, ttmp6, 0x40010
	s_and_b32 s9, ttmp7, 0xffff
	s_add_co_i32 s8, s8, 1
	s_add_co_i32 s10, s10, 1
	s_and_b32 s3, ttmp6, 15
	s_bfe_u32 s11, ttmp6, 0x40004
	s_mul_i32 s8, ttmp9, s8
	s_mul_i32 s10, s9, s10
	s_getreg_b32 s7, hwreg(HW_REG_IB_STS2, 6, 4)
	v_bfe_u32 v1, v0, 10, 10
	v_and_b32_e32 v0, 0x3ff, v0
	s_add_co_i32 s3, s3, s8
	s_add_co_i32 s11, s11, s10
	s_wait_kmcnt 0x0
	s_lshr_b32 s8, s2, 16
	s_and_b32 s2, s2, 0xffff
	s_cmp_eq_u32 s7, 0
	s_cselect_b32 s3, ttmp9, s3
	s_cselect_b32 s9, s9, s11
	v_mad_u32 v2, s3, s2, v0
	v_mad_u32 v1, s9, s8, v1
	s_delay_alu instid0(VALU_DEP_2) | instskip(NEXT) | instid1(VALU_DEP_2)
	v_cmp_gt_u32_e32 vcc_lo, s4, v2
	v_cmp_gt_u32_e64 s2, s5, v1
	s_mov_b32 s5, 0
	s_and_b32 s2, vcc_lo, s2
	s_delay_alu instid0(SALU_CYCLE_1)
	s_and_saveexec_b32 s3, s2
	s_cbranch_execz .LBB42_5
; %bb.1:
	s_load_b64 s[2:3], s[0:1], 0x18
	s_mov_b32 s4, exec_lo
                                        ; implicit-def: $vgpr0
	v_cmpx_ne_u32_e64 v2, v1
	s_xor_b32 s4, exec_lo, s4
	s_cbranch_execnz .LBB42_6
; %bb.2:
	s_or_saveexec_b32 s4, s4
	v_mov_b32_e32 v2, 0
	s_xor_b32 exec_lo, exec_lo, s4
	s_cbranch_execnz .LBB42_13
.LBB42_3:
	s_or_b32 exec_lo, exec_lo, s4
	s_delay_alu instid0(SALU_CYCLE_1)
	s_and_b32 exec_lo, exec_lo, s5
	s_cbranch_execz .LBB42_5
.LBB42_4:
	s_clause 0x1
	s_load_b64 s[4:5], s[0:1], 0x20
	s_load_b64 s[8:9], s[0:1], 0x10
	s_wait_xcnt 0x0
	s_bfe_u32 s0, ttmp6, 0x40014
	s_lshr_b32 s6, ttmp7, 16
	s_add_co_i32 s0, s0, 1
	s_bfe_u32 s1, ttmp6, 0x40008
	s_mul_i32 s0, s6, s0
	s_wait_kmcnt 0x0
	s_ashr_i32 s3, s2, 31
	s_add_co_i32 s0, s1, s0
	s_cmp_eq_u32 s7, 0
	s_mov_b32 s1, 0
	s_cselect_b32 s0, s6, s0
	s_lshl_b64 s[2:3], s[2:3], 2
	s_mul_u64 s[0:1], s[4:5], s[0:1]
	s_delay_alu instid0(SALU_CYCLE_1) | instskip(NEXT) | instid1(SALU_CYCLE_1)
	s_lshl_b64 s[0:1], s[0:1], 2
	s_add_nc_u64 s[0:1], s[8:9], s[0:1]
	s_delay_alu instid0(SALU_CYCLE_1)
	s_add_nc_u64 s[0:1], s[0:1], s[2:3]
	global_store_b32 v0, v2, s[0:1] scale_offset
.LBB42_5:
	s_endpgm
.LBB42_6:
	s_mov_b32 s8, exec_lo
                                        ; implicit-def: $vgpr0
	v_cmpx_ge_u32_e64 v1, v2
	s_xor_b32 s8, exec_lo, s8
	s_cbranch_execz .LBB42_10
; %bb.7:
	v_cmp_le_u32_e32 vcc_lo, s6, v2
                                        ; implicit-def: $vgpr0
	s_and_saveexec_b32 s6, vcc_lo
	s_delay_alu instid0(SALU_CYCLE_1)
	s_xor_b32 s6, exec_lo, s6
	s_cbranch_execz .LBB42_9
; %bb.8:
	s_wait_kmcnt 0x0
	v_mad_u32 v0, v1, s3, v2
	s_mov_b32 s5, exec_lo
.LBB42_9:
	s_or_b32 exec_lo, exec_lo, s6
	s_delay_alu instid0(SALU_CYCLE_1)
	s_and_b32 s5, s5, exec_lo
                                        ; implicit-def: $vgpr1
                                        ; implicit-def: $vgpr2
.LBB42_10:
	s_and_not1_saveexec_b32 s6, s8
	s_cbranch_execz .LBB42_12
; %bb.11:
	s_wait_kmcnt 0x0
	v_mad_u32 v0, v1, s3, v2
	s_or_b32 s5, s5, exec_lo
.LBB42_12:
	s_or_b32 exec_lo, exec_lo, s6
	s_delay_alu instid0(SALU_CYCLE_1)
	s_and_b32 s5, s5, exec_lo
                                        ; implicit-def: $vgpr1
	s_or_saveexec_b32 s4, s4
	v_mov_b32_e32 v2, 0
	s_xor_b32 exec_lo, exec_lo, s4
	s_cbranch_execz .LBB42_3
.LBB42_13:
	s_wait_kmcnt 0x0
	v_mad_u32 v0, v1, s3, v1
	v_mov_b32_e32 v2, 1.0
	s_or_b32 s5, s5, exec_lo
	s_or_b32 exec_lo, exec_lo, s4
	s_delay_alu instid0(SALU_CYCLE_1)
	s_and_b32 exec_lo, exec_lo, s5
	s_cbranch_execnz .LBB42_4
	s_branch .LBB42_5
	.section	.rodata,"a",@progbits
	.p2align	6, 0x0
	.amdhsa_kernel _ZN9rocsolver6v33100L16orgl2_init_identIfPfEEviiiT0_iil
		.amdhsa_group_segment_fixed_size 0
		.amdhsa_private_segment_fixed_size 0
		.amdhsa_kernarg_size 296
		.amdhsa_user_sgpr_count 2
		.amdhsa_user_sgpr_dispatch_ptr 0
		.amdhsa_user_sgpr_queue_ptr 0
		.amdhsa_user_sgpr_kernarg_segment_ptr 1
		.amdhsa_user_sgpr_dispatch_id 0
		.amdhsa_user_sgpr_kernarg_preload_length 0
		.amdhsa_user_sgpr_kernarg_preload_offset 0
		.amdhsa_user_sgpr_private_segment_size 0
		.amdhsa_wavefront_size32 1
		.amdhsa_uses_dynamic_stack 0
		.amdhsa_enable_private_segment 0
		.amdhsa_system_sgpr_workgroup_id_x 1
		.amdhsa_system_sgpr_workgroup_id_y 1
		.amdhsa_system_sgpr_workgroup_id_z 1
		.amdhsa_system_sgpr_workgroup_info 0
		.amdhsa_system_vgpr_workitem_id 1
		.amdhsa_next_free_vgpr 3
		.amdhsa_next_free_sgpr 12
		.amdhsa_named_barrier_count 0
		.amdhsa_reserve_vcc 1
		.amdhsa_float_round_mode_32 0
		.amdhsa_float_round_mode_16_64 0
		.amdhsa_float_denorm_mode_32 3
		.amdhsa_float_denorm_mode_16_64 3
		.amdhsa_fp16_overflow 0
		.amdhsa_memory_ordered 1
		.amdhsa_forward_progress 1
		.amdhsa_inst_pref_size 5
		.amdhsa_round_robin_scheduling 0
		.amdhsa_exception_fp_ieee_invalid_op 0
		.amdhsa_exception_fp_denorm_src 0
		.amdhsa_exception_fp_ieee_div_zero 0
		.amdhsa_exception_fp_ieee_overflow 0
		.amdhsa_exception_fp_ieee_underflow 0
		.amdhsa_exception_fp_ieee_inexact 0
		.amdhsa_exception_int_div_zero 0
	.end_amdhsa_kernel
	.section	.text._ZN9rocsolver6v33100L16orgl2_init_identIfPfEEviiiT0_iil,"axG",@progbits,_ZN9rocsolver6v33100L16orgl2_init_identIfPfEEviiiT0_iil,comdat
.Lfunc_end42:
	.size	_ZN9rocsolver6v33100L16orgl2_init_identIfPfEEviiiT0_iil, .Lfunc_end42-_ZN9rocsolver6v33100L16orgl2_init_identIfPfEEviiiT0_iil
                                        ; -- End function
	.set _ZN9rocsolver6v33100L16orgl2_init_identIfPfEEviiiT0_iil.num_vgpr, 3
	.set _ZN9rocsolver6v33100L16orgl2_init_identIfPfEEviiiT0_iil.num_agpr, 0
	.set _ZN9rocsolver6v33100L16orgl2_init_identIfPfEEviiiT0_iil.numbered_sgpr, 12
	.set _ZN9rocsolver6v33100L16orgl2_init_identIfPfEEviiiT0_iil.num_named_barrier, 0
	.set _ZN9rocsolver6v33100L16orgl2_init_identIfPfEEviiiT0_iil.private_seg_size, 0
	.set _ZN9rocsolver6v33100L16orgl2_init_identIfPfEEviiiT0_iil.uses_vcc, 1
	.set _ZN9rocsolver6v33100L16orgl2_init_identIfPfEEviiiT0_iil.uses_flat_scratch, 0
	.set _ZN9rocsolver6v33100L16orgl2_init_identIfPfEEviiiT0_iil.has_dyn_sized_stack, 0
	.set _ZN9rocsolver6v33100L16orgl2_init_identIfPfEEviiiT0_iil.has_recursion, 0
	.set _ZN9rocsolver6v33100L16orgl2_init_identIfPfEEviiiT0_iil.has_indirect_call, 0
	.section	.AMDGPU.csdata,"",@progbits
; Kernel info:
; codeLenInByte = 520
; TotalNumSgprs: 14
; NumVgprs: 3
; ScratchSize: 0
; MemoryBound: 0
; FloatMode: 240
; IeeeMode: 1
; LDSByteSize: 0 bytes/workgroup (compile time only)
; SGPRBlocks: 0
; VGPRBlocks: 0
; NumSGPRsForWavesPerEU: 14
; NumVGPRsForWavesPerEU: 3
; NamedBarCnt: 0
; Occupancy: 16
; WaveLimiterHint : 0
; COMPUTE_PGM_RSRC2:SCRATCH_EN: 0
; COMPUTE_PGM_RSRC2:USER_SGPR: 2
; COMPUTE_PGM_RSRC2:TRAP_HANDLER: 0
; COMPUTE_PGM_RSRC2:TGID_X_EN: 1
; COMPUTE_PGM_RSRC2:TGID_Y_EN: 1
; COMPUTE_PGM_RSRC2:TGID_Z_EN: 1
; COMPUTE_PGM_RSRC2:TIDIG_COMP_CNT: 1
	.section	.text._ZN9rocsolver6v33100L6iota_nIdEEvPT_jS2_,"axG",@progbits,_ZN9rocsolver6v33100L6iota_nIdEEvPT_jS2_,comdat
	.globl	_ZN9rocsolver6v33100L6iota_nIdEEvPT_jS2_ ; -- Begin function _ZN9rocsolver6v33100L6iota_nIdEEvPT_jS2_
	.p2align	8
	.type	_ZN9rocsolver6v33100L6iota_nIdEEvPT_jS2_,@function
_ZN9rocsolver6v33100L6iota_nIdEEvPT_jS2_: ; @_ZN9rocsolver6v33100L6iota_nIdEEvPT_jS2_
; %bb.0:
	s_load_b32 s2, s[0:1], 0x8
	s_wait_kmcnt 0x0
	v_cmp_gt_u32_e32 vcc_lo, s2, v0
	s_and_saveexec_b32 s2, vcc_lo
	s_cbranch_execz .LBB43_2
; %bb.1:
	v_cvt_f64_u32_e32 v[2:3], v0
	s_load_b64 s[2:3], s[0:1], 0x10
	s_wait_kmcnt 0x0
	s_delay_alu instid0(VALU_DEP_1)
	v_add_f64_e32 v[2:3], s[2:3], v[2:3]
	s_load_b64 s[0:1], s[0:1], 0x0
	s_wait_kmcnt 0x0
	global_store_b64 v0, v[2:3], s[0:1] scale_offset
.LBB43_2:
	s_endpgm
	.section	.rodata,"a",@progbits
	.p2align	6, 0x0
	.amdhsa_kernel _ZN9rocsolver6v33100L6iota_nIdEEvPT_jS2_
		.amdhsa_group_segment_fixed_size 0
		.amdhsa_private_segment_fixed_size 0
		.amdhsa_kernarg_size 24
		.amdhsa_user_sgpr_count 2
		.amdhsa_user_sgpr_dispatch_ptr 0
		.amdhsa_user_sgpr_queue_ptr 0
		.amdhsa_user_sgpr_kernarg_segment_ptr 1
		.amdhsa_user_sgpr_dispatch_id 0
		.amdhsa_user_sgpr_kernarg_preload_length 0
		.amdhsa_user_sgpr_kernarg_preload_offset 0
		.amdhsa_user_sgpr_private_segment_size 0
		.amdhsa_wavefront_size32 1
		.amdhsa_uses_dynamic_stack 0
		.amdhsa_enable_private_segment 0
		.amdhsa_system_sgpr_workgroup_id_x 1
		.amdhsa_system_sgpr_workgroup_id_y 0
		.amdhsa_system_sgpr_workgroup_id_z 0
		.amdhsa_system_sgpr_workgroup_info 0
		.amdhsa_system_vgpr_workitem_id 0
		.amdhsa_next_free_vgpr 4
		.amdhsa_next_free_sgpr 4
		.amdhsa_named_barrier_count 0
		.amdhsa_reserve_vcc 1
		.amdhsa_float_round_mode_32 0
		.amdhsa_float_round_mode_16_64 0
		.amdhsa_float_denorm_mode_32 3
		.amdhsa_float_denorm_mode_16_64 3
		.amdhsa_fp16_overflow 0
		.amdhsa_memory_ordered 1
		.amdhsa_forward_progress 1
		.amdhsa_inst_pref_size 1
		.amdhsa_round_robin_scheduling 0
		.amdhsa_exception_fp_ieee_invalid_op 0
		.amdhsa_exception_fp_denorm_src 0
		.amdhsa_exception_fp_ieee_div_zero 0
		.amdhsa_exception_fp_ieee_overflow 0
		.amdhsa_exception_fp_ieee_underflow 0
		.amdhsa_exception_fp_ieee_inexact 0
		.amdhsa_exception_int_div_zero 0
	.end_amdhsa_kernel
	.section	.text._ZN9rocsolver6v33100L6iota_nIdEEvPT_jS2_,"axG",@progbits,_ZN9rocsolver6v33100L6iota_nIdEEvPT_jS2_,comdat
.Lfunc_end43:
	.size	_ZN9rocsolver6v33100L6iota_nIdEEvPT_jS2_, .Lfunc_end43-_ZN9rocsolver6v33100L6iota_nIdEEvPT_jS2_
                                        ; -- End function
	.set _ZN9rocsolver6v33100L6iota_nIdEEvPT_jS2_.num_vgpr, 4
	.set _ZN9rocsolver6v33100L6iota_nIdEEvPT_jS2_.num_agpr, 0
	.set _ZN9rocsolver6v33100L6iota_nIdEEvPT_jS2_.numbered_sgpr, 4
	.set _ZN9rocsolver6v33100L6iota_nIdEEvPT_jS2_.num_named_barrier, 0
	.set _ZN9rocsolver6v33100L6iota_nIdEEvPT_jS2_.private_seg_size, 0
	.set _ZN9rocsolver6v33100L6iota_nIdEEvPT_jS2_.uses_vcc, 1
	.set _ZN9rocsolver6v33100L6iota_nIdEEvPT_jS2_.uses_flat_scratch, 0
	.set _ZN9rocsolver6v33100L6iota_nIdEEvPT_jS2_.has_dyn_sized_stack, 0
	.set _ZN9rocsolver6v33100L6iota_nIdEEvPT_jS2_.has_recursion, 0
	.set _ZN9rocsolver6v33100L6iota_nIdEEvPT_jS2_.has_indirect_call, 0
	.section	.AMDGPU.csdata,"",@progbits
; Kernel info:
; codeLenInByte = 76
; TotalNumSgprs: 6
; NumVgprs: 4
; ScratchSize: 0
; MemoryBound: 0
; FloatMode: 240
; IeeeMode: 1
; LDSByteSize: 0 bytes/workgroup (compile time only)
; SGPRBlocks: 0
; VGPRBlocks: 0
; NumSGPRsForWavesPerEU: 6
; NumVGPRsForWavesPerEU: 4
; NamedBarCnt: 0
; Occupancy: 16
; WaveLimiterHint : 0
; COMPUTE_PGM_RSRC2:SCRATCH_EN: 0
; COMPUTE_PGM_RSRC2:USER_SGPR: 2
; COMPUTE_PGM_RSRC2:TRAP_HANDLER: 0
; COMPUTE_PGM_RSRC2:TGID_X_EN: 1
; COMPUTE_PGM_RSRC2:TGID_Y_EN: 0
; COMPUTE_PGM_RSRC2:TGID_Z_EN: 0
; COMPUTE_PGM_RSRC2:TIDIG_COMP_CNT: 0
	.section	.text._ZN9rocsolver6v33100L10reset_infoIdiiEEvPT_T0_T1_S4_,"axG",@progbits,_ZN9rocsolver6v33100L10reset_infoIdiiEEvPT_T0_T1_S4_,comdat
	.globl	_ZN9rocsolver6v33100L10reset_infoIdiiEEvPT_T0_T1_S4_ ; -- Begin function _ZN9rocsolver6v33100L10reset_infoIdiiEEvPT_T0_T1_S4_
	.p2align	8
	.type	_ZN9rocsolver6v33100L10reset_infoIdiiEEvPT_T0_T1_S4_,@function
_ZN9rocsolver6v33100L10reset_infoIdiiEEvPT_T0_T1_S4_: ; @_ZN9rocsolver6v33100L10reset_infoIdiiEEvPT_T0_T1_S4_
; %bb.0:
	s_clause 0x1
	s_load_b32 s2, s[0:1], 0x24
	s_load_b96 s[4:6], s[0:1], 0x8
	s_bfe_u32 s3, ttmp6, 0x4000c
	s_and_b32 s7, ttmp6, 15
	s_add_co_i32 s3, s3, 1
	s_getreg_b32 s8, hwreg(HW_REG_IB_STS2, 6, 4)
	s_mul_i32 s3, ttmp9, s3
	s_delay_alu instid0(SALU_CYCLE_1) | instskip(SKIP_4) | instid1(SALU_CYCLE_1)
	s_add_co_i32 s7, s7, s3
	s_wait_kmcnt 0x0
	s_and_b32 s2, s2, 0xffff
	s_cmp_eq_u32 s8, 0
	s_cselect_b32 s3, ttmp9, s7
	v_mad_u32 v0, s3, s2, v0
	s_mov_b32 s2, exec_lo
	s_delay_alu instid0(VALU_DEP_1)
	v_cmpx_gt_i32_e64 s4, v0
	s_cbranch_execz .LBB44_2
; %bb.1:
	v_mul_lo_u32 v1, v0, s6
	v_cvt_f64_i32_e32 v[2:3], s5
	s_load_b64 s[0:1], s[0:1], 0x0
	s_delay_alu instid0(VALU_DEP_2) | instskip(NEXT) | instid1(VALU_DEP_1)
	v_cvt_f64_i32_e32 v[4:5], v1
	v_add_f64_e32 v[2:3], v[2:3], v[4:5]
	s_wait_kmcnt 0x0
	global_store_b64 v0, v[2:3], s[0:1] scale_offset
.LBB44_2:
	s_endpgm
	.section	.rodata,"a",@progbits
	.p2align	6, 0x0
	.amdhsa_kernel _ZN9rocsolver6v33100L10reset_infoIdiiEEvPT_T0_T1_S4_
		.amdhsa_group_segment_fixed_size 0
		.amdhsa_private_segment_fixed_size 0
		.amdhsa_kernarg_size 280
		.amdhsa_user_sgpr_count 2
		.amdhsa_user_sgpr_dispatch_ptr 0
		.amdhsa_user_sgpr_queue_ptr 0
		.amdhsa_user_sgpr_kernarg_segment_ptr 1
		.amdhsa_user_sgpr_dispatch_id 0
		.amdhsa_user_sgpr_kernarg_preload_length 0
		.amdhsa_user_sgpr_kernarg_preload_offset 0
		.amdhsa_user_sgpr_private_segment_size 0
		.amdhsa_wavefront_size32 1
		.amdhsa_uses_dynamic_stack 0
		.amdhsa_enable_private_segment 0
		.amdhsa_system_sgpr_workgroup_id_x 1
		.amdhsa_system_sgpr_workgroup_id_y 0
		.amdhsa_system_sgpr_workgroup_id_z 0
		.amdhsa_system_sgpr_workgroup_info 0
		.amdhsa_system_vgpr_workitem_id 0
		.amdhsa_next_free_vgpr 6
		.amdhsa_next_free_sgpr 9
		.amdhsa_named_barrier_count 0
		.amdhsa_reserve_vcc 0
		.amdhsa_float_round_mode_32 0
		.amdhsa_float_round_mode_16_64 0
		.amdhsa_float_denorm_mode_32 3
		.amdhsa_float_denorm_mode_16_64 3
		.amdhsa_fp16_overflow 0
		.amdhsa_memory_ordered 1
		.amdhsa_forward_progress 1
		.amdhsa_inst_pref_size 2
		.amdhsa_round_robin_scheduling 0
		.amdhsa_exception_fp_ieee_invalid_op 0
		.amdhsa_exception_fp_denorm_src 0
		.amdhsa_exception_fp_ieee_div_zero 0
		.amdhsa_exception_fp_ieee_overflow 0
		.amdhsa_exception_fp_ieee_underflow 0
		.amdhsa_exception_fp_ieee_inexact 0
		.amdhsa_exception_int_div_zero 0
	.end_amdhsa_kernel
	.section	.text._ZN9rocsolver6v33100L10reset_infoIdiiEEvPT_T0_T1_S4_,"axG",@progbits,_ZN9rocsolver6v33100L10reset_infoIdiiEEvPT_T0_T1_S4_,comdat
.Lfunc_end44:
	.size	_ZN9rocsolver6v33100L10reset_infoIdiiEEvPT_T0_T1_S4_, .Lfunc_end44-_ZN9rocsolver6v33100L10reset_infoIdiiEEvPT_T0_T1_S4_
                                        ; -- End function
	.set _ZN9rocsolver6v33100L10reset_infoIdiiEEvPT_T0_T1_S4_.num_vgpr, 6
	.set _ZN9rocsolver6v33100L10reset_infoIdiiEEvPT_T0_T1_S4_.num_agpr, 0
	.set _ZN9rocsolver6v33100L10reset_infoIdiiEEvPT_T0_T1_S4_.numbered_sgpr, 9
	.set _ZN9rocsolver6v33100L10reset_infoIdiiEEvPT_T0_T1_S4_.num_named_barrier, 0
	.set _ZN9rocsolver6v33100L10reset_infoIdiiEEvPT_T0_T1_S4_.private_seg_size, 0
	.set _ZN9rocsolver6v33100L10reset_infoIdiiEEvPT_T0_T1_S4_.uses_vcc, 0
	.set _ZN9rocsolver6v33100L10reset_infoIdiiEEvPT_T0_T1_S4_.uses_flat_scratch, 0
	.set _ZN9rocsolver6v33100L10reset_infoIdiiEEvPT_T0_T1_S4_.has_dyn_sized_stack, 0
	.set _ZN9rocsolver6v33100L10reset_infoIdiiEEvPT_T0_T1_S4_.has_recursion, 0
	.set _ZN9rocsolver6v33100L10reset_infoIdiiEEvPT_T0_T1_S4_.has_indirect_call, 0
	.section	.AMDGPU.csdata,"",@progbits
; Kernel info:
; codeLenInByte = 152
; TotalNumSgprs: 9
; NumVgprs: 6
; ScratchSize: 0
; MemoryBound: 0
; FloatMode: 240
; IeeeMode: 1
; LDSByteSize: 0 bytes/workgroup (compile time only)
; SGPRBlocks: 0
; VGPRBlocks: 0
; NumSGPRsForWavesPerEU: 9
; NumVGPRsForWavesPerEU: 6
; NamedBarCnt: 0
; Occupancy: 16
; WaveLimiterHint : 0
; COMPUTE_PGM_RSRC2:SCRATCH_EN: 0
; COMPUTE_PGM_RSRC2:USER_SGPR: 2
; COMPUTE_PGM_RSRC2:TRAP_HANDLER: 0
; COMPUTE_PGM_RSRC2:TGID_X_EN: 1
; COMPUTE_PGM_RSRC2:TGID_Y_EN: 0
; COMPUTE_PGM_RSRC2:TGID_Z_EN: 0
; COMPUTE_PGM_RSRC2:TIDIG_COMP_CNT: 0
	.section	.text._ZN9rocsolver6v33100L16syev_scalar_caseIdPdTnNSt9enable_ifIXnt18rocblas_is_complexIT_EEiE4typeELi0EEEv14rocblas_evect_T0_lPS4_li,"axG",@progbits,_ZN9rocsolver6v33100L16syev_scalar_caseIdPdTnNSt9enable_ifIXnt18rocblas_is_complexIT_EEiE4typeELi0EEEv14rocblas_evect_T0_lPS4_li,comdat
	.globl	_ZN9rocsolver6v33100L16syev_scalar_caseIdPdTnNSt9enable_ifIXnt18rocblas_is_complexIT_EEiE4typeELi0EEEv14rocblas_evect_T0_lPS4_li ; -- Begin function _ZN9rocsolver6v33100L16syev_scalar_caseIdPdTnNSt9enable_ifIXnt18rocblas_is_complexIT_EEiE4typeELi0EEEv14rocblas_evect_T0_lPS4_li
	.p2align	8
	.type	_ZN9rocsolver6v33100L16syev_scalar_caseIdPdTnNSt9enable_ifIXnt18rocblas_is_complexIT_EEiE4typeELi0EEEv14rocblas_evect_T0_lPS4_li,@function
_ZN9rocsolver6v33100L16syev_scalar_caseIdPdTnNSt9enable_ifIXnt18rocblas_is_complexIT_EEiE4typeELi0EEEv14rocblas_evect_T0_lPS4_li: ; @_ZN9rocsolver6v33100L16syev_scalar_caseIdPdTnNSt9enable_ifIXnt18rocblas_is_complexIT_EEiE4typeELi0EEEv14rocblas_evect_T0_lPS4_li
; %bb.0:
	s_clause 0x1
	s_load_b32 s2, s[0:1], 0x3c
	s_load_b32 s3, s[0:1], 0x28
	s_bfe_u32 s4, ttmp6, 0x4000c
	s_and_b32 s5, ttmp6, 15
	s_add_co_i32 s4, s4, 1
	s_getreg_b32 s6, hwreg(HW_REG_IB_STS2, 6, 4)
	s_mul_i32 s4, ttmp9, s4
	s_delay_alu instid0(SALU_CYCLE_1) | instskip(SKIP_4) | instid1(SALU_CYCLE_1)
	s_add_co_i32 s5, s5, s4
	s_wait_kmcnt 0x0
	s_and_b32 s2, s2, 0xffff
	s_cmp_eq_u32 s6, 0
	s_cselect_b32 s4, ttmp9, s5
	v_mad_u32 v0, s4, s2, v0
	s_mov_b32 s2, exec_lo
	s_delay_alu instid0(VALU_DEP_1)
	v_cmpx_gt_i32_e64 s3, v0
	s_cbranch_execz .LBB45_3
; %bb.1:
	s_load_b256 s[4:11], s[0:1], 0x8
	v_ashrrev_i32_e32 v1, 31, v0
	s_wait_xcnt 0x0
	s_load_b32 s0, s[0:1], 0x0
	s_wait_kmcnt 0x0
	s_delay_alu instid0(VALU_DEP_1) | instskip(SKIP_2) | instid1(VALU_DEP_2)
	v_mul_u64_e32 v[2:3], s[6:7], v[0:1]
	v_mul_u64_e32 v[0:1], s[10:11], v[0:1]
	s_cmp_lg_u32 s0, 0xd3
	v_lshl_add_u64 v[2:3], v[2:3], 3, s[4:5]
	s_delay_alu instid0(VALU_DEP_2)
	v_lshl_add_u64 v[0:1], v[0:1], 3, s[8:9]
	global_load_b64 v[4:5], v[2:3], off
	s_wait_loadcnt 0x0
	global_store_b64 v[0:1], v[4:5], off
	s_cbranch_scc1 .LBB45_3
; %bb.2:
	s_wait_xcnt 0x0
	v_mov_b64_e32 v[0:1], 1.0
	global_store_b64 v[2:3], v[0:1], off
.LBB45_3:
	s_endpgm
	.section	.rodata,"a",@progbits
	.p2align	6, 0x0
	.amdhsa_kernel _ZN9rocsolver6v33100L16syev_scalar_caseIdPdTnNSt9enable_ifIXnt18rocblas_is_complexIT_EEiE4typeELi0EEEv14rocblas_evect_T0_lPS4_li
		.amdhsa_group_segment_fixed_size 0
		.amdhsa_private_segment_fixed_size 0
		.amdhsa_kernarg_size 304
		.amdhsa_user_sgpr_count 2
		.amdhsa_user_sgpr_dispatch_ptr 0
		.amdhsa_user_sgpr_queue_ptr 0
		.amdhsa_user_sgpr_kernarg_segment_ptr 1
		.amdhsa_user_sgpr_dispatch_id 0
		.amdhsa_user_sgpr_kernarg_preload_length 0
		.amdhsa_user_sgpr_kernarg_preload_offset 0
		.amdhsa_user_sgpr_private_segment_size 0
		.amdhsa_wavefront_size32 1
		.amdhsa_uses_dynamic_stack 0
		.amdhsa_enable_private_segment 0
		.amdhsa_system_sgpr_workgroup_id_x 1
		.amdhsa_system_sgpr_workgroup_id_y 0
		.amdhsa_system_sgpr_workgroup_id_z 0
		.amdhsa_system_sgpr_workgroup_info 0
		.amdhsa_system_vgpr_workitem_id 0
		.amdhsa_next_free_vgpr 6
		.amdhsa_next_free_sgpr 12
		.amdhsa_named_barrier_count 0
		.amdhsa_reserve_vcc 0
		.amdhsa_float_round_mode_32 0
		.amdhsa_float_round_mode_16_64 0
		.amdhsa_float_denorm_mode_32 3
		.amdhsa_float_denorm_mode_16_64 3
		.amdhsa_fp16_overflow 0
		.amdhsa_memory_ordered 1
		.amdhsa_forward_progress 1
		.amdhsa_inst_pref_size 2
		.amdhsa_round_robin_scheduling 0
		.amdhsa_exception_fp_ieee_invalid_op 0
		.amdhsa_exception_fp_denorm_src 0
		.amdhsa_exception_fp_ieee_div_zero 0
		.amdhsa_exception_fp_ieee_overflow 0
		.amdhsa_exception_fp_ieee_underflow 0
		.amdhsa_exception_fp_ieee_inexact 0
		.amdhsa_exception_int_div_zero 0
	.end_amdhsa_kernel
	.section	.text._ZN9rocsolver6v33100L16syev_scalar_caseIdPdTnNSt9enable_ifIXnt18rocblas_is_complexIT_EEiE4typeELi0EEEv14rocblas_evect_T0_lPS4_li,"axG",@progbits,_ZN9rocsolver6v33100L16syev_scalar_caseIdPdTnNSt9enable_ifIXnt18rocblas_is_complexIT_EEiE4typeELi0EEEv14rocblas_evect_T0_lPS4_li,comdat
.Lfunc_end45:
	.size	_ZN9rocsolver6v33100L16syev_scalar_caseIdPdTnNSt9enable_ifIXnt18rocblas_is_complexIT_EEiE4typeELi0EEEv14rocblas_evect_T0_lPS4_li, .Lfunc_end45-_ZN9rocsolver6v33100L16syev_scalar_caseIdPdTnNSt9enable_ifIXnt18rocblas_is_complexIT_EEiE4typeELi0EEEv14rocblas_evect_T0_lPS4_li
                                        ; -- End function
	.set _ZN9rocsolver6v33100L16syev_scalar_caseIdPdTnNSt9enable_ifIXnt18rocblas_is_complexIT_EEiE4typeELi0EEEv14rocblas_evect_T0_lPS4_li.num_vgpr, 6
	.set _ZN9rocsolver6v33100L16syev_scalar_caseIdPdTnNSt9enable_ifIXnt18rocblas_is_complexIT_EEiE4typeELi0EEEv14rocblas_evect_T0_lPS4_li.num_agpr, 0
	.set _ZN9rocsolver6v33100L16syev_scalar_caseIdPdTnNSt9enable_ifIXnt18rocblas_is_complexIT_EEiE4typeELi0EEEv14rocblas_evect_T0_lPS4_li.numbered_sgpr, 12
	.set _ZN9rocsolver6v33100L16syev_scalar_caseIdPdTnNSt9enable_ifIXnt18rocblas_is_complexIT_EEiE4typeELi0EEEv14rocblas_evect_T0_lPS4_li.num_named_barrier, 0
	.set _ZN9rocsolver6v33100L16syev_scalar_caseIdPdTnNSt9enable_ifIXnt18rocblas_is_complexIT_EEiE4typeELi0EEEv14rocblas_evect_T0_lPS4_li.private_seg_size, 0
	.set _ZN9rocsolver6v33100L16syev_scalar_caseIdPdTnNSt9enable_ifIXnt18rocblas_is_complexIT_EEiE4typeELi0EEEv14rocblas_evect_T0_lPS4_li.uses_vcc, 0
	.set _ZN9rocsolver6v33100L16syev_scalar_caseIdPdTnNSt9enable_ifIXnt18rocblas_is_complexIT_EEiE4typeELi0EEEv14rocblas_evect_T0_lPS4_li.uses_flat_scratch, 0
	.set _ZN9rocsolver6v33100L16syev_scalar_caseIdPdTnNSt9enable_ifIXnt18rocblas_is_complexIT_EEiE4typeELi0EEEv14rocblas_evect_T0_lPS4_li.has_dyn_sized_stack, 0
	.set _ZN9rocsolver6v33100L16syev_scalar_caseIdPdTnNSt9enable_ifIXnt18rocblas_is_complexIT_EEiE4typeELi0EEEv14rocblas_evect_T0_lPS4_li.has_recursion, 0
	.set _ZN9rocsolver6v33100L16syev_scalar_caseIdPdTnNSt9enable_ifIXnt18rocblas_is_complexIT_EEiE4typeELi0EEEv14rocblas_evect_T0_lPS4_li.has_indirect_call, 0
	.section	.AMDGPU.csdata,"",@progbits
; Kernel info:
; codeLenInByte = 224
; TotalNumSgprs: 12
; NumVgprs: 6
; ScratchSize: 0
; MemoryBound: 0
; FloatMode: 240
; IeeeMode: 1
; LDSByteSize: 0 bytes/workgroup (compile time only)
; SGPRBlocks: 0
; VGPRBlocks: 0
; NumSGPRsForWavesPerEU: 12
; NumVGPRsForWavesPerEU: 6
; NamedBarCnt: 0
; Occupancy: 16
; WaveLimiterHint : 0
; COMPUTE_PGM_RSRC2:SCRATCH_EN: 0
; COMPUTE_PGM_RSRC2:USER_SGPR: 2
; COMPUTE_PGM_RSRC2:TRAP_HANDLER: 0
; COMPUTE_PGM_RSRC2:TGID_X_EN: 1
; COMPUTE_PGM_RSRC2:TGID_Y_EN: 0
; COMPUTE_PGM_RSRC2:TGID_Z_EN: 0
; COMPUTE_PGM_RSRC2:TIDIG_COMP_CNT: 0
	.section	.text._ZN9rocsolver6v33100L18syevj_small_kernelIddPdEEv14rocblas_esort_14rocblas_evect_13rocblas_fill_iT1_iilT0_S7_PS7_iPiS8_lS9_PT_,"axG",@progbits,_ZN9rocsolver6v33100L18syevj_small_kernelIddPdEEv14rocblas_esort_14rocblas_evect_13rocblas_fill_iT1_iilT0_S7_PS7_iPiS8_lS9_PT_,comdat
	.globl	_ZN9rocsolver6v33100L18syevj_small_kernelIddPdEEv14rocblas_esort_14rocblas_evect_13rocblas_fill_iT1_iilT0_S7_PS7_iPiS8_lS9_PT_ ; -- Begin function _ZN9rocsolver6v33100L18syevj_small_kernelIddPdEEv14rocblas_esort_14rocblas_evect_13rocblas_fill_iT1_iilT0_S7_PS7_iPiS8_lS9_PT_
	.p2align	8
	.type	_ZN9rocsolver6v33100L18syevj_small_kernelIddPdEEv14rocblas_esort_14rocblas_evect_13rocblas_fill_iT1_iilT0_S7_PS7_iPiS8_lS9_PT_,@function
_ZN9rocsolver6v33100L18syevj_small_kernelIddPdEEv14rocblas_esort_14rocblas_evect_13rocblas_fill_iT1_iilT0_S7_PS7_iPiS8_lS9_PT_: ; @_ZN9rocsolver6v33100L18syevj_small_kernelIddPdEEv14rocblas_esort_14rocblas_evect_13rocblas_fill_iT1_iilT0_S7_PS7_iPiS8_lS9_PT_
; %bb.0:
	s_load_b256 s[8:15], s[0:1], 0x0
	s_bfe_u32 s4, ttmp6, 0x40014
	s_lshr_b32 s2, ttmp7, 16
	s_add_co_i32 s4, s4, 1
	s_bfe_u32 s5, ttmp6, 0x40008
	s_getreg_b32 s6, hwreg(HW_REG_IB_STS2, 6, 4)
	s_load_b256 s[24:31], s[0:1], 0x20
	s_mov_b32 s39, 0
	s_load_b256 s[16:23], s[0:1], 0x48
	s_wait_kmcnt 0x0
	s_lshr_b32 s3, s11, 31
	s_delay_alu instid0(SALU_CYCLE_1) | instskip(NEXT) | instid1(SALU_CYCLE_1)
	s_add_co_i32 s3, s11, s3
	s_and_b32 s3, s3, -2
	s_delay_alu instid0(SALU_CYCLE_1)
	s_sub_co_i32 s48, s11, s3
	s_mul_i32 s3, s2, s4
	s_add_co_i32 s48, s48, s11
	s_add_co_i32 s5, s5, s3
	s_lshr_b32 s4, s48, 31
	s_ashr_i32 s3, s14, 31
	s_add_co_i32 s4, s48, s4
	s_delay_alu instid0(SALU_CYCLE_1)
	s_ashr_i32 s34, s4, 1
	s_cmp_eq_u32 s6, 0
	s_cselect_b32 s38, s2, s5
	s_min_i32 s33, s34, 0x100
	s_mul_u64 s[6:7], s[24:25], s[38:39]
	s_abs_i32 s35, s33
	s_ashr_i32 s55, s33, 31
	s_cvt_f32_u32 s2, s35
	s_sub_co_i32 s4, 0, s35
	s_lshl_b64 s[44:45], s[6:7], 3
	s_delay_alu instid0(SALU_CYCLE_1) | instskip(SKIP_1) | instid1(TRANS32_DEP_1)
	v_rcp_iflag_f32_e32 v1, s2
	v_nop
	v_readfirstlane_b32 s2, v1
	s_mul_f32 s2, s2, 0x4f7ffffe
	s_delay_alu instid0(SALU_CYCLE_3) | instskip(NEXT) | instid1(SALU_CYCLE_3)
	s_cvt_u32_f32 s2, s2
	s_mul_i32 s4, s4, s2
	s_delay_alu instid0(SALU_CYCLE_1) | instskip(NEXT) | instid1(SALU_CYCLE_1)
	s_mul_hi_u32 s4, s2, s4
	s_add_co_i32 s36, s2, s4
	s_mov_b32 s2, s14
	v_mul_hi_u32 v1, v0, s36
	s_lshl_b64 s[46:47], s[2:3], 3
	s_mul_i32 s2, s11, s38
	s_lshr_b32 s14, s36, 22
	s_mul_i32 s2, s2, s11
	s_mul_i32 s24, s14, s35
	s_ashr_i32 s3, s2, 31
	s_load_b64 s[4:5], s[0:1], 0x68
	s_lshl_b64 s[6:7], s[2:3], 3
	s_sub_co_i32 s2, 0x400, s24
	s_add_co_i32 s3, s14, 1
	v_mul_lo_u32 v2, v1, s35
	s_sub_co_i32 s24, s2, s35
	s_cmp_ge_u32 s2, s35
	v_add_nc_u32_e32 v3, 1, v1
	s_cselect_b32 s3, s3, s14
	s_cselect_b32 s2, s24, s2
	s_add_co_i32 s14, s3, 1
	s_cmp_ge_u32 s2, s35
	s_cselect_b32 s2, s14, s3
	s_delay_alu instid0(VALU_DEP_2)
	v_sub_nc_u32_e32 v2, v0, v2
	s_xor_b32 s14, s2, s55
	s_add_nc_u64 s[2:3], s[12:13], s[44:45]
	s_sub_co_i32 s36, s14, s55
	s_add_nc_u64 s[24:25], s[2:3], s[46:47]
	v_subrev_nc_u32_e32 v4, s35, v2
	v_cmp_le_u32_e32 vcc_lo, s35, v2
	s_min_i32 s14, s34, s36
	s_wait_kmcnt 0x0
	s_add_nc_u64 s[40:41], s[4:5], s[6:7]
	s_lshl_b32 s49, s14, 3
	v_dual_cndmask_b32 v1, v1, v3 :: v_dual_cndmask_b32 v2, v2, v4
	s_add_co_i32 s56, s49, 0
	s_delay_alu instid0(VALU_DEP_1) | instskip(NEXT) | instid1(VALU_DEP_2)
	v_add_nc_u32_e32 v3, 1, v1
	v_cmp_le_u32_e32 vcc_lo, s35, v2
	s_delay_alu instid0(VALU_DEP_2) | instskip(NEXT) | instid1(VALU_DEP_1)
	v_cndmask_b32_e32 v1, v1, v3, vcc_lo
	v_xor_b32_e32 v1, s55, v1
	s_delay_alu instid0(VALU_DEP_1) | instskip(NEXT) | instid1(VALU_DEP_1)
	v_subrev_nc_u32_e32 v2, s55, v1
	v_mul_lo_u32 v30, v2, s33
	s_delay_alu instid0(VALU_DEP_1) | instskip(NEXT) | instid1(VALU_DEP_1)
	v_sub_nc_u32_e32 v31, v0, v30
	v_cmp_eq_u32_e64 s2, 0, v31
	s_and_saveexec_b32 s50, s2
	s_cbranch_execz .LBB46_32
; %bb.1:
	v_cmp_gt_i32_e64 s3, s11, v2
	s_cmp_eq_u32 s10, 0x79
	s_cbranch_scc1 .LBB46_13
; %bb.2:
	v_mov_b64_e32 v[4:5], 0
	v_mov_b64_e32 v[6:7], 0
	s_and_saveexec_b32 s10, s3
	s_cbranch_execz .LBB46_15
; %bb.3:
	s_cmp_lg_u32 s9, 0xd5
	v_ashrrev_i32_e32 v3, 31, v2
	s_cselect_b32 s51, -1, 0
	s_ashr_i32 s35, s34, 31
	s_ashr_i32 s37, s36, 31
	v_mul_lo_u32 v32, s15, v2
	v_min_i64 v[6:7], s[34:35], s[36:37]
	v_lshlrev_b64_e32 v[16:17], 3, v[2:3]
	v_mul_lo_u32 v8, s11, v2
	s_add_nc_u64 s[44:45], s[44:45], s[46:47]
	s_add_nc_u64 s[42:43], s[4:5], s[6:7]
	;; [unrolled: 1-line block ×3, first 2 shown]
	v_mov_b64_e32 v[10:11], 0
	v_mov_b64_e32 v[12:13], 1.0
	v_mov_b64_e32 v[4:5], 0
	v_add_nc_u64_e32 v[14:15], s[42:43], v[16:17]
	v_add_nc_u64_e32 v[16:17], s[12:13], v[16:17]
	v_mov_b32_e32 v3, v2
	s_mov_b32 s52, s11
	s_mov_b32 s46, s15
	s_ashr_i32 s53, s11, 31
	s_ashr_i32 s47, s15, 31
	s_mul_i32 s35, s15, s14
	s_mul_i32 s37, s11, s14
	s_lshl_b64 s[12:13], s[52:53], 3
	s_lshl_b64 s[44:45], s[46:47], 3
	s_mov_b32 s46, 0
	v_lshlrev_b64_e32 v[18:19], 3, v[6:7]
	v_mov_b64_e32 v[6:7], 0
	s_branch .LBB46_6
.LBB46_4:                               ;   in Loop: Header=BB46_6 Depth=1
	s_or_b32 exec_lo, exec_lo, s52
.LBB46_5:                               ;   in Loop: Header=BB46_6 Depth=1
	s_delay_alu instid0(SALU_CYCLE_1)
	s_or_b32 exec_lo, exec_lo, s47
	v_fmac_f64_e32 v[6:7], v[20:21], v[20:21]
	v_dual_add_nc_u32 v3, s14, v3 :: v_dual_add_nc_u32 v32, s35, v32
	v_add_nc_u64_e32 v[14:15], v[14:15], v[18:19]
	v_add_nc_u64_e32 v[16:17], v[16:17], v[18:19]
	v_add_nc_u32_e32 v8, s37, v8
	s_delay_alu instid0(VALU_DEP_4) | instskip(SKIP_1) | instid1(SALU_CYCLE_1)
	v_cmp_le_i32_e32 vcc_lo, s11, v3
	s_or_b32 s46, vcc_lo, s46
	s_and_not1_b32 exec_lo, exec_lo, s46
	s_cbranch_execz .LBB46_14
.LBB46_6:                               ; =>This Loop Header: Depth=1
                                        ;     Child Loop BB46_11 Depth 2
	v_mad_u32 v22, v3, s15, v3
	v_mad_u32 v9, v3, s11, v3
	s_and_not1_b32 vcc_lo, exec_lo, s51
	global_load_b64 v[20:21], v22, s[24:25] scale_offset
	s_wait_loadcnt 0x0
	global_store_b64 v9, v[20:21], s[40:41] scale_offset
	s_cbranch_vccnz .LBB46_8
; %bb.7:                                ;   in Loop: Header=BB46_6 Depth=1
	v_ashrrev_i32_e32 v23, 31, v22
	s_wait_xcnt 0x1
	s_delay_alu instid0(VALU_DEP_1)
	v_lshl_add_u64 v[22:23], v[22:23], 3, s[24:25]
	global_store_b64 v[22:23], v[12:13], off
.LBB46_8:                               ;   in Loop: Header=BB46_6 Depth=1
	s_mov_b32 s47, exec_lo
	s_wait_xcnt 0x0
	v_cmpx_lt_i32_e32 0, v3
	s_cbranch_execz .LBB46_5
; %bb.9:                                ;   in Loop: Header=BB46_6 Depth=1
	v_ashrrev_i32_e32 v9, 31, v8
	v_mov_b64_e32 v[22:23], v[16:17]
	v_mov_b64_e32 v[26:27], v[14:15]
	s_mov_b32 s52, 0
	s_mov_b32 s53, 0
	v_lshl_add_u64 v[24:25], v[8:9], 3, s[42:43]
	s_branch .LBB46_11
.LBB46_10:                              ;   in Loop: Header=BB46_11 Depth=2
	s_wait_xcnt 0x0
	v_mul_f64_e32 v[28:29], v[28:29], v[28:29]
	s_add_co_i32 s53, s53, 1
	v_add_nc_u64_e32 v[24:25], 8, v[24:25]
	v_add_nc_u64_e32 v[26:27], s[12:13], v[26:27]
	v_cmp_eq_u32_e32 vcc_lo, s53, v3
	v_add_nc_u64_e32 v[22:23], s[44:45], v[22:23]
	s_or_b32 s52, vcc_lo, s52
	v_fmac_f64_e32 v[4:5], 2.0, v[28:29]
	s_and_not1_b32 exec_lo, exec_lo, s52
	s_cbranch_execz .LBB46_4
.LBB46_11:                              ;   Parent Loop BB46_6 Depth=1
                                        ; =>  This Inner Loop Header: Depth=2
	global_load_b64 v[28:29], v[22:23], off
	s_and_not1_b32 vcc_lo, exec_lo, s51
	s_wait_loadcnt 0x0
	global_store_b64 v[26:27], v[28:29], off
	global_store_b64 v[24:25], v[28:29], off
	s_cbranch_vccnz .LBB46_10
; %bb.12:                               ;   in Loop: Header=BB46_11 Depth=2
	v_add_nc_u32_e32 v9, s53, v32
	global_store_b64 v[22:23], v[10:11], off
	global_store_b64 v9, v[10:11], s[24:25] scale_offset
	s_branch .LBB46_10
.LBB46_13:
                                        ; implicit-def: $vgpr4_vgpr5
                                        ; implicit-def: $vgpr6_vgpr7
	s_branch .LBB46_16
.LBB46_14:
	s_or_b32 exec_lo, exec_lo, s46
.LBB46_15:
	s_delay_alu instid0(SALU_CYCLE_1)
	s_or_b32 exec_lo, exec_lo, s10
	s_cbranch_execnz .LBB46_29
.LBB46_16:
	v_mov_b64_e32 v[4:5], 0
	v_mov_b64_e32 v[6:7], 0
	s_and_saveexec_b32 s10, s3
	s_cbranch_execz .LBB46_28
; %bb.17:
	s_cmp_lg_u32 s9, 0xd5
	v_mul_lo_u32 v3, s15, v2
	s_cselect_b32 s3, -1, 0
	s_add_co_i32 s35, s11, -1
	v_mov_b64_e32 v[8:9], 0
	v_mad_u32 v13, s11, s35, v1
	v_mad_u32 v14, s15, s35, v1
	;; [unrolled: 1-line block ×3, first 2 shown]
	v_mov_b64_e32 v[10:11], 1.0
	v_mov_b64_e32 v[4:5], 0
	v_mov_b64_e32 v[6:7], 0
	v_mov_b32_e32 v24, v2
	s_mul_i32 s37, s15, s14
	s_add_nc_u64 s[12:13], s[4:5], s[6:7]
	s_mul_i32 s43, s11, s14
	s_mov_b32 s42, 0
	v_subrev_nc_u32_e32 v22, s55, v13
	v_subrev_nc_u32_e32 v23, s55, v14
	s_branch .LBB46_20
.LBB46_18:                              ;   in Loop: Header=BB46_20 Depth=1
	s_or_b32 exec_lo, exec_lo, s45
.LBB46_19:                              ;   in Loop: Header=BB46_20 Depth=1
	s_delay_alu instid0(SALU_CYCLE_1) | instskip(SKIP_4) | instid1(VALU_DEP_3)
	s_or_b32 exec_lo, exec_lo, s44
	v_fmac_f64_e32 v[6:7], v[14:15], v[14:15]
	v_dual_add_nc_u32 v24, s14, v24 :: v_dual_add_nc_u32 v3, s37, v3
	v_dual_add_nc_u32 v12, s43, v12 :: v_dual_add_nc_u32 v22, s14, v22
	v_add_nc_u32_e32 v23, s14, v23
	v_cmp_le_i32_e32 vcc_lo, s11, v24
	s_or_b32 s42, vcc_lo, s42
	s_delay_alu instid0(SALU_CYCLE_1)
	s_and_not1_b32 exec_lo, exec_lo, s42
	s_cbranch_execz .LBB46_27
.LBB46_20:                              ; =>This Loop Header: Depth=1
                                        ;     Child Loop BB46_25 Depth 2
	v_mad_u32 v16, v24, s15, v24
	v_mad_u32 v13, v24, s11, v24
	s_and_not1_b32 vcc_lo, exec_lo, s3
	global_load_b64 v[14:15], v16, s[24:25] scale_offset
	s_wait_loadcnt 0x0
	global_store_b64 v13, v[14:15], s[40:41] scale_offset
	s_cbranch_vccnz .LBB46_22
; %bb.21:                               ;   in Loop: Header=BB46_20 Depth=1
	v_ashrrev_i32_e32 v17, 31, v16
	s_wait_xcnt 0x1
	s_delay_alu instid0(VALU_DEP_1)
	v_lshl_add_u64 v[16:17], v[16:17], 3, s[24:25]
	global_store_b64 v[16:17], v[10:11], off
.LBB46_22:                              ;   in Loop: Header=BB46_20 Depth=1
	s_mov_b32 s44, exec_lo
	s_wait_xcnt 0x0
	v_cmpx_gt_i32_e64 s35, v24
	s_cbranch_execz .LBB46_19
; %bb.23:                               ;   in Loop: Header=BB46_20 Depth=1
	v_dual_mov_b32 v16, v23 :: v_dual_ashrrev_i32 v13, 31, v12
	s_mov_b32 s45, 0
	s_mov_b32 s46, s35
	s_delay_alu instid0(VALU_DEP_1)
	v_lshl_add_u64 v[18:19], v[12:13], 3, s[12:13]
	v_mov_b32_e32 v13, v22
	s_branch .LBB46_25
.LBB46_24:                              ;   in Loop: Header=BB46_25 Depth=2
	s_wait_xcnt 0x0
	v_mul_f64_e32 v[20:21], v[20:21], v[20:21]
	s_add_co_i32 s46, s46, -1
	v_add_nc_u64_e32 v[18:19], -8, v[18:19]
	v_cmp_le_i32_e32 vcc_lo, s46, v24
	v_subrev_nc_u32_e32 v13, s11, v13
	v_subrev_nc_u32_e32 v16, s15, v16
	s_or_b32 s45, vcc_lo, s45
	v_fmac_f64_e32 v[4:5], 2.0, v[20:21]
	s_and_not1_b32 exec_lo, exec_lo, s45
	s_cbranch_execz .LBB46_18
.LBB46_25:                              ;   Parent Loop BB46_20 Depth=1
                                        ; =>  This Inner Loop Header: Depth=2
	global_load_b64 v[20:21], v16, s[24:25] scale_offset
	s_and_not1_b32 vcc_lo, exec_lo, s3
	s_wait_loadcnt 0x0
	global_store_b64 v13, v[20:21], s[40:41] scale_offset
	global_store_b64 v[18:19], v[20:21], off
	s_cbranch_vccnz .LBB46_24
; %bb.26:                               ;   in Loop: Header=BB46_25 Depth=2
	v_ashrrev_i32_e32 v17, 31, v16
	s_delay_alu instid0(VALU_DEP_1)
	v_lshl_add_u64 v[26:27], v[16:17], 3, s[24:25]
	v_add_nc_u32_e32 v17, s46, v3
	s_clause 0x1
	global_store_b64 v[26:27], v[8:9], off
	global_store_b64 v17, v[8:9], s[24:25] scale_offset
	s_branch .LBB46_24
.LBB46_27:
	s_or_b32 exec_lo, exec_lo, s42
.LBB46_28:
	s_delay_alu instid0(SALU_CYCLE_1)
	s_or_b32 exec_lo, exec_lo, s10
.LBB46_29:
	v_lshlrev_b32_e32 v3, 3, v2
	v_cmp_gt_i32_e32 vcc_lo, s34, v2
	s_mov_b32 s3, 0
	s_delay_alu instid0(VALU_DEP_2)
	v_dual_add_nc_u32 v8, 0, v3 :: v_dual_add_nc_u32 v3, s56, v3
	ds_store_b64 v8, v[4:5]
	ds_store_b64 v3, v[6:7]
	s_and_b32 exec_lo, exec_lo, vcc_lo
	s_cbranch_execz .LBB46_32
; %bb.30:
	v_dual_lshlrev_b32 v3, 2, v1 :: v_dual_lshlrev_b32 v4, 1, v1
	s_lshl_b32 s10, s55, 2
	s_lshl_b32 s12, s14, 2
	;; [unrolled: 1-line block ×3, first 2 shown]
	s_delay_alu instid0(VALU_DEP_1) | instskip(NEXT) | instid1(VALU_DEP_1)
	v_lshl_add_u32 v3, s14, 4, v3
	v_subrev_nc_u32_e32 v5, s10, v3
	s_lshl_b32 s10, s55, 1
	s_delay_alu instid0(SALU_CYCLE_1) | instskip(SKIP_1) | instid1(VALU_DEP_2)
	v_subrev_nc_u32_e32 v3, s10, v4
	s_lshl_b32 s10, s34, 2
	v_dual_mov_b32 v5, v2 :: v_dual_add_nc_u32 v4, 0, v5
.LBB46_31:                              ; =>This Inner Loop Header: Depth=1
	s_delay_alu instid0(VALU_DEP_1)
	v_dual_add_nc_u32 v5, s14, v5 :: v_dual_add_nc_u32 v6, 1, v3
	ds_store_b32 v4, v3
	v_dual_add_nc_u32 v7, s10, v4 :: v_dual_add_nc_u32 v4, s12, v4
	v_cmp_le_i32_e32 vcc_lo, s34, v5
	v_add_nc_u32_e32 v3, s13, v3
	ds_store_b32 v7, v6
	s_or_b32 s3, vcc_lo, s3
	s_delay_alu instid0(SALU_CYCLE_1)
	s_and_not1_b32 exec_lo, exec_lo, s3
	s_cbranch_execnz .LBB46_31
.LBB46_32:
	s_or_b32 exec_lo, exec_lo, s50
	v_mov_b64_e32 v[4:5], 0
	v_mov_b64_e32 v[18:19], 0
	s_cmp_gt_i32 s14, 0
	s_mov_b32 s3, 0
	s_cselect_b32 s10, -1, 0
	s_cmp_lt_i32 s14, 1
	s_wait_storecnt_dscnt 0x0
	s_barrier_signal -1
	s_barrier_wait -1
	s_cbranch_scc1 .LBB46_39
; %bb.33:
	s_cmp_lt_u32 s14, 8
	s_cbranch_scc1 .LBB46_36
; %bb.34:
	s_and_b32 s3, s14, 0x7ffffff8
	s_mov_b32 s12, 0
	s_mov_b32 s13, 0
.LBB46_35:                              ; =>This Inner Loop Header: Depth=1
	s_delay_alu instid0(SALU_CYCLE_1) | instskip(NEXT) | instid1(SALU_CYCLE_1)
	s_add_co_i32 s35, s13, s49
	v_dual_mov_b32 v3, s13 :: v_dual_mov_b32 v24, s35
	s_add_co_i32 s12, s12, 8
	s_add_co_i32 s13, s13, 64
	s_cmp_lg_u32 s3, s12
	ds_load_2addr_b64 v[6:9], v3 offset1:1
	ds_load_2addr_b64 v[10:13], v24 offset1:1
	ds_load_2addr_b64 v[14:17], v3 offset0:2 offset1:3
	ds_load_2addr_b64 v[20:23], v24 offset0:2 offset1:3
	s_wait_dscnt 0x3
	v_add_f64_e32 v[6:7], v[18:19], v[6:7]
	s_wait_dscnt 0x2
	v_add_f64_e32 v[4:5], v[4:5], v[10:11]
	s_delay_alu instid0(VALU_DEP_2) | instskip(NEXT) | instid1(VALU_DEP_2)
	v_add_f64_e32 v[6:7], v[6:7], v[8:9]
	v_add_f64_e32 v[4:5], v[4:5], v[12:13]
	s_wait_dscnt 0x1
	s_delay_alu instid0(VALU_DEP_2) | instskip(SKIP_1) | instid1(VALU_DEP_2)
	v_add_f64_e32 v[6:7], v[6:7], v[14:15]
	s_wait_dscnt 0x0
	v_add_f64_e32 v[4:5], v[4:5], v[20:21]
	s_delay_alu instid0(VALU_DEP_2) | instskip(NEXT) | instid1(VALU_DEP_2)
	v_add_f64_e32 v[16:17], v[6:7], v[16:17]
	v_add_f64_e32 v[22:23], v[4:5], v[22:23]
	ds_load_2addr_b64 v[4:7], v3 offset0:4 offset1:5
	ds_load_2addr_b64 v[8:11], v24 offset0:4 offset1:5
	;; [unrolled: 1-line block ×4, first 2 shown]
	s_wait_dscnt 0x3
	v_add_f64_e32 v[4:5], v[16:17], v[4:5]
	s_wait_dscnt 0x2
	v_add_f64_e32 v[8:9], v[22:23], v[8:9]
	s_delay_alu instid0(VALU_DEP_2) | instskip(NEXT) | instid1(VALU_DEP_2)
	v_add_f64_e32 v[4:5], v[4:5], v[6:7]
	v_add_f64_e32 v[6:7], v[8:9], v[10:11]
	s_wait_dscnt 0x1
	s_delay_alu instid0(VALU_DEP_2) | instskip(SKIP_1) | instid1(VALU_DEP_2)
	v_add_f64_e32 v[4:5], v[4:5], v[12:13]
	s_wait_dscnt 0x0
	v_add_f64_e32 v[6:7], v[6:7], v[18:19]
	s_delay_alu instid0(VALU_DEP_2) | instskip(NEXT) | instid1(VALU_DEP_2)
	v_add_f64_e32 v[18:19], v[4:5], v[14:15]
	v_add_f64_e32 v[4:5], v[6:7], v[20:21]
	s_cbranch_scc1 .LBB46_35
.LBB46_36:
	s_and_b32 s12, s14, 7
	s_delay_alu instid0(SALU_CYCLE_1)
	s_cmp_eq_u32 s12, 0
	s_cbranch_scc1 .LBB46_39
; %bb.37:
	s_lshl_b32 s3, s3, 3
	s_delay_alu instid0(SALU_CYCLE_1)
	s_add_co_i32 s3, s3, 0
.LBB46_38:                              ; =>This Inner Loop Header: Depth=1
	s_delay_alu instid0(SALU_CYCLE_1) | instskip(NEXT) | instid1(SALU_CYCLE_1)
	s_add_co_i32 s13, s3, s49
	v_dual_mov_b32 v3, s3 :: v_dual_mov_b32 v8, s13
	s_add_co_i32 s12, s12, -1
	s_add_co_i32 s3, s3, 8
	s_cmp_lg_u32 s12, 0
	ds_load_b64 v[6:7], v3
	ds_load_b64 v[8:9], v8
	s_wait_dscnt 0x1
	v_add_f64_e32 v[18:19], v[18:19], v[6:7]
	s_wait_dscnt 0x0
	v_add_f64_e32 v[4:5], v[4:5], v[8:9]
	s_cbranch_scc1 .LBB46_38
.LBB46_39:
	s_delay_alu instid0(VALU_DEP_1)
	v_add_f64_e32 v[4:5], v[4:5], v[18:19]
	s_load_b32 s42, s[0:1], 0x40
	s_mov_b32 s35, 0
	s_wait_kmcnt 0x0
	s_cmp_gt_i32 s42, 0
	s_cselect_b32 s0, -1, 0
	s_delay_alu instid0(VALU_DEP_1) | instskip(NEXT) | instid1(VALU_DEP_1)
	v_mul_f64_e32 v[4:5], s[26:27], v[4:5]
	v_mul_f64_e32 v[4:5], s[26:27], v[4:5]
	s_delay_alu instid0(VALU_DEP_1) | instskip(SKIP_1) | instid1(SALU_CYCLE_1)
	v_cmp_gt_f64_e32 vcc_lo, v[18:19], v[4:5]
	s_and_b32 s0, s0, vcc_lo
	s_and_not1_b32 vcc_lo, exec_lo, s0
	s_cbranch_vccnz .LBB46_118
; %bb.40:
	v_div_scale_f64 v[6:7], null, s[28:29], s[28:29], 0x100000
	s_mov_b64 s[0:1], 0x10000000000000
	s_add_co_i32 s13, s34, -1
	v_div_scale_f64 v[12:13], vcc_lo, s[0:1], s[28:29], s[0:1]
	s_abs_i32 s0, s14
	s_abs_i32 s26, s13
	s_cvt_f32_u32 s1, s0
	s_sub_co_i32 s3, 0, s0
	s_add_co_i32 s43, s56, s49
	s_lshl_b32 s12, s34, 2
	v_rcp_iflag_f32_e32 v3, s1
	s_add_co_i32 s44, s43, s12
	s_add_nc_u64 s[4:5], s[4:5], s[6:7]
                                        ; implicit-def: $vgpr16_vgpr17
                                        ; implicit-def: $vgpr14_vgpr15
	v_sub_nc_u32_e32 v1, s55, v1
	s_delay_alu instid0(TRANS32_DEP_1) | instskip(SKIP_2) | instid1(VALU_DEP_1)
	v_readfirstlane_b32 s1, v3
	v_lshlrev_b32_e32 v3, 3, v2
	s_mul_f32 s1, s1, 0x4f7ffffe
	v_dual_add_nc_u32 v27, s56, v3 :: v_dual_add_nc_u32 v26, 0, v3
	v_ashrrev_i32_e32 v3, 31, v2
	s_delay_alu instid0(SALU_CYCLE_1) | instskip(SKIP_1) | instid1(SALU_CYCLE_2)
	s_cvt_u32_f32 s1, s1
	v_rcp_f64_e32 v[8:9], v[6:7]
	s_mul_i32 s3, s3, s1
	s_delay_alu instid0(SALU_CYCLE_1) | instskip(NEXT) | instid1(SALU_CYCLE_1)
	s_mul_hi_u32 s3, s1, s3
	s_add_co_i32 s1, s1, s3
	s_xor_b32 s3, s13, s14
	s_mul_hi_u32 s1, s26, s1
	s_ashr_i32 s3, s3, 31
	s_mul_i32 s12, s1, s0
	s_add_co_i32 s13, s1, 1
	s_sub_co_i32 s12, s26, s12
	s_delay_alu instid0(SALU_CYCLE_1)
	s_sub_co_i32 s26, s12, s0
	s_cmp_ge_u32 s12, s0
	s_cselect_b32 s1, s13, s1
	s_cselect_b32 s12, s26, s12
	s_add_co_i32 s13, s1, 1
	s_cmp_ge_u32 s12, s0
	s_cselect_b32 s0, s13, s1
	s_add_co_i32 s46, s48, -1
	s_xor_b32 s0, s0, s3
	v_cmp_gt_i32_e64 s1, s11, v2
	s_sub_co_i32 s45, s0, s3
	s_cmp_gt_i32 s48, 1
	v_cmp_gt_i32_e64 s0, s34, v31
	s_cselect_b32 s47, -1, 0
	s_cmp_gt_i32 s45, -1
	s_mul_i32 s3, s11, s33
	s_cselect_b32 s48, -1, 0
	s_add_co_i32 s49, s11, 1
	s_cmp_lg_u32 s9, 0xd5
	s_cselect_b32 s50, -1, 0
	s_and_b32 s51, s14, 7
	s_cmp_gt_u32 s14, 7
	s_delay_alu instid0(TRANS32_DEP_1)
	v_fma_f64 v[10:11], -v[6:7], v[8:9], 1.0
	s_cselect_b32 s52, -1, 0
	s_and_b32 s53, s14, 0x7ffffff8
	s_cmp_lg_u32 s51, 0
	s_cselect_b32 s54, -1, 0
	s_ashr_i32 s35, s34, 31
	s_ashr_i32 s37, s36, 31
	s_lshl_b32 s12, s33, 1
	s_delay_alu instid0(SALU_CYCLE_1) | instskip(NEXT) | instid1(SALU_CYCLE_1)
	s_ashr_i32 s13, s12, 31
	s_lshl_b64 s[26:27], s[12:13], 3
	s_lshl_b32 s13, s3, 1
	s_delay_alu instid0(VALU_DEP_1) | instskip(NEXT) | instid1(VALU_DEP_1)
	v_fmac_f64_e32 v[8:9], v[8:9], v[10:11]
	v_fma_f64 v[10:11], -v[6:7], v[8:9], 1.0
	s_delay_alu instid0(VALU_DEP_1) | instskip(NEXT) | instid1(VALU_DEP_1)
	v_fmac_f64_e32 v[8:9], v[8:9], v[10:11]
	v_mul_f64_e32 v[10:11], v[12:13], v[8:9]
	s_delay_alu instid0(VALU_DEP_1) | instskip(NEXT) | instid1(VALU_DEP_1)
	v_fma_f64 v[6:7], -v[6:7], v[10:11], v[12:13]
                                        ; implicit-def: $vgpr12_vgpr13
	v_div_fmas_f64 v[6:7], v[6:7], v[8:9], v[10:11]
	v_min_i64 v[8:9], s[34:35], s[36:37]
	v_dual_lshlrev_b32 v10, 1, v0 :: v_dual_lshlrev_b32 v11, 1, v30
	v_mad_u32 v30, s33, v1, v0
	s_mov_b32 s35, 0
	v_lshl_add_u64 v[0:1], v[2:3], 3, s[4:5]
	s_ashr_i32 s5, s11, 31
	v_sub_nc_u32_e32 v28, v10, v11
	v_mov_b64_e32 v[10:11], 0
	s_mov_b32 s4, s11
	s_delay_alu instid0(VALU_DEP_2) | instskip(SKIP_1) | instid1(VALU_DEP_2)
	v_or_b32_e32 v29, 1, v28
	v_mul_lo_u32 v32, s11, v28
	v_mul_lo_u32 v31, s11, v29
	v_div_fixup_f64 v[6:7], v[6:7], s[28:29], 0x100000
	v_lshlrev_b64_e32 v[8:9], 3, v[8:9]
	s_lshl_b64 s[28:29], s[4:5], 3
	s_branch .LBB46_42
.LBB46_41:                              ;   in Loop: Header=BB46_42 Depth=1
	s_delay_alu instid0(VALU_DEP_1) | instskip(SKIP_1) | instid1(SALU_CYCLE_1)
	v_cmp_gt_f64_e32 vcc_lo, v[18:19], v[4:5]
	s_add_co_i32 s35, s35, 1
	s_cmp_lt_i32 s35, s42
	s_cselect_b32 s3, -1, 0
	s_delay_alu instid0(SALU_CYCLE_1) | instskip(NEXT) | instid1(SALU_CYCLE_1)
	s_and_b32 s3, s3, vcc_lo
	s_and_b32 vcc_lo, exec_lo, s3
	s_cbranch_vccz .LBB46_118
.LBB46_42:                              ; =>This Loop Header: Depth=1
                                        ;     Child Loop BB46_45 Depth 2
                                        ;       Child Loop BB46_47 Depth 3
                                        ;         Child Loop BB46_72 Depth 4
                                        ;         Child Loop BB46_82 Depth 4
                                        ;     Child Loop BB46_104 Depth 2
                                        ;       Child Loop BB46_106 Depth 3
                                        ;     Child Loop BB46_113 Depth 2
                                        ;     Child Loop BB46_117 Depth 2
	s_and_not1_b32 vcc_lo, exec_lo, s47
	s_cbranch_vccnz .LBB46_100
; %bb.43:                               ;   in Loop: Header=BB46_42 Depth=1
	s_mov_b32 s37, 0
	s_branch .LBB46_45
.LBB46_44:                              ;   in Loop: Header=BB46_45 Depth=2
	s_add_co_i32 s37, s37, 1
	s_delay_alu instid0(SALU_CYCLE_1)
	s_cmp_eq_u32 s37, s46
	s_cbranch_scc1 .LBB46_100
.LBB46_45:                              ;   Parent Loop BB46_42 Depth=1
                                        ; =>  This Loop Header: Depth=2
                                        ;       Child Loop BB46_47 Depth 3
                                        ;         Child Loop BB46_72 Depth 4
                                        ;         Child Loop BB46_82 Depth 4
	s_and_not1_b32 vcc_lo, exec_lo, s48
	s_cbranch_vccnz .LBB46_44
; %bb.46:                               ;   in Loop: Header=BB46_45 Depth=2
	s_mov_b32 s55, 0
.LBB46_47:                              ;   Parent Loop BB46_42 Depth=1
                                        ;     Parent Loop BB46_45 Depth=2
                                        ; =>    This Loop Header: Depth=3
                                        ;         Child Loop BB46_72 Depth 4
                                        ;         Child Loop BB46_82 Depth 4
	s_delay_alu instid0(SALU_CYCLE_1) | instskip(SKIP_1) | instid1(VALU_DEP_2)
	v_mad_u32 v34, s55, s14, v2
	v_mov_b32_e32 v35, s11
	v_cmp_gt_i32_e64 s3, s34, v34
	s_and_saveexec_b32 s4, s3
; %bb.48:                               ;   in Loop: Header=BB46_47 Depth=3
	v_lshl_add_u32 v3, v34, 2, s43
	ds_load_b32 v35, v3
; %bb.49:                               ;   in Loop: Header=BB46_47 Depth=3
	s_or_b32 exec_lo, exec_lo, s4
	v_mov_b32_e32 v33, s11
	v_lshl_add_u32 v3, v34, 2, s44
	s_and_saveexec_b32 s4, s3
; %bb.50:                               ;   in Loop: Header=BB46_47 Depth=3
	ds_load_b32 v33, v3
; %bb.51:                               ;   in Loop: Header=BB46_47 Depth=3
	s_or_b32 exec_lo, exec_lo, s4
	s_wait_dscnt 0x0
	v_cmp_gt_i32_e64 s4, s11, v35
	v_cmp_gt_i32_e64 s5, s11, v33
	s_and_b32 s6, s2, s4
	s_delay_alu instid0(SALU_CYCLE_1) | instskip(NEXT) | instid1(SALU_CYCLE_1)
	s_and_b32 s56, s6, s5
	s_and_saveexec_b32 s7, s56
	s_cbranch_execz .LBB46_67
; %bb.52:                               ;   in Loop: Header=BB46_47 Depth=3
	v_mul_lo_u32 v20, v33, s11
	v_mov_b64_e32 v[16:17], 0
	s_delay_alu instid0(VALU_DEP_2) | instskip(SKIP_3) | instid1(VALU_DEP_1)
	v_add_nc_u32_e32 v14, v20, v35
	global_load_b64 v[18:19], v14, s[40:41] scale_offset
	s_wait_loadcnt 0x0
	v_mul_f64_e32 v[14:15], v[18:19], v[18:19]
	v_cmp_nlt_f64_e32 vcc_lo, v[14:15], v[6:7]
	v_mov_b64_e32 v[14:15], 1.0
	s_and_saveexec_b32 s57, vcc_lo
	s_cbranch_execz .LBB46_66
; %bb.53:                               ;   in Loop: Header=BB46_47 Depth=3
	v_mul_lo_u32 v16, v35, s49
	v_add_nc_u32_e32 v14, v20, v33
	s_clause 0x1
	global_load_b64 v[14:15], v14, s[40:41] scale_offset
	global_load_b64 v[20:21], v16, s[40:41] scale_offset
	s_wait_xcnt 0x0
	v_add_f64_e64 v[16:17], |v[18:19]|, |v[18:19]|
	s_delay_alu instid0(VALU_DEP_1) | instskip(SKIP_2) | instid1(VALU_DEP_1)
	v_cmp_class_f64_e64 s58, v[16:17], 0x204
	s_wait_loadcnt 0x0
	v_add_f64_e64 v[20:21], v[14:15], -v[20:21]
	v_max_num_f64_e64 v[14:15], |v[20:21]|, |v[16:17]|
	s_delay_alu instid0(VALU_DEP_1) | instskip(NEXT) | instid1(VALU_DEP_1)
	v_frexp_exp_i32_f64_e32 v22, v[14:15]
	v_sub_nc_u32_e32 v23, 0, v22
	s_delay_alu instid0(VALU_DEP_1) | instskip(SKIP_1) | instid1(VALU_DEP_2)
	v_ldexp_f64 v[14:15], |v[16:17]|, v23
	v_ldexp_f64 v[24:25], |v[20:21]|, v23
	v_mul_f64_e32 v[14:15], v[14:15], v[14:15]
	s_delay_alu instid0(VALU_DEP_1) | instskip(NEXT) | instid1(VALU_DEP_1)
	v_fmac_f64_e32 v[14:15], v[24:25], v[24:25]
	v_rsq_f64_e32 v[24:25], v[14:15]
	v_cmp_eq_f64_e32 vcc_lo, 0, v[14:15]
	s_delay_alu instid0(TRANS32_DEP_1) | instskip(SKIP_1) | instid1(VALU_DEP_1)
	v_mul_f64_e32 v[36:37], v[14:15], v[24:25]
	v_mul_f64_e32 v[24:25], 0.5, v[24:25]
	v_fma_f64 v[38:39], -v[24:25], v[36:37], 0.5
	s_delay_alu instid0(VALU_DEP_1) | instskip(SKIP_1) | instid1(VALU_DEP_2)
	v_fmac_f64_e32 v[36:37], v[36:37], v[38:39]
	v_fmac_f64_e32 v[24:25], v[24:25], v[38:39]
	v_fma_f64 v[38:39], -v[36:37], v[36:37], v[14:15]
	s_delay_alu instid0(VALU_DEP_1) | instskip(NEXT) | instid1(VALU_DEP_1)
	v_fmac_f64_e32 v[36:37], v[38:39], v[24:25]
                                        ; implicit-def: $vgpr24_vgpr25
	v_cndmask_b32_e32 v15, v37, v15, vcc_lo
	v_cmp_ngt_f64_e64 s6, 0, v[20:21]
	v_cmp_class_f64_e64 s59, v[20:21], 0x204
	s_delay_alu instid0(VALU_DEP_4) | instskip(SKIP_1) | instid1(SALU_CYCLE_1)
	v_cndmask_b32_e32 v14, v36, v14, vcc_lo
	s_and_saveexec_b32 s60, s6
	s_xor_b32 s6, exec_lo, s60
	s_cbranch_execz .LBB46_55
; %bb.54:                               ;   in Loop: Header=BB46_47 Depth=3
	s_delay_alu instid0(VALU_DEP_1) | instskip(SKIP_2) | instid1(VALU_DEP_2)
	v_ldexp_f64 v[14:15], v[14:15], v22
	v_cmp_o_f64_e32 vcc_lo, v[20:21], v[16:17]
	s_or_b32 s60, s58, s59
                                        ; implicit-def: $vgpr22
	v_cndmask_b32_e32 v14, 0, v14, vcc_lo
	s_delay_alu instid0(VALU_DEP_3) | instskip(NEXT) | instid1(VALU_DEP_2)
	v_cndmask_b32_e32 v15, 0x7ff80000, v15, vcc_lo
	v_cndmask_b32_e64 v24, v14, 0, s60
	s_delay_alu instid0(VALU_DEP_2)
	v_cndmask_b32_e64 v25, v15, 0x7ff00000, s60
                                        ; implicit-def: $vgpr14_vgpr15
.LBB46_55:                              ;   in Loop: Header=BB46_47 Depth=3
	s_and_not1_saveexec_b32 s6, s6
	s_cbranch_execz .LBB46_57
; %bb.56:                               ;   in Loop: Header=BB46_47 Depth=3
	v_ldexp_f64 v[14:15], -v[14:15], v22
	v_cmp_o_f64_e32 vcc_lo, v[16:17], v[16:17]
	s_or_b32 s58, s58, s59
	s_delay_alu instid0(VALU_DEP_2) | instskip(NEXT) | instid1(VALU_DEP_3)
	v_cndmask_b32_e32 v14, 0, v14, vcc_lo
	v_cndmask_b32_e32 v15, 0xfff80000, v15, vcc_lo
	s_delay_alu instid0(VALU_DEP_2) | instskip(NEXT) | instid1(VALU_DEP_2)
	v_cndmask_b32_e64 v24, v14, 0, s58
	v_cndmask_b32_e64 v25, v15, 0xfff00000, s58
.LBB46_57:                              ;   in Loop: Header=BB46_47 Depth=3
	s_or_b32 exec_lo, exec_lo, s6
	v_mov_b64_e32 v[22:23], 0
	v_mov_b64_e32 v[14:15], 1.0
	s_mov_b32 s6, exec_lo
	v_cmpx_neq_f64_e32 0, v[16:17]
	s_cbranch_execz .LBB46_65
; %bb.58:                               ;   in Loop: Header=BB46_47 Depth=3
	v_add_f64_e32 v[20:21], v[20:21], v[24:25]
	v_mov_b64_e32 v[14:15], 0
	v_mov_b64_e32 v[22:23], 1.0
	s_mov_b32 s58, exec_lo
	s_delay_alu instid0(VALU_DEP_3)
	v_cmpx_neq_f64_e32 0, v[20:21]
	s_cbranch_execz .LBB46_64
; %bb.59:                               ;   in Loop: Header=BB46_47 Depth=3
	v_cmp_ngt_f64_e64 s59, |v[16:17]|, |v[20:21]|
                                        ; implicit-def: $vgpr22_vgpr23
                                        ; implicit-def: $vgpr14_vgpr15
	s_and_saveexec_b32 s60, s59
	s_delay_alu instid0(SALU_CYCLE_1)
	s_xor_b32 s59, exec_lo, s60
	s_cbranch_execz .LBB46_61
; %bb.60:                               ;   in Loop: Header=BB46_47 Depth=3
	v_div_scale_f64 v[14:15], null, v[20:21], v[20:21], -v[16:17]
	v_div_scale_f64 v[36:37], vcc_lo, -v[16:17], v[20:21], -v[16:17]
	s_delay_alu instid0(VALU_DEP_2) | instskip(SKIP_1) | instid1(TRANS32_DEP_1)
	v_rcp_f64_e32 v[22:23], v[14:15]
	v_nop
	v_fma_f64 v[24:25], -v[14:15], v[22:23], 1.0
	s_delay_alu instid0(VALU_DEP_1) | instskip(NEXT) | instid1(VALU_DEP_1)
	v_fmac_f64_e32 v[22:23], v[22:23], v[24:25]
	v_fma_f64 v[24:25], -v[14:15], v[22:23], 1.0
	s_delay_alu instid0(VALU_DEP_1) | instskip(NEXT) | instid1(VALU_DEP_1)
	v_fmac_f64_e32 v[22:23], v[22:23], v[24:25]
	v_mul_f64_e32 v[24:25], v[36:37], v[22:23]
	s_delay_alu instid0(VALU_DEP_1) | instskip(NEXT) | instid1(VALU_DEP_1)
	v_fma_f64 v[14:15], -v[14:15], v[24:25], v[36:37]
	v_div_fmas_f64 v[14:15], v[14:15], v[22:23], v[24:25]
	s_delay_alu instid0(VALU_DEP_1) | instskip(NEXT) | instid1(VALU_DEP_1)
	v_div_fixup_f64 v[16:17], v[14:15], v[20:21], -v[16:17]
	v_fma_f64 v[14:15], v[16:17], v[16:17], 1.0
	s_delay_alu instid0(VALU_DEP_1) | instskip(SKIP_1) | instid1(VALU_DEP_1)
	v_cmp_gt_f64_e32 vcc_lo, 0x10000000, v[14:15]
	v_cndmask_b32_e64 v20, 0, 0x100, vcc_lo
	v_ldexp_f64 v[14:15], v[14:15], v20
	s_delay_alu instid0(VALU_DEP_1) | instskip(SKIP_1) | instid1(TRANS32_DEP_1)
	v_rsq_f64_e32 v[20:21], v[14:15]
	v_nop
	v_mul_f64_e32 v[22:23], v[14:15], v[20:21]
	v_mul_f64_e32 v[20:21], 0.5, v[20:21]
	s_delay_alu instid0(VALU_DEP_1) | instskip(NEXT) | instid1(VALU_DEP_1)
	v_fma_f64 v[24:25], -v[20:21], v[22:23], 0.5
	v_fmac_f64_e32 v[22:23], v[22:23], v[24:25]
	v_fmac_f64_e32 v[20:21], v[20:21], v[24:25]
	s_delay_alu instid0(VALU_DEP_2) | instskip(NEXT) | instid1(VALU_DEP_1)
	v_fma_f64 v[24:25], -v[22:23], v[22:23], v[14:15]
	v_fmac_f64_e32 v[22:23], v[24:25], v[20:21]
	s_delay_alu instid0(VALU_DEP_1) | instskip(NEXT) | instid1(VALU_DEP_1)
	v_fma_f64 v[24:25], -v[22:23], v[22:23], v[14:15]
	v_fmac_f64_e32 v[22:23], v[24:25], v[20:21]
	v_cndmask_b32_e64 v20, 0, 0xffffff80, vcc_lo
	v_cmp_class_f64_e64 vcc_lo, v[14:15], 0x260
	s_delay_alu instid0(VALU_DEP_2) | instskip(NEXT) | instid1(VALU_DEP_1)
	v_ldexp_f64 v[20:21], v[22:23], v20
	v_dual_cndmask_b32 v15, v21, v15 :: v_dual_cndmask_b32 v14, v20, v14
	s_delay_alu instid0(VALU_DEP_1) | instskip(NEXT) | instid1(VALU_DEP_1)
	v_div_scale_f64 v[20:21], null, v[14:15], v[14:15], 1.0
	v_rcp_f64_e32 v[22:23], v[20:21]
	v_nop
	s_delay_alu instid0(TRANS32_DEP_1) | instskip(NEXT) | instid1(VALU_DEP_1)
	v_fma_f64 v[24:25], -v[20:21], v[22:23], 1.0
	v_fmac_f64_e32 v[22:23], v[22:23], v[24:25]
	s_delay_alu instid0(VALU_DEP_1) | instskip(NEXT) | instid1(VALU_DEP_1)
	v_fma_f64 v[24:25], -v[20:21], v[22:23], 1.0
	v_fmac_f64_e32 v[22:23], v[22:23], v[24:25]
	v_div_scale_f64 v[24:25], vcc_lo, 1.0, v[14:15], 1.0
	s_delay_alu instid0(VALU_DEP_1) | instskip(NEXT) | instid1(VALU_DEP_1)
	v_mul_f64_e32 v[36:37], v[24:25], v[22:23]
	v_fma_f64 v[20:21], -v[20:21], v[36:37], v[24:25]
	s_delay_alu instid0(VALU_DEP_1) | instskip(NEXT) | instid1(VALU_DEP_1)
	v_div_fmas_f64 v[20:21], v[20:21], v[22:23], v[36:37]
	v_div_fixup_f64 v[14:15], v[20:21], v[14:15], 1.0
                                        ; implicit-def: $vgpr20_vgpr21
	s_delay_alu instid0(VALU_DEP_1)
	v_mul_f64_e32 v[22:23], v[16:17], v[14:15]
                                        ; implicit-def: $vgpr16_vgpr17
.LBB46_61:                              ;   in Loop: Header=BB46_47 Depth=3
	s_and_not1_saveexec_b32 s59, s59
	s_cbranch_execz .LBB46_63
; %bb.62:                               ;   in Loop: Header=BB46_47 Depth=3
	v_div_scale_f64 v[14:15], null, v[16:17], v[16:17], -v[20:21]
	v_div_scale_f64 v[36:37], vcc_lo, -v[20:21], v[16:17], -v[20:21]
	s_delay_alu instid0(VALU_DEP_2) | instskip(SKIP_1) | instid1(TRANS32_DEP_1)
	v_rcp_f64_e32 v[22:23], v[14:15]
	v_nop
	v_fma_f64 v[24:25], -v[14:15], v[22:23], 1.0
	s_delay_alu instid0(VALU_DEP_1) | instskip(NEXT) | instid1(VALU_DEP_1)
	v_fmac_f64_e32 v[22:23], v[22:23], v[24:25]
	v_fma_f64 v[24:25], -v[14:15], v[22:23], 1.0
	s_delay_alu instid0(VALU_DEP_1) | instskip(NEXT) | instid1(VALU_DEP_1)
	v_fmac_f64_e32 v[22:23], v[22:23], v[24:25]
	v_mul_f64_e32 v[24:25], v[36:37], v[22:23]
	s_delay_alu instid0(VALU_DEP_1) | instskip(NEXT) | instid1(VALU_DEP_1)
	v_fma_f64 v[14:15], -v[14:15], v[24:25], v[36:37]
	v_div_fmas_f64 v[14:15], v[14:15], v[22:23], v[24:25]
	s_delay_alu instid0(VALU_DEP_1) | instskip(NEXT) | instid1(VALU_DEP_1)
	v_div_fixup_f64 v[14:15], v[14:15], v[16:17], -v[20:21]
	v_fma_f64 v[16:17], v[14:15], v[14:15], 1.0
	s_delay_alu instid0(VALU_DEP_1) | instskip(SKIP_1) | instid1(VALU_DEP_1)
	v_cmp_gt_f64_e32 vcc_lo, 0x10000000, v[16:17]
	v_cndmask_b32_e64 v20, 0, 0x100, vcc_lo
	v_ldexp_f64 v[16:17], v[16:17], v20
	s_delay_alu instid0(VALU_DEP_1) | instskip(SKIP_1) | instid1(TRANS32_DEP_1)
	v_rsq_f64_e32 v[20:21], v[16:17]
	v_nop
	v_mul_f64_e32 v[22:23], v[16:17], v[20:21]
	v_mul_f64_e32 v[20:21], 0.5, v[20:21]
	s_delay_alu instid0(VALU_DEP_1) | instskip(NEXT) | instid1(VALU_DEP_1)
	v_fma_f64 v[24:25], -v[20:21], v[22:23], 0.5
	v_fmac_f64_e32 v[22:23], v[22:23], v[24:25]
	v_fmac_f64_e32 v[20:21], v[20:21], v[24:25]
	s_delay_alu instid0(VALU_DEP_2) | instskip(NEXT) | instid1(VALU_DEP_1)
	v_fma_f64 v[24:25], -v[22:23], v[22:23], v[16:17]
	v_fmac_f64_e32 v[22:23], v[24:25], v[20:21]
	s_delay_alu instid0(VALU_DEP_1) | instskip(NEXT) | instid1(VALU_DEP_1)
	v_fma_f64 v[24:25], -v[22:23], v[22:23], v[16:17]
	v_fmac_f64_e32 v[22:23], v[24:25], v[20:21]
	v_cndmask_b32_e64 v20, 0, 0xffffff80, vcc_lo
	v_cmp_class_f64_e64 vcc_lo, v[16:17], 0x260
	s_delay_alu instid0(VALU_DEP_2) | instskip(NEXT) | instid1(VALU_DEP_1)
	v_ldexp_f64 v[20:21], v[22:23], v20
	v_dual_cndmask_b32 v17, v21, v17 :: v_dual_cndmask_b32 v16, v20, v16
	s_delay_alu instid0(VALU_DEP_1) | instskip(NEXT) | instid1(VALU_DEP_1)
	v_div_scale_f64 v[20:21], null, v[16:17], v[16:17], 1.0
	v_rcp_f64_e32 v[22:23], v[20:21]
	v_nop
	s_delay_alu instid0(TRANS32_DEP_1) | instskip(NEXT) | instid1(VALU_DEP_1)
	v_fma_f64 v[24:25], -v[20:21], v[22:23], 1.0
	v_fmac_f64_e32 v[22:23], v[22:23], v[24:25]
	s_delay_alu instid0(VALU_DEP_1) | instskip(NEXT) | instid1(VALU_DEP_1)
	v_fma_f64 v[24:25], -v[20:21], v[22:23], 1.0
	v_fmac_f64_e32 v[22:23], v[22:23], v[24:25]
	v_div_scale_f64 v[24:25], vcc_lo, 1.0, v[16:17], 1.0
	s_delay_alu instid0(VALU_DEP_1) | instskip(NEXT) | instid1(VALU_DEP_1)
	v_mul_f64_e32 v[36:37], v[24:25], v[22:23]
	v_fma_f64 v[20:21], -v[20:21], v[36:37], v[24:25]
	s_delay_alu instid0(VALU_DEP_1) | instskip(NEXT) | instid1(VALU_DEP_1)
	v_div_fmas_f64 v[20:21], v[20:21], v[22:23], v[36:37]
	v_div_fixup_f64 v[22:23], v[20:21], v[16:17], 1.0
	s_delay_alu instid0(VALU_DEP_1)
	v_mul_f64_e32 v[14:15], v[14:15], v[22:23]
.LBB46_63:                              ;   in Loop: Header=BB46_47 Depth=3
	s_or_b32 exec_lo, exec_lo, s59
.LBB46_64:                              ;   in Loop: Header=BB46_47 Depth=3
	s_delay_alu instid0(SALU_CYCLE_1)
	s_or_b32 exec_lo, exec_lo, s58
.LBB46_65:                              ;   in Loop: Header=BB46_47 Depth=3
	s_delay_alu instid0(SALU_CYCLE_1) | instskip(NEXT) | instid1(VALU_DEP_1)
	s_or_b32 exec_lo, exec_lo, s6
	v_mul_f64_e32 v[16:17], v[18:19], v[22:23]
	v_and_b32_e32 v21, 0x7fffffff, v19
	v_mov_b32_e32 v20, v18
	s_delay_alu instid0(VALU_DEP_1) | instskip(SKIP_1) | instid1(VALU_DEP_2)
	v_div_scale_f64 v[22:23], null, v[20:21], v[20:21], v[16:17]
	v_div_scale_f64 v[20:21], vcc_lo, v[16:17], v[20:21], v[16:17]
	v_rcp_f64_e32 v[24:25], v[22:23]
	v_nop
	s_delay_alu instid0(TRANS32_DEP_1) | instskip(NEXT) | instid1(VALU_DEP_1)
	v_fma_f64 v[36:37], -v[22:23], v[24:25], 1.0
	v_fmac_f64_e32 v[24:25], v[24:25], v[36:37]
	s_delay_alu instid0(VALU_DEP_1) | instskip(NEXT) | instid1(VALU_DEP_1)
	v_fma_f64 v[36:37], -v[22:23], v[24:25], 1.0
	v_fmac_f64_e32 v[24:25], v[24:25], v[36:37]
	s_delay_alu instid0(VALU_DEP_1) | instskip(NEXT) | instid1(VALU_DEP_1)
	v_mul_f64_e32 v[36:37], v[20:21], v[24:25]
	v_fma_f64 v[20:21], -v[22:23], v[36:37], v[20:21]
	s_delay_alu instid0(VALU_DEP_1) | instskip(NEXT) | instid1(VALU_DEP_1)
	v_div_fmas_f64 v[20:21], v[20:21], v[24:25], v[36:37]
	v_div_fixup_f64 v[16:17], v[20:21], |v[18:19]|, v[16:17]
.LBB46_66:                              ;   in Loop: Header=BB46_47 Depth=3
	s_or_b32 exec_lo, exec_lo, s57
	ds_store_b64 v26, v[14:15]
	ds_store_b64 v27, v[16:17]
.LBB46_67:                              ;   in Loop: Header=BB46_47 Depth=3
	s_or_b32 exec_lo, exec_lo, s7
	s_and_b32 s4, s4, s5
	s_mov_b32 s6, 0
	s_wait_dscnt 0x0
	s_barrier_signal -1
	s_barrier_wait -1
	s_and_saveexec_b32 s5, s4
	s_cbranch_execz .LBB46_79
; %bb.68:                               ;   in Loop: Header=BB46_47 Depth=3
	ds_load_b64 v[14:15], v26
	ds_load_b64 v[16:17], v27
	s_mov_b32 s4, 0
	s_and_saveexec_b32 s57, s0
	s_cbranch_execz .LBB46_78
; %bb.69:                               ;   in Loop: Header=BB46_47 Depth=3
	v_mad_u32 v12, v33, s11, v28
	v_mad_u32 v18, v35, s11, v28
	v_mul_lo_u32 v24, v35, s15
	v_mul_lo_u32 v25, v33, s15
	v_dual_mov_b32 v36, v28 :: v_dual_mov_b32 v37, v30
	s_mov_b32 s58, 0
	s_mov_b64 s[6:7], s[40:41]
	s_delay_alu instid0(VALU_DEP_4) | instskip(NEXT) | instid1(VALU_DEP_1)
	v_dual_ashrrev_i32 v13, 31, v12 :: v_dual_ashrrev_i32 v19, 31, v18
	v_lshlrev_b64_e32 v[12:13], 3, v[12:13]
	s_delay_alu instid0(VALU_DEP_2)
	v_lshlrev_b64_e32 v[18:19], 3, v[18:19]
	s_branch .LBB46_72
.LBB46_70:                              ;   in Loop: Header=BB46_72 Depth=4
	s_wait_xcnt 0x0
	s_or_b32 exec_lo, exec_lo, s59
.LBB46_71:                              ;   in Loop: Header=BB46_72 Depth=4
	v_dual_add_nc_u32 v37, s33, v37 :: v_dual_add_nc_u32 v36, s12, v36
	s_add_nc_u64 s[6:7], s[6:7], s[26:27]
	s_delay_alu instid0(VALU_DEP_1) | instskip(SKIP_1) | instid1(SALU_CYCLE_1)
	v_cmp_le_i32_e32 vcc_lo, s34, v37
	s_or_b32 s58, vcc_lo, s58
	s_and_not1_b32 exec_lo, exec_lo, s58
	s_cbranch_execz .LBB46_77
.LBB46_72:                              ;   Parent Loop BB46_42 Depth=1
                                        ;     Parent Loop BB46_45 Depth=2
                                        ;       Parent Loop BB46_47 Depth=3
                                        ; =>      This Inner Loop Header: Depth=4
	s_delay_alu instid0(VALU_DEP_2) | instskip(NEXT) | instid1(VALU_DEP_2)
	v_add_nc_u64_e32 v[20:21], s[6:7], v[12:13]
	v_add_nc_u64_e32 v[22:23], s[6:7], v[18:19]
	s_clause 0x1
	global_load_b64 v[38:39], v[20:21], off
	global_load_b64 v[40:41], v[22:23], off
	s_wait_loadcnt_dscnt 0x100
	v_mul_f64_e32 v[42:43], v[16:17], v[38:39]
	s_wait_loadcnt 0x0
	v_mul_f64_e32 v[44:45], v[16:17], v[40:41]
	s_delay_alu instid0(VALU_DEP_2) | instskip(NEXT) | instid1(VALU_DEP_2)
	v_fmac_f64_e32 v[42:43], v[14:15], v[40:41]
	v_dual_fma_f64 v[38:39], v[14:15], v[38:39], -v[44:45] :: v_dual_add_nc_u32 v40, 1, v36
	s_clause 0x1
	global_store_b64 v[22:23], v[42:43], off
	global_store_b64 v[20:21], v[38:39], off
	v_cmp_gt_i32_e64 s4, s11, v40
	s_wait_xcnt 0x0
	s_and_saveexec_b32 s59, s4
	s_cbranch_execz .LBB46_74
; %bb.73:                               ;   in Loop: Header=BB46_72 Depth=4
	s_clause 0x1
	global_load_b64 v[38:39], v[20:21], off offset:8
	global_load_b64 v[40:41], v[22:23], off offset:8
	s_wait_loadcnt 0x1
	v_mul_f64_e32 v[42:43], v[16:17], v[38:39]
	s_wait_loadcnt 0x0
	v_mul_f64_e32 v[44:45], v[16:17], v[40:41]
	s_delay_alu instid0(VALU_DEP_2) | instskip(NEXT) | instid1(VALU_DEP_2)
	v_fmac_f64_e32 v[42:43], v[14:15], v[40:41]
	v_fma_f64 v[38:39], v[14:15], v[38:39], -v[44:45]
	s_clause 0x1
	global_store_b64 v[22:23], v[42:43], off offset:8
	global_store_b64 v[20:21], v[38:39], off offset:8
.LBB46_74:                              ;   in Loop: Header=BB46_72 Depth=4
	s_wait_xcnt 0x0
	s_or_b32 exec_lo, exec_lo, s59
	s_delay_alu instid0(SALU_CYCLE_1)
	s_and_not1_b32 vcc_lo, exec_lo, s50
	s_cbranch_vccnz .LBB46_71
; %bb.75:                               ;   in Loop: Header=BB46_72 Depth=4
	v_dual_add_nc_u32 v22, v25, v36 :: v_dual_add_nc_u32 v20, v24, v36
	s_clause 0x1
	global_load_b64 v[38:39], v22, s[24:25] scale_offset
	global_load_b64 v[40:41], v20, s[24:25] scale_offset
	s_wait_loadcnt 0x1
	v_mul_f64_e32 v[42:43], v[16:17], v[38:39]
	s_wait_loadcnt 0x0
	v_mul_f64_e32 v[44:45], v[16:17], v[40:41]
	s_delay_alu instid0(VALU_DEP_2) | instskip(NEXT) | instid1(VALU_DEP_2)
	v_fmac_f64_e32 v[42:43], v[14:15], v[40:41]
	v_fma_f64 v[38:39], v[14:15], v[38:39], -v[44:45]
	s_clause 0x1
	global_store_b64 v20, v[42:43], s[24:25] scale_offset
	global_store_b64 v22, v[38:39], s[24:25] scale_offset
	s_wait_xcnt 0x0
	s_and_saveexec_b32 s59, s4
	s_cbranch_execz .LBB46_70
; %bb.76:                               ;   in Loop: Header=BB46_72 Depth=4
	v_dual_ashrrev_i32 v23, 31, v22 :: v_dual_ashrrev_i32 v21, 31, v20
	s_delay_alu instid0(VALU_DEP_1) | instskip(NEXT) | instid1(VALU_DEP_2)
	v_lshl_add_u64 v[22:23], v[22:23], 3, s[24:25]
	v_lshl_add_u64 v[20:21], v[20:21], 3, s[24:25]
	s_clause 0x1
	global_load_b64 v[38:39], v[22:23], off offset:8
	global_load_b64 v[40:41], v[20:21], off offset:8
	s_wait_loadcnt 0x1
	v_mul_f64_e32 v[42:43], v[16:17], v[38:39]
	s_wait_loadcnt 0x0
	v_mul_f64_e32 v[44:45], v[16:17], v[40:41]
	s_delay_alu instid0(VALU_DEP_2) | instskip(NEXT) | instid1(VALU_DEP_2)
	v_fmac_f64_e32 v[42:43], v[14:15], v[40:41]
	v_fma_f64 v[38:39], v[14:15], v[38:39], -v[44:45]
	s_clause 0x1
	global_store_b64 v[20:21], v[42:43], off offset:8
	global_store_b64 v[22:23], v[38:39], off offset:8
	s_branch .LBB46_70
.LBB46_77:                              ;   in Loop: Header=BB46_47 Depth=3
	s_or_b32 exec_lo, exec_lo, s58
	s_delay_alu instid0(SALU_CYCLE_1)
	s_mov_b32 s4, exec_lo
.LBB46_78:                              ;   in Loop: Header=BB46_47 Depth=3
	s_or_b32 exec_lo, exec_lo, s57
	s_wait_dscnt 0x0
	v_mov_b64_e32 v[12:13], v[16:17]
	s_and_b32 s6, s4, exec_lo
.LBB46_79:                              ;   in Loop: Header=BB46_47 Depth=3
	s_or_b32 exec_lo, exec_lo, s5
	s_wait_storecnt 0x0
	s_barrier_signal -1
	s_barrier_wait -1
	s_and_saveexec_b32 s4, s6
	s_cbranch_execz .LBB46_84
; %bb.80:                               ;   in Loop: Header=BB46_47 Depth=3
	v_dual_add_nc_u32 v18, v31, v35 :: v_dual_add_nc_u32 v19, v31, v33
	v_dual_add_nc_u32 v20, v32, v33 :: v_dual_add_nc_u32 v21, v32, v35
	v_dual_mov_b32 v22, v29 :: v_dual_mov_b32 v23, v30
	s_mov_b32 s5, 0
	s_mov_b32 s6, 0
	s_branch .LBB46_82
.LBB46_81:                              ;   in Loop: Header=BB46_82 Depth=4
	s_wait_xcnt 0x0
	s_or_b32 exec_lo, exec_lo, s7
	v_dual_add_nc_u32 v23, s33, v23 :: v_dual_add_nc_u32 v22, s12, v22
	s_add_co_i32 s6, s6, s13
	s_delay_alu instid0(VALU_DEP_1) | instskip(SKIP_1) | instid1(SALU_CYCLE_1)
	v_cmp_le_i32_e32 vcc_lo, s34, v23
	s_or_b32 s5, vcc_lo, s5
	s_and_not1_b32 exec_lo, exec_lo, s5
	s_cbranch_execz .LBB46_84
.LBB46_82:                              ;   Parent Loop BB46_42 Depth=1
                                        ;     Parent Loop BB46_45 Depth=2
                                        ;       Parent Loop BB46_47 Depth=3
                                        ; =>      This Inner Loop Header: Depth=4
	v_dual_add_nc_u32 v42, s6, v20 :: v_dual_add_nc_u32 v43, s6, v21
	s_mov_b32 s7, exec_lo
	s_clause 0x1
	global_load_b64 v[24:25], v42, s[40:41] scale_offset
	global_load_b64 v[36:37], v43, s[40:41] scale_offset
	s_wait_loadcnt 0x1
	v_mul_f64_e32 v[38:39], v[16:17], v[24:25]
	s_wait_loadcnt 0x0
	v_mul_f64_e32 v[40:41], v[12:13], v[36:37]
	s_delay_alu instid0(VALU_DEP_2) | instskip(NEXT) | instid1(VALU_DEP_2)
	v_fmac_f64_e32 v[38:39], v[14:15], v[36:37]
	v_fma_f64 v[24:25], v[14:15], v[24:25], -v[40:41]
	s_clause 0x1
	global_store_b64 v43, v[38:39], s[40:41] scale_offset
	global_store_b64 v42, v[24:25], s[40:41] scale_offset
	s_wait_xcnt 0x0
	v_cmpx_gt_i32_e64 s11, v22
	s_cbranch_execz .LBB46_81
; %bb.83:                               ;   in Loop: Header=BB46_82 Depth=4
	v_dual_add_nc_u32 v42, s6, v19 :: v_dual_add_nc_u32 v43, s6, v18
	s_clause 0x1
	global_load_b64 v[24:25], v42, s[40:41] scale_offset
	global_load_b64 v[36:37], v43, s[40:41] scale_offset
	s_wait_loadcnt 0x1
	v_mul_f64_e32 v[38:39], v[16:17], v[24:25]
	s_wait_loadcnt 0x0
	v_mul_f64_e32 v[40:41], v[12:13], v[36:37]
	s_delay_alu instid0(VALU_DEP_2) | instskip(NEXT) | instid1(VALU_DEP_2)
	v_fmac_f64_e32 v[38:39], v[14:15], v[36:37]
	v_fma_f64 v[24:25], v[14:15], v[24:25], -v[40:41]
	s_clause 0x1
	global_store_b64 v43, v[38:39], s[40:41] scale_offset
	global_store_b64 v42, v[24:25], s[40:41] scale_offset
	s_branch .LBB46_81
.LBB46_84:                              ;   in Loop: Header=BB46_47 Depth=3
	s_or_b32 exec_lo, exec_lo, s4
	s_wait_storecnt 0x0
	s_barrier_signal -1
	s_barrier_wait -1
	s_and_saveexec_b32 s4, s56
	s_cbranch_execz .LBB46_86
; %bb.85:                               ;   in Loop: Header=BB46_47 Depth=3
	v_mad_u32 v18, v33, s11, v35
	v_mad_u32 v19, v35, s11, v33
	s_clause 0x1
	global_store_b64 v18, v[10:11], s[40:41] scale_offset
	global_store_b64 v19, v[10:11], s[40:41] scale_offset
.LBB46_86:                              ;   in Loop: Header=BB46_47 Depth=3
	s_wait_xcnt 0x0
	s_or_b32 exec_lo, exec_lo, s4
	s_and_b32 s3, s2, s3
	s_wait_storecnt 0x0
	s_barrier_signal -1
	s_barrier_wait -1
	s_and_saveexec_b32 s4, s3
	s_cbranch_execz .LBB46_98
; %bb.87:                               ;   in Loop: Header=BB46_47 Depth=3
	s_mov_b32 s5, exec_lo
	v_cmpx_lt_i32_e32 0, v35
	s_cbranch_execz .LBB46_93
; %bb.88:                               ;   in Loop: Header=BB46_47 Depth=3
	v_cmp_ne_u32_e32 vcc_lo, 2, v35
	v_cmp_ne_u32_e64 s3, s46, v35
                                        ; implicit-def: $vgpr18
	s_and_b32 s3, vcc_lo, s3
	s_delay_alu instid0(SALU_CYCLE_1) | instskip(NEXT) | instid1(SALU_CYCLE_1)
	s_and_saveexec_b32 s6, s3
	s_xor_b32 s3, exec_lo, s6
; %bb.89:                               ;   in Loop: Header=BB46_47 Depth=3
	v_and_b32_e32 v18, 1, v35
	s_delay_alu instid0(VALU_DEP_1) | instskip(SKIP_1) | instid1(VALU_DEP_1)
	v_cmp_eq_u32_e32 vcc_lo, 0, v18
	v_cndmask_b32_e64 v18, 2, -2, vcc_lo
	v_add_nc_u32_e32 v18, v18, v35
                                        ; implicit-def: $vgpr35
; %bb.90:                               ;   in Loop: Header=BB46_47 Depth=3
	s_and_not1_saveexec_b32 s3, s3
; %bb.91:                               ;   in Loop: Header=BB46_47 Depth=3
	v_add_nc_u32_e32 v18, -1, v35
; %bb.92:                               ;   in Loop: Header=BB46_47 Depth=3
	s_or_b32 exec_lo, exec_lo, s3
	v_lshl_add_u32 v19, v34, 2, s43
	ds_store_b32 v19, v18
.LBB46_93:                              ;   in Loop: Header=BB46_47 Depth=3
	s_or_b32 exec_lo, exec_lo, s5
	v_cmp_ne_u32_e32 vcc_lo, 2, v33
	v_cmp_ne_u32_e64 s3, s46, v33
                                        ; implicit-def: $vgpr18
	s_and_b32 s3, vcc_lo, s3
	s_delay_alu instid0(SALU_CYCLE_1) | instskip(NEXT) | instid1(SALU_CYCLE_1)
	s_and_saveexec_b32 s5, s3
	s_xor_b32 s3, exec_lo, s5
; %bb.94:                               ;   in Loop: Header=BB46_47 Depth=3
	v_and_b32_e32 v18, 1, v33
	s_delay_alu instid0(VALU_DEP_1) | instskip(SKIP_1) | instid1(VALU_DEP_1)
	v_cmp_eq_u32_e32 vcc_lo, 0, v18
	v_cndmask_b32_e64 v18, 2, -2, vcc_lo
	v_add_nc_u32_e32 v18, v18, v33
                                        ; implicit-def: $vgpr33
; %bb.95:                               ;   in Loop: Header=BB46_47 Depth=3
	s_and_not1_saveexec_b32 s3, s3
; %bb.96:                               ;   in Loop: Header=BB46_47 Depth=3
	v_add_nc_u32_e32 v18, -1, v33
; %bb.97:                               ;   in Loop: Header=BB46_47 Depth=3
	s_or_b32 exec_lo, exec_lo, s3
	ds_store_b32 v3, v18
.LBB46_98:                              ;   in Loop: Header=BB46_47 Depth=3
	s_or_b32 exec_lo, exec_lo, s4
	s_add_co_i32 s3, s55, 1
	s_cmp_eq_u32 s55, s45
	s_wait_dscnt 0x0
	s_barrier_signal -1
	s_barrier_wait -1
	s_cbranch_scc1 .LBB46_44
; %bb.99:                               ;   in Loop: Header=BB46_47 Depth=3
	s_mov_b32 s55, s3
	s_branch .LBB46_47
.LBB46_100:                             ;   in Loop: Header=BB46_42 Depth=1
	s_and_saveexec_b32 s3, s2
	s_cbranch_execz .LBB46_110
; %bb.101:                              ;   in Loop: Header=BB46_42 Depth=1
	v_mov_b64_e32 v[18:19], 0
	s_and_saveexec_b32 s4, s1
	s_cbranch_execz .LBB46_109
; %bb.102:                              ;   in Loop: Header=BB46_42 Depth=1
	v_mov_b64_e32 v[18:19], 0
	v_mov_b64_e32 v[20:21], v[0:1]
	v_mov_b32_e32 v3, v2
	s_mov_b32 s5, 0
	s_branch .LBB46_104
.LBB46_103:                             ;   in Loop: Header=BB46_104 Depth=2
	s_or_b32 exec_lo, exec_lo, s6
	v_add_nc_u32_e32 v3, s14, v3
	v_add_nc_u64_e32 v[20:21], v[20:21], v[8:9]
	s_delay_alu instid0(VALU_DEP_2) | instskip(SKIP_1) | instid1(SALU_CYCLE_1)
	v_cmp_le_i32_e32 vcc_lo, s11, v3
	s_or_b32 s5, vcc_lo, s5
	s_and_not1_b32 exec_lo, exec_lo, s5
	s_cbranch_execz .LBB46_108
.LBB46_104:                             ;   Parent Loop BB46_42 Depth=1
                                        ; =>  This Loop Header: Depth=2
                                        ;       Child Loop BB46_106 Depth 3
	s_mov_b32 s6, exec_lo
	s_delay_alu instid0(VALU_DEP_1)
	v_cmpx_lt_i32_e32 0, v3
	s_cbranch_execz .LBB46_103
; %bb.105:                              ;   in Loop: Header=BB46_104 Depth=2
	v_mov_b64_e32 v[22:23], v[20:21]
	s_mov_b32 s7, 0
	s_mov_b32 s37, 0
.LBB46_106:                             ;   Parent Loop BB46_42 Depth=1
                                        ;     Parent Loop BB46_104 Depth=2
                                        ; =>    This Inner Loop Header: Depth=3
	global_load_b64 v[24:25], v[22:23], off
	s_add_co_i32 s37, s37, 1
	s_wait_xcnt 0x0
	v_add_nc_u64_e32 v[22:23], s[28:29], v[22:23]
	v_cmp_eq_u32_e32 vcc_lo, s37, v3
	s_or_b32 s7, vcc_lo, s7
	s_wait_loadcnt 0x0
	v_mul_f64_e32 v[24:25], v[24:25], v[24:25]
	s_delay_alu instid0(VALU_DEP_1)
	v_fmac_f64_e32 v[18:19], 2.0, v[24:25]
	s_and_not1_b32 exec_lo, exec_lo, s7
	s_cbranch_execnz .LBB46_106
; %bb.107:                              ;   in Loop: Header=BB46_104 Depth=2
	s_or_b32 exec_lo, exec_lo, s7
	s_branch .LBB46_103
.LBB46_108:                             ;   in Loop: Header=BB46_42 Depth=1
	s_or_b32 exec_lo, exec_lo, s5
.LBB46_109:                             ;   in Loop: Header=BB46_42 Depth=1
	s_delay_alu instid0(SALU_CYCLE_1)
	s_or_b32 exec_lo, exec_lo, s4
	ds_store_b64 v26, v[18:19]
.LBB46_110:                             ;   in Loop: Header=BB46_42 Depth=1
	s_or_b32 exec_lo, exec_lo, s3
	v_mov_b64_e32 v[18:19], 0
	s_and_not1_b32 vcc_lo, exec_lo, s10
	s_wait_dscnt 0x0
	s_barrier_signal -1
	s_barrier_wait -1
	s_cbranch_vccnz .LBB46_41
; %bb.111:                              ;   in Loop: Header=BB46_42 Depth=1
	s_mov_b32 s3, 0
	s_and_not1_b32 vcc_lo, exec_lo, s52
	s_cbranch_vccnz .LBB46_115
; %bb.112:                              ;   in Loop: Header=BB46_42 Depth=1
	s_mov_b32 s4, 0
.LBB46_113:                             ;   Parent Loop BB46_42 Depth=1
                                        ; =>  This Inner Loop Header: Depth=2
	s_delay_alu instid0(SALU_CYCLE_1)
	v_mov_b32_e32 v3, s4
	s_add_co_i32 s3, s3, 8
	s_add_co_i32 s4, s4, 64
	s_cmp_lg_u32 s53, s3
	ds_load_2addr_b64 v[20:23], v3 offset1:1
	ds_load_2addr_b64 v[34:37], v3 offset0:2 offset1:3
	s_wait_dscnt 0x1
	v_add_f64_e32 v[18:19], v[18:19], v[20:21]
	s_delay_alu instid0(VALU_DEP_1) | instskip(SKIP_1) | instid1(VALU_DEP_1)
	v_add_f64_e32 v[18:19], v[18:19], v[22:23]
	s_wait_dscnt 0x0
	v_add_f64_e32 v[18:19], v[18:19], v[34:35]
	s_delay_alu instid0(VALU_DEP_1) | instskip(SKIP_4) | instid1(VALU_DEP_1)
	v_add_f64_e32 v[34:35], v[18:19], v[36:37]
	ds_load_2addr_b64 v[18:21], v3 offset0:4 offset1:5
	ds_load_2addr_b64 v[22:25], v3 offset0:6 offset1:7
	s_wait_dscnt 0x1
	v_add_f64_e32 v[18:19], v[34:35], v[18:19]
	v_add_f64_e32 v[18:19], v[18:19], v[20:21]
	s_wait_dscnt 0x0
	s_delay_alu instid0(VALU_DEP_1) | instskip(NEXT) | instid1(VALU_DEP_1)
	v_add_f64_e32 v[18:19], v[18:19], v[22:23]
	v_add_f64_e32 v[18:19], v[18:19], v[24:25]
	s_cbranch_scc1 .LBB46_113
; %bb.114:                              ;   in Loop: Header=BB46_42 Depth=1
	s_mov_b32 s3, s53
.LBB46_115:                             ;   in Loop: Header=BB46_42 Depth=1
	s_and_not1_b32 vcc_lo, exec_lo, s54
	s_cbranch_vccnz .LBB46_41
; %bb.116:                              ;   in Loop: Header=BB46_42 Depth=1
	s_lshl_b32 s3, s3, 3
	s_mov_b32 s4, s51
	s_add_co_i32 s3, s3, 0
.LBB46_117:                             ;   Parent Loop BB46_42 Depth=1
                                        ; =>  This Inner Loop Header: Depth=2
	s_delay_alu instid0(SALU_CYCLE_1)
	v_mov_b32_e32 v3, s3
	s_add_co_i32 s4, s4, -1
	s_add_co_i32 s3, s3, 8
	s_cmp_lg_u32 s4, 0
	ds_load_b64 v[20:21], v3
	s_wait_dscnt 0x0
	v_add_f64_e32 v[18:19], v[18:19], v[20:21]
	s_cbranch_scc1 .LBB46_117
	s_branch .LBB46_41
.LBB46_118:
	s_mul_u64 s[0:1], s[20:21], s[38:39]
	s_and_saveexec_b32 s3, s2
	s_cbranch_execz .LBB46_124
; %bb.119:
	s_mov_b32 s4, exec_lo
	v_cmpx_eq_u32_e32 0, v2
	s_cbranch_execz .LBB46_121
; %bb.120:
	v_cmp_gt_f64_e32 vcc_lo, 0x10000000, v[18:19]
	s_cmp_gt_i32 s35, s42
	v_mov_b32_e32 v3, s38
	s_cselect_b32 s5, -1, 0
	s_min_i32 s6, s35, s42
	s_and_b32 s7, vcc_lo, exec_lo
	s_cselect_b32 s7, 0x100, 0
	s_delay_alu instid0(SALU_CYCLE_1) | instskip(SKIP_1) | instid1(VALU_DEP_1)
	v_ldexp_f64 v[0:1], v[18:19], s7
	s_cselect_b32 s7, 0xffffff80, 0
	v_rsq_f64_e32 v[4:5], v[0:1]
	v_cmp_class_f64_e64 vcc_lo, v[0:1], 0x260
	s_delay_alu instid0(TRANS32_DEP_1) | instskip(SKIP_1) | instid1(VALU_DEP_1)
	v_mul_f64_e32 v[6:7], v[0:1], v[4:5]
	v_mul_f64_e32 v[4:5], 0.5, v[4:5]
	v_fma_f64 v[8:9], -v[4:5], v[6:7], 0.5
	s_delay_alu instid0(VALU_DEP_1) | instskip(SKIP_1) | instid1(VALU_DEP_2)
	v_fmac_f64_e32 v[6:7], v[6:7], v[8:9]
	v_fmac_f64_e32 v[4:5], v[4:5], v[8:9]
	v_fma_f64 v[8:9], -v[6:7], v[6:7], v[0:1]
	s_delay_alu instid0(VALU_DEP_1) | instskip(NEXT) | instid1(VALU_DEP_1)
	v_fmac_f64_e32 v[6:7], v[8:9], v[4:5]
	v_fma_f64 v[8:9], -v[6:7], v[6:7], v[0:1]
	s_delay_alu instid0(VALU_DEP_1) | instskip(NEXT) | instid1(VALU_DEP_1)
	v_fmac_f64_e32 v[6:7], v[8:9], v[4:5]
	v_ldexp_f64 v[4:5], v[6:7], s7
	s_delay_alu instid0(VALU_DEP_1)
	v_dual_cndmask_b32 v1, v5, v1 :: v_dual_cndmask_b32 v0, v4, v0
	v_mov_b32_e32 v4, s6
	v_cndmask_b32_e64 v5, 0, 1, s5
	s_clause 0x2
	global_store_b64 v3, v[0:1], s[30:31] scale_offset
	global_store_b32 v3, v4, s[16:17] scale_offset
	global_store_b32 v3, v5, s[22:23] scale_offset
.LBB46_121:
	s_wait_xcnt 0x0
	s_or_b32 exec_lo, exec_lo, s4
	v_cmp_gt_i32_e32 vcc_lo, s11, v2
	s_and_b32 exec_lo, exec_lo, vcc_lo
	s_cbranch_execz .LBB46_124
; %bb.122:
	s_ashr_i32 s35, s34, 31
	s_ashr_i32 s37, s36, 31
	v_mad_u32 v6, v2, s11, v2
	v_min_i64 v[0:1], s[34:35], s[36:37]
	v_ashrrev_i32_e32 v3, 31, v2
	s_lshl_b64 s[4:5], s[0:1], 3
	s_add_co_i32 s6, s11, 1
	s_add_nc_u64 s[4:5], s[18:19], s[4:5]
	s_delay_alu instid0(VALU_DEP_1) | instid1(SALU_CYCLE_1)
	v_lshl_add_u64 v[4:5], v[2:3], 3, s[4:5]
	v_mov_b32_e32 v3, v2
	s_mul_i32 s4, s14, s6
	s_mov_b32 s5, 0
	s_delay_alu instid0(VALU_DEP_4)
	v_lshlrev_b64_e32 v[0:1], 3, v[0:1]
.LBB46_123:                             ; =>This Inner Loop Header: Depth=1
	global_load_b64 v[8:9], v6, s[40:41] scale_offset
	s_wait_xcnt 0x0
	v_dual_add_nc_u32 v3, s14, v3 :: v_dual_add_nc_u32 v6, s4, v6
	s_delay_alu instid0(VALU_DEP_1)
	v_cmp_le_i32_e32 vcc_lo, s11, v3
	s_or_b32 s5, vcc_lo, s5
	s_wait_loadcnt 0x0
	global_store_b64 v[4:5], v[8:9], off
	s_wait_xcnt 0x0
	v_add_nc_u64_e32 v[4:5], v[4:5], v[0:1]
	s_and_not1_b32 exec_lo, exec_lo, s5
	s_cbranch_execnz .LBB46_123
.LBB46_124:
	s_or_b32 exec_lo, exec_lo, s3
	s_cmp_eq_u32 s8, 0xfb
	s_wait_storecnt 0x0
	s_cselect_b32 s3, -1, 0
	s_cmp_lt_i32 s11, 2
	s_barrier_signal -1
	s_cselect_b32 s4, -1, 0
	s_barrier_wait -1
	s_or_b32 s3, s3, s4
	s_delay_alu instid0(SALU_CYCLE_1)
	s_and_b32 vcc_lo, exec_lo, s3
	s_cbranch_vccnz .LBB46_135
; %bb.125:
	s_lshl_b64 s[4:5], s[0:1], 3
	s_cmp_lg_u32 s9, 0xd5
	v_cmp_gt_i32_e64 s0, s11, v2
	s_cselect_b32 s1, -1, 0
	s_ashr_i32 s35, s34, 31
	s_ashr_i32 s37, s36, 31
	v_dual_mov_b32 v3, 0 :: v_dual_mov_b32 v4, v2
	v_min_i64 v[0:1], s[34:35], s[36:37]
	s_add_nc_u64 s[4:5], s[18:19], s[4:5]
	s_mov_b32 s7, 0
	s_and_b32 s1, s1, s0
	s_add_co_i32 s3, s11, -2
	s_add_nc_u64 s[8:9], s[4:5], 8
	s_mov_b32 s6, s7
	v_cmp_eq_u32_e32 vcc_lo, 0, v2
	s_delay_alu instid0(VALU_DEP_2)
	v_lshlrev_b64_e32 v[0:1], 3, v[0:1]
	s_branch .LBB46_127
.LBB46_126:                             ;   in Loop: Header=BB46_127 Depth=1
	s_or_b32 exec_lo, exec_lo, s16
	v_add_nc_u32_e32 v4, s15, v4
	s_add_nc_u64 s[8:9], s[8:9], 8
	s_cmp_lg_u32 s6, s3
	s_mov_b32 s6, s10
	s_wait_storecnt 0x0
	s_barrier_signal -1
	s_barrier_wait -1
	s_cbranch_scc0 .LBB46_135
.LBB46_127:                             ; =>This Loop Header: Depth=1
                                        ;     Child Loop BB46_128 Depth 2
                                        ;     Child Loop BB46_134 Depth 2
	v_mov_b32_e32 v5, s6
	s_lshl_b64 s[12:13], s[6:7], 3
	s_add_co_i32 s10, s6, 1
	s_add_nc_u64 s[12:13], s[4:5], s[12:13]
	s_mov_b64 s[16:17], s[8:9]
	global_load_b64 v[6:7], v5, s[4:5] scale_offset
	s_mov_b32 s18, s6
	s_mov_b32 s19, s10
.LBB46_128:                             ;   Parent Loop BB46_127 Depth=1
                                        ; =>  This Inner Loop Header: Depth=2
	global_load_b64 v[8:9], v3, s[16:17]
	s_wait_xcnt 0x0
	s_add_nc_u64 s[16:17], s[16:17], 8
	s_wait_loadcnt 0x0
	v_cmp_lt_f64_e64 s0, v[8:9], v[6:7]
	s_delay_alu instid0(VALU_DEP_1) | instskip(SKIP_3) | instid1(SALU_CYCLE_1)
	v_dual_cndmask_b32 v7, v7, v9, s0 :: v_dual_cndmask_b32 v6, v6, v8, s0
	s_and_b32 s20, s0, exec_lo
	s_cselect_b32 s18, s19, s18
	s_add_co_i32 s19, s19, 1
	s_cmp_lg_u32 s11, s19
	s_cbranch_scc1 .LBB46_128
; %bb.129:                              ;   in Loop: Header=BB46_127 Depth=1
	s_cmp_lg_u32 s18, s6
	s_cselect_b32 s0, -1, 0
	s_barrier_signal -1
	s_and_b32 s0, s2, s0
	s_barrier_wait -1
	s_and_saveexec_b32 s16, s0
	s_cbranch_execz .LBB46_126
; %bb.130:                              ;   in Loop: Header=BB46_127 Depth=1
	s_and_saveexec_b32 s0, vcc_lo
	s_cbranch_execz .LBB46_132
; %bb.131:                              ;   in Loop: Header=BB46_127 Depth=1
	global_load_b64 v[8:9], v3, s[12:13]
	v_mov_b32_e32 v5, s18
	s_wait_loadcnt 0x0
	s_clause 0x1
	global_store_b64 v5, v[8:9], s[4:5] scale_offset
	global_store_b64 v3, v[6:7], s[12:13]
.LBB46_132:                             ;   in Loop: Header=BB46_127 Depth=1
	s_wait_xcnt 0x0
	s_or_b32 exec_lo, exec_lo, s0
	s_delay_alu instid0(SALU_CYCLE_1)
	s_and_b32 exec_lo, exec_lo, s1
	s_cbranch_execz .LBB46_126
; %bb.133:                              ;   in Loop: Header=BB46_127 Depth=1
	v_mad_u32 v8, s18, s15, v2
	v_ashrrev_i32_e32 v5, 31, v4
	v_mov_b64_e32 v[10:11], s[24:25]
	s_mov_b32 s12, 0
	s_delay_alu instid0(VALU_DEP_2) | instskip(NEXT) | instid1(VALU_DEP_4)
	v_lshlrev_b64_e32 v[6:7], 3, v[4:5]
	v_dual_mov_b32 v5, v2 :: v_dual_ashrrev_i32 v9, 31, v8
	s_delay_alu instid0(VALU_DEP_1)
	v_lshlrev_b64_e32 v[8:9], 3, v[8:9]
.LBB46_134:                             ;   Parent Loop BB46_127 Depth=1
                                        ; =>  This Inner Loop Header: Depth=2
	s_delay_alu instid0(VALU_DEP_3) | instskip(NEXT) | instid1(VALU_DEP_2)
	v_add_nc_u64_e32 v[12:13], v[10:11], v[6:7]
	v_add_nc_u64_e32 v[14:15], v[10:11], v[8:9]
	s_delay_alu instid0(VALU_DEP_4)
	v_add_nc_u32_e32 v5, s14, v5
	v_add_nc_u64_e32 v[10:11], v[10:11], v[0:1]
	s_clause 0x1
	global_load_b64 v[16:17], v[12:13], off
	global_load_b64 v[18:19], v[14:15], off
	v_cmp_le_i32_e64 s0, s11, v5
	s_wait_loadcnt 0x1
	global_store_b64 v[14:15], v[16:17], off
	s_wait_loadcnt 0x0
	global_store_b64 v[12:13], v[18:19], off
	s_or_b32 s12, s0, s12
	s_wait_xcnt 0x0
	s_and_not1_b32 exec_lo, exec_lo, s12
	s_cbranch_execnz .LBB46_134
	s_branch .LBB46_126
.LBB46_135:
	s_endpgm
	.section	.rodata,"a",@progbits
	.p2align	6, 0x0
	.amdhsa_kernel _ZN9rocsolver6v33100L18syevj_small_kernelIddPdEEv14rocblas_esort_14rocblas_evect_13rocblas_fill_iT1_iilT0_S7_PS7_iPiS8_lS9_PT_
		.amdhsa_group_segment_fixed_size 0
		.amdhsa_private_segment_fixed_size 0
		.amdhsa_kernarg_size 112
		.amdhsa_user_sgpr_count 2
		.amdhsa_user_sgpr_dispatch_ptr 0
		.amdhsa_user_sgpr_queue_ptr 0
		.amdhsa_user_sgpr_kernarg_segment_ptr 1
		.amdhsa_user_sgpr_dispatch_id 0
		.amdhsa_user_sgpr_kernarg_preload_length 0
		.amdhsa_user_sgpr_kernarg_preload_offset 0
		.amdhsa_user_sgpr_private_segment_size 0
		.amdhsa_wavefront_size32 1
		.amdhsa_uses_dynamic_stack 0
		.amdhsa_enable_private_segment 0
		.amdhsa_system_sgpr_workgroup_id_x 1
		.amdhsa_system_sgpr_workgroup_id_y 0
		.amdhsa_system_sgpr_workgroup_id_z 1
		.amdhsa_system_sgpr_workgroup_info 0
		.amdhsa_system_vgpr_workitem_id 0
		.amdhsa_next_free_vgpr 46
		.amdhsa_next_free_sgpr 61
		.amdhsa_named_barrier_count 0
		.amdhsa_reserve_vcc 1
		.amdhsa_float_round_mode_32 0
		.amdhsa_float_round_mode_16_64 0
		.amdhsa_float_denorm_mode_32 3
		.amdhsa_float_denorm_mode_16_64 3
		.amdhsa_fp16_overflow 0
		.amdhsa_memory_ordered 1
		.amdhsa_forward_progress 1
		.amdhsa_inst_pref_size 53
		.amdhsa_round_robin_scheduling 0
		.amdhsa_exception_fp_ieee_invalid_op 0
		.amdhsa_exception_fp_denorm_src 0
		.amdhsa_exception_fp_ieee_div_zero 0
		.amdhsa_exception_fp_ieee_overflow 0
		.amdhsa_exception_fp_ieee_underflow 0
		.amdhsa_exception_fp_ieee_inexact 0
		.amdhsa_exception_int_div_zero 0
	.end_amdhsa_kernel
	.section	.text._ZN9rocsolver6v33100L18syevj_small_kernelIddPdEEv14rocblas_esort_14rocblas_evect_13rocblas_fill_iT1_iilT0_S7_PS7_iPiS8_lS9_PT_,"axG",@progbits,_ZN9rocsolver6v33100L18syevj_small_kernelIddPdEEv14rocblas_esort_14rocblas_evect_13rocblas_fill_iT1_iilT0_S7_PS7_iPiS8_lS9_PT_,comdat
.Lfunc_end46:
	.size	_ZN9rocsolver6v33100L18syevj_small_kernelIddPdEEv14rocblas_esort_14rocblas_evect_13rocblas_fill_iT1_iilT0_S7_PS7_iPiS8_lS9_PT_, .Lfunc_end46-_ZN9rocsolver6v33100L18syevj_small_kernelIddPdEEv14rocblas_esort_14rocblas_evect_13rocblas_fill_iT1_iilT0_S7_PS7_iPiS8_lS9_PT_
                                        ; -- End function
	.set _ZN9rocsolver6v33100L18syevj_small_kernelIddPdEEv14rocblas_esort_14rocblas_evect_13rocblas_fill_iT1_iilT0_S7_PS7_iPiS8_lS9_PT_.num_vgpr, 46
	.set _ZN9rocsolver6v33100L18syevj_small_kernelIddPdEEv14rocblas_esort_14rocblas_evect_13rocblas_fill_iT1_iilT0_S7_PS7_iPiS8_lS9_PT_.num_agpr, 0
	.set _ZN9rocsolver6v33100L18syevj_small_kernelIddPdEEv14rocblas_esort_14rocblas_evect_13rocblas_fill_iT1_iilT0_S7_PS7_iPiS8_lS9_PT_.numbered_sgpr, 61
	.set _ZN9rocsolver6v33100L18syevj_small_kernelIddPdEEv14rocblas_esort_14rocblas_evect_13rocblas_fill_iT1_iilT0_S7_PS7_iPiS8_lS9_PT_.num_named_barrier, 0
	.set _ZN9rocsolver6v33100L18syevj_small_kernelIddPdEEv14rocblas_esort_14rocblas_evect_13rocblas_fill_iT1_iilT0_S7_PS7_iPiS8_lS9_PT_.private_seg_size, 0
	.set _ZN9rocsolver6v33100L18syevj_small_kernelIddPdEEv14rocblas_esort_14rocblas_evect_13rocblas_fill_iT1_iilT0_S7_PS7_iPiS8_lS9_PT_.uses_vcc, 1
	.set _ZN9rocsolver6v33100L18syevj_small_kernelIddPdEEv14rocblas_esort_14rocblas_evect_13rocblas_fill_iT1_iilT0_S7_PS7_iPiS8_lS9_PT_.uses_flat_scratch, 0
	.set _ZN9rocsolver6v33100L18syevj_small_kernelIddPdEEv14rocblas_esort_14rocblas_evect_13rocblas_fill_iT1_iilT0_S7_PS7_iPiS8_lS9_PT_.has_dyn_sized_stack, 0
	.set _ZN9rocsolver6v33100L18syevj_small_kernelIddPdEEv14rocblas_esort_14rocblas_evect_13rocblas_fill_iT1_iilT0_S7_PS7_iPiS8_lS9_PT_.has_recursion, 0
	.set _ZN9rocsolver6v33100L18syevj_small_kernelIddPdEEv14rocblas_esort_14rocblas_evect_13rocblas_fill_iT1_iilT0_S7_PS7_iPiS8_lS9_PT_.has_indirect_call, 0
	.section	.AMDGPU.csdata,"",@progbits
; Kernel info:
; codeLenInByte = 6748
; TotalNumSgprs: 63
; NumVgprs: 46
; ScratchSize: 0
; MemoryBound: 0
; FloatMode: 240
; IeeeMode: 1
; LDSByteSize: 0 bytes/workgroup (compile time only)
; SGPRBlocks: 0
; VGPRBlocks: 2
; NumSGPRsForWavesPerEU: 63
; NumVGPRsForWavesPerEU: 46
; NamedBarCnt: 0
; Occupancy: 16
; WaveLimiterHint : 0
; COMPUTE_PGM_RSRC2:SCRATCH_EN: 0
; COMPUTE_PGM_RSRC2:USER_SGPR: 2
; COMPUTE_PGM_RSRC2:TRAP_HANDLER: 0
; COMPUTE_PGM_RSRC2:TGID_X_EN: 1
; COMPUTE_PGM_RSRC2:TGID_Y_EN: 0
; COMPUTE_PGM_RSRC2:TGID_Z_EN: 1
; COMPUTE_PGM_RSRC2:TIDIG_COMP_CNT: 0
	.section	.text._ZN9rocsolver6v33100L10syevj_initIddPdEEv14rocblas_evect_13rocblas_fill_iiT1_iilT0_PS6_PT_S7_PiSA_SA_,"axG",@progbits,_ZN9rocsolver6v33100L10syevj_initIddPdEEv14rocblas_evect_13rocblas_fill_iiT1_iilT0_PS6_PT_S7_PiSA_SA_,comdat
	.globl	_ZN9rocsolver6v33100L10syevj_initIddPdEEv14rocblas_evect_13rocblas_fill_iiT1_iilT0_PS6_PT_S7_PiSA_SA_ ; -- Begin function _ZN9rocsolver6v33100L10syevj_initIddPdEEv14rocblas_evect_13rocblas_fill_iiT1_iilT0_PS6_PT_S7_PiSA_SA_
	.p2align	8
	.type	_ZN9rocsolver6v33100L10syevj_initIddPdEEv14rocblas_evect_13rocblas_fill_iiT1_iilT0_PS6_PT_S7_PiSA_SA_,@function
_ZN9rocsolver6v33100L10syevj_initIddPdEEv14rocblas_evect_13rocblas_fill_iiT1_iilT0_PS6_PT_S7_PiSA_SA_: ; @_ZN9rocsolver6v33100L10syevj_initIddPdEEv14rocblas_evect_13rocblas_fill_iiT1_iilT0_PS6_PT_S7_PiSA_SA_
; %bb.0:
	s_clause 0x2
	s_load_b32 s2, s[0:1], 0x6c
	s_load_b256 s[20:27], s[0:1], 0x0
	s_load_b512 s[4:19], s[0:1], 0x20
	s_wait_xcnt 0x0
	s_bfe_u32 s0, ttmp6, 0x40010
	s_bfe_u32 s1, ttmp6, 0x40004
	s_add_co_i32 s0, s0, 1
	s_getreg_b32 s3, hwreg(HW_REG_IB_STS2, 6, 4)
	s_mul_i32 s0, ttmp7, s0
	s_delay_alu instid0(SALU_CYCLE_1)
	s_add_co_i32 s1, s1, s0
	s_wait_kmcnt 0x0
	s_and_b32 s33, s2, 0xffff
	s_ashr_i32 s29, s26, 31
	s_cmp_eq_u32 s3, 0
	s_mov_b32 s28, s26
	s_cselect_b32 s2, ttmp7, s1
	s_lshl_b64 s[30:31], s[28:29], 3
	s_ashr_i32 s3, s2, 31
	s_mul_i32 s1, s23, s2
	s_mul_u64 s[4:5], s[4:5], s[2:3]
	s_mul_i32 s28, s1, s23
	s_lshl_b64 s[34:35], s[4:5], 3
	s_ashr_i32 s29, s28, 31
	v_cmp_gt_i32_e64 s0, s23, v0
	s_add_nc_u64 s[4:5], s[24:25], s[34:35]
	s_lshl_b64 s[28:29], s[28:29], 3
	s_cmp_eq_u32 s21, 0x79
	s_add_nc_u64 s[4:5], s[4:5], s[30:31]
	s_add_nc_u64 s[10:11], s[10:11], s[28:29]
	s_cbranch_scc1 .LBB47_12
; %bb.1:
	v_mov_b64_e32 v[4:5], 0
	v_mov_b64_e32 v[2:3], 0
	s_and_saveexec_b32 s1, s0
	s_cbranch_execz .LBB47_14
; %bb.2:
	v_dual_mov_b32 v3, 0 :: v_dual_lshlrev_b32 v2, 3, v0
	v_mul_lo_u32 v1, v0, s27
	v_mul_lo_u32 v6, v0, s23
	s_add_nc_u64 s[30:31], s[34:35], s[30:31]
	s_add_co_i32 s21, s23, 1
	s_add_nc_u64 s[24:25], s[24:25], s[30:31]
	v_add_nc_u64_e32 v[8:9], s[10:11], v[2:3]
	v_add_nc_u64_e32 v[10:11], s[24:25], v[2:3]
	v_mov_b64_e32 v[12:13], 0
	v_mov_b64_e32 v[14:15], 1.0
	v_mov_b64_e32 v[4:5], 0
	v_mov_b64_e32 v[2:3], 0
	s_cmp_lg_u32 s20, 0xd5
	v_mov_b32_e32 v26, v0
	s_cselect_b32 s26, -1, 0
	s_mov_b32 s29, 0
	s_ashr_i32 s35, s23, 31
	s_mov_b32 s34, s23
	s_ashr_i32 s31, s27, 31
	s_mov_b32 s30, s27
	s_mul_i32 s36, s27, s33
	s_mul_i32 s37, s23, s33
	s_lshl_b32 s28, s33, 3
	s_lshl_b64 s[24:25], s[34:35], 3
	s_lshl_b64 s[30:31], s[30:31], 3
	s_mov_b32 s34, s29
	s_branch .LBB47_5
.LBB47_3:                               ;   in Loop: Header=BB47_5 Depth=1
	s_or_b32 exec_lo, exec_lo, s38
.LBB47_4:                               ;   in Loop: Header=BB47_5 Depth=1
	s_delay_alu instid0(SALU_CYCLE_1)
	s_or_b32 exec_lo, exec_lo, s35
	v_fmac_f64_e32 v[4:5], v[16:17], v[16:17]
	v_dual_add_nc_u32 v26, s33, v26 :: v_dual_add_nc_u32 v1, s36, v1
	v_add_nc_u64_e32 v[8:9], s[28:29], v[8:9]
	v_add_nc_u64_e32 v[10:11], s[28:29], v[10:11]
	v_add_nc_u32_e32 v6, s37, v6
	s_delay_alu instid0(VALU_DEP_4) | instskip(SKIP_1) | instid1(SALU_CYCLE_1)
	v_cmp_le_i32_e32 vcc_lo, s23, v26
	s_or_b32 s34, vcc_lo, s34
	s_and_not1_b32 exec_lo, exec_lo, s34
	s_cbranch_execz .LBB47_13
.LBB47_5:                               ; =>This Loop Header: Depth=1
                                        ;     Child Loop BB47_10 Depth 2
	v_mad_u32 v18, v26, s27, v26
	v_mul_lo_u32 v7, v26, s21
	s_and_not1_b32 vcc_lo, exec_lo, s26
	global_load_b64 v[16:17], v18, s[4:5] scale_offset
	s_wait_loadcnt 0x0
	global_store_b64 v7, v[16:17], s[10:11] scale_offset
	s_cbranch_vccnz .LBB47_7
; %bb.6:                                ;   in Loop: Header=BB47_5 Depth=1
	v_ashrrev_i32_e32 v19, 31, v18
	s_wait_xcnt 0x1
	s_delay_alu instid0(VALU_DEP_1)
	v_lshl_add_u64 v[18:19], v[18:19], 3, s[4:5]
	global_store_b64 v[18:19], v[14:15], off
.LBB47_7:                               ;   in Loop: Header=BB47_5 Depth=1
	s_mov_b32 s35, exec_lo
	s_wait_xcnt 0x0
	v_cmpx_ne_u32_e32 0, v26
	s_cbranch_execz .LBB47_4
; %bb.8:                                ;   in Loop: Header=BB47_5 Depth=1
	v_ashrrev_i32_e32 v7, 31, v6
	v_mov_b64_e32 v[18:19], v[10:11]
	v_mov_b64_e32 v[22:23], v[8:9]
	s_mov_b32 s38, 0
	s_mov_b32 s39, 0
	v_lshl_add_u64 v[20:21], v[6:7], 3, s[10:11]
	s_branch .LBB47_10
.LBB47_9:                               ;   in Loop: Header=BB47_10 Depth=2
	s_wait_xcnt 0x0
	v_mul_f64_e32 v[24:25], v[24:25], v[24:25]
	s_add_co_i32 s39, s39, 1
	v_add_nc_u64_e32 v[20:21], 8, v[20:21]
	v_add_nc_u64_e32 v[22:23], s[24:25], v[22:23]
	v_cmp_eq_u32_e32 vcc_lo, s39, v26
	v_add_nc_u64_e32 v[18:19], s[30:31], v[18:19]
	s_or_b32 s38, vcc_lo, s38
	v_fmac_f64_e32 v[2:3], 2.0, v[24:25]
	s_and_not1_b32 exec_lo, exec_lo, s38
	s_cbranch_execz .LBB47_3
.LBB47_10:                              ;   Parent Loop BB47_5 Depth=1
                                        ; =>  This Inner Loop Header: Depth=2
	global_load_b64 v[24:25], v[18:19], off
	s_and_not1_b32 vcc_lo, exec_lo, s26
	s_wait_loadcnt 0x0
	global_store_b64 v[22:23], v[24:25], off
	global_store_b64 v[20:21], v[24:25], off
	s_cbranch_vccnz .LBB47_9
; %bb.11:                               ;   in Loop: Header=BB47_10 Depth=2
	v_add_nc_u32_e32 v7, s39, v1
	global_store_b64 v[18:19], v[12:13], off
	global_store_b64 v7, v[12:13], s[4:5] scale_offset
	s_branch .LBB47_9
.LBB47_12:
                                        ; implicit-def: $vgpr4_vgpr5
                                        ; implicit-def: $vgpr2_vgpr3
	s_branch .LBB47_15
.LBB47_13:
	s_or_b32 exec_lo, exec_lo, s34
.LBB47_14:
	s_delay_alu instid0(SALU_CYCLE_1)
	s_or_b32 exec_lo, exec_lo, s1
	s_cbranch_execnz .LBB47_28
.LBB47_15:
	v_mov_b64_e32 v[4:5], 0
	v_mov_b64_e32 v[2:3], 0
	s_and_saveexec_b32 s1, s0
	s_cbranch_execz .LBB47_27
; %bb.16:
	s_add_co_i32 s0, s23, 1
	s_cmp_lg_u32 s20, 0xd5
	v_mul_lo_u32 v21, v0, s27
	s_cselect_b32 s20, -1, 0
	s_add_co_i32 s21, s23, -1
	v_mov_b64_e32 v[8:9], 0
	v_mad_u32 v1, s27, s21, v0
	v_mad_u32 v20, s23, s21, v0
	;; [unrolled: 1-line block ×3, first 2 shown]
	v_mov_b64_e32 v[10:11], 1.0
	v_mov_b64_e32 v[4:5], 0
	v_mov_b64_e32 v[2:3], 0
	v_mov_b32_e32 v22, v0
	s_mul_i32 s24, s23, s33
	s_mul_i32 s26, s27, s33
	s_mov_b32 s25, 0
	s_branch .LBB47_19
.LBB47_17:                              ;   in Loop: Header=BB47_19 Depth=1
	s_or_b32 exec_lo, exec_lo, s29
.LBB47_18:                              ;   in Loop: Header=BB47_19 Depth=1
	s_delay_alu instid0(SALU_CYCLE_1) | instskip(SKIP_4) | instid1(VALU_DEP_3)
	s_or_b32 exec_lo, exec_lo, s28
	v_fmac_f64_e32 v[4:5], v[12:13], v[12:13]
	v_dual_add_nc_u32 v22, s33, v22 :: v_dual_add_nc_u32 v1, s33, v1
	v_dual_add_nc_u32 v20, s33, v20 :: v_dual_add_nc_u32 v6, s24, v6
	v_add_nc_u32_e32 v21, s26, v21
	v_cmp_le_i32_e32 vcc_lo, s23, v22
	s_or_b32 s25, vcc_lo, s25
	s_delay_alu instid0(SALU_CYCLE_1)
	s_and_not1_b32 exec_lo, exec_lo, s25
	s_cbranch_execz .LBB47_26
.LBB47_19:                              ; =>This Loop Header: Depth=1
                                        ;     Child Loop BB47_24 Depth 2
	v_mad_u32 v14, v22, s27, v22
	v_mul_lo_u32 v7, v22, s0
	s_and_not1_b32 vcc_lo, exec_lo, s20
	global_load_b64 v[12:13], v14, s[4:5] scale_offset
	s_wait_loadcnt 0x0
	global_store_b64 v7, v[12:13], s[10:11] scale_offset
	s_cbranch_vccnz .LBB47_21
; %bb.20:                               ;   in Loop: Header=BB47_19 Depth=1
	v_ashrrev_i32_e32 v15, 31, v14
	s_wait_xcnt 0x1
	s_delay_alu instid0(VALU_DEP_1)
	v_lshl_add_u64 v[14:15], v[14:15], 3, s[4:5]
	global_store_b64 v[14:15], v[10:11], off
.LBB47_21:                              ;   in Loop: Header=BB47_19 Depth=1
	s_mov_b32 s28, exec_lo
	s_wait_xcnt 0x0
	v_cmpx_gt_i32_e64 s21, v22
	s_cbranch_execz .LBB47_18
; %bb.22:                               ;   in Loop: Header=BB47_19 Depth=1
	v_dual_ashrrev_i32 v7, 31, v6 :: v_dual_mov_b32 v23, v20
	v_mov_b32_e32 v16, v1
	s_mov_b32 s29, 0
	s_mov_b32 s30, s21
	s_delay_alu instid0(VALU_DEP_2)
	v_lshl_add_u64 v[14:15], v[6:7], 3, s[10:11]
	s_branch .LBB47_24
.LBB47_23:                              ;   in Loop: Header=BB47_24 Depth=2
	s_wait_xcnt 0x0
	v_mul_f64_e32 v[18:19], v[18:19], v[18:19]
	s_add_co_i32 s30, s30, -1
	v_add_nc_u64_e32 v[14:15], -8, v[14:15]
	v_cmp_le_i32_e32 vcc_lo, s30, v22
	v_subrev_nc_u32_e32 v16, s27, v16
	v_subrev_nc_u32_e32 v23, s23, v23
	s_or_b32 s29, vcc_lo, s29
	v_fmac_f64_e32 v[2:3], 2.0, v[18:19]
	s_and_not1_b32 exec_lo, exec_lo, s29
	s_cbranch_execz .LBB47_17
.LBB47_24:                              ;   Parent Loop BB47_19 Depth=1
                                        ; =>  This Inner Loop Header: Depth=2
	global_load_b64 v[18:19], v16, s[4:5] scale_offset
	s_and_not1_b32 vcc_lo, exec_lo, s20
	s_wait_loadcnt 0x0
	global_store_b64 v23, v[18:19], s[10:11] scale_offset
	global_store_b64 v[14:15], v[18:19], off
	s_cbranch_vccnz .LBB47_23
; %bb.25:                               ;   in Loop: Header=BB47_24 Depth=2
	v_dual_ashrrev_i32 v17, 31, v16 :: v_dual_add_nc_u32 v7, s30, v21
	s_delay_alu instid0(VALU_DEP_1)
	v_lshl_add_u64 v[24:25], v[16:17], 3, s[4:5]
	s_clause 0x1
	global_store_b64 v[24:25], v[8:9], off
	global_store_b64 v7, v[8:9], s[4:5] scale_offset
	s_branch .LBB47_23
.LBB47_26:
	s_or_b32 exec_lo, exec_lo, s25
.LBB47_27:
	s_delay_alu instid0(SALU_CYCLE_1)
	s_or_b32 exec_lo, exec_lo, s1
.LBB47_28:
	v_lshlrev_b32_e32 v1, 3, v0
	s_lshl_b32 s1, s33, 3
	s_mov_b32 s0, exec_lo
	s_delay_alu instid0(VALU_DEP_1)
	v_add_nc_u32_e32 v6, 0, v1
	v_add3_u32 v1, 0, s1, v1
	ds_store_b64 v6, v[2:3]
	ds_store_b64 v1, v[4:5]
	s_wait_storecnt_dscnt 0x0
	s_barrier_signal -1
	s_barrier_wait -1
	v_cmpx_eq_u32_e32 0, v0
	s_cbranch_execz .LBB47_40
; %bb.29:
	s_min_i32 s4, s23, s33
	s_delay_alu instid0(SALU_CYCLE_1)
	s_cmp_lt_i32 s4, 2
	s_cbranch_scc1 .LBB47_37
; %bb.30:
	s_add_co_i32 s5, s4, -2
	s_add_co_i32 s4, s4, -1
	s_cmp_lt_u32 s5, 7
	s_cbranch_scc1 .LBB47_34
; %bb.31:
	s_and_b32 s5, s4, -8
	s_mov_b32 s11, 0
	s_add_co_i32 s10, 0, 8
.LBB47_32:                              ; =>This Inner Loop Header: Depth=1
	s_delay_alu instid0(SALU_CYCLE_1) | instskip(NEXT) | instid1(SALU_CYCLE_1)
	s_add_co_i32 s20, s10, s1
	v_dual_mov_b32 v1, s10 :: v_dual_mov_b32 v22, s20
	s_mov_b32 s20, s11
	s_add_co_i32 s11, s11, 8
	s_add_co_i32 s10, s10, 64
	ds_load_2addr_b64 v[6:9], v1 offset1:1
	ds_load_2addr_b64 v[10:13], v22 offset1:1
	ds_load_2addr_b64 v[14:17], v1 offset0:2 offset1:3
	ds_load_2addr_b64 v[18:21], v22 offset0:2 offset1:3
	s_cmp_lg_u32 s5, s11
	s_wait_dscnt 0x3
	v_add_f64_e32 v[2:3], v[2:3], v[6:7]
	s_wait_dscnt 0x2
	v_add_f64_e32 v[4:5], v[4:5], v[10:11]
	s_delay_alu instid0(VALU_DEP_2) | instskip(NEXT) | instid1(VALU_DEP_2)
	v_add_f64_e32 v[2:3], v[2:3], v[8:9]
	v_add_f64_e32 v[4:5], v[4:5], v[12:13]
	s_wait_dscnt 0x1
	s_delay_alu instid0(VALU_DEP_2) | instskip(SKIP_1) | instid1(VALU_DEP_2)
	v_add_f64_e32 v[2:3], v[2:3], v[14:15]
	s_wait_dscnt 0x0
	v_add_f64_e32 v[4:5], v[4:5], v[18:19]
	s_delay_alu instid0(VALU_DEP_2) | instskip(NEXT) | instid1(VALU_DEP_2)
	v_add_f64_e32 v[18:19], v[2:3], v[16:17]
	v_add_f64_e32 v[20:21], v[4:5], v[20:21]
	ds_load_2addr_b64 v[2:5], v1 offset0:4 offset1:5
	ds_load_2addr_b64 v[6:9], v22 offset0:4 offset1:5
	;; [unrolled: 1-line block ×4, first 2 shown]
	s_wait_dscnt 0x3
	v_add_f64_e32 v[2:3], v[18:19], v[2:3]
	s_wait_dscnt 0x2
	v_add_f64_e32 v[6:7], v[20:21], v[6:7]
	s_delay_alu instid0(VALU_DEP_2) | instskip(NEXT) | instid1(VALU_DEP_2)
	v_add_f64_e32 v[2:3], v[2:3], v[4:5]
	v_add_f64_e32 v[4:5], v[6:7], v[8:9]
	s_wait_dscnt 0x1
	s_delay_alu instid0(VALU_DEP_2) | instskip(SKIP_1) | instid1(VALU_DEP_2)
	v_add_f64_e32 v[2:3], v[2:3], v[10:11]
	s_wait_dscnt 0x0
	v_add_f64_e32 v[4:5], v[4:5], v[14:15]
	s_delay_alu instid0(VALU_DEP_2) | instskip(NEXT) | instid1(VALU_DEP_2)
	v_add_f64_e32 v[2:3], v[2:3], v[12:13]
	v_add_f64_e32 v[4:5], v[4:5], v[16:17]
	s_cbranch_scc1 .LBB47_32
; %bb.33:
	s_add_co_i32 s5, s20, 9
	s_and_b32 s4, s4, 7
	s_delay_alu instid0(SALU_CYCLE_1)
	s_cmp_eq_u32 s4, 0
	s_cbranch_scc0 .LBB47_35
	s_branch .LBB47_37
.LBB47_34:
	s_mov_b32 s5, 1
	s_and_b32 s4, s4, 7
	s_delay_alu instid0(SALU_CYCLE_1)
	s_cmp_eq_u32 s4, 0
	s_cbranch_scc1 .LBB47_37
.LBB47_35:
	s_lshl_b32 s5, s5, 3
	s_delay_alu instid0(SALU_CYCLE_1)
	s_add_co_i32 s5, s5, 0
.LBB47_36:                              ; =>This Inner Loop Header: Depth=1
	s_delay_alu instid0(SALU_CYCLE_1) | instskip(NEXT) | instid1(SALU_CYCLE_1)
	s_add_co_i32 s10, s5, s1
	v_dual_mov_b32 v1, s5 :: v_dual_mov_b32 v8, s10
	s_add_co_i32 s4, s4, -1
	s_add_co_i32 s5, s5, 8
	s_cmp_lg_u32 s4, 0
	ds_load_b64 v[6:7], v1
	ds_load_b64 v[8:9], v8
	s_wait_dscnt 0x1
	v_add_f64_e32 v[2:3], v[2:3], v[6:7]
	s_wait_dscnt 0x0
	v_add_f64_e32 v[4:5], v[4:5], v[8:9]
	s_cbranch_scc1 .LBB47_36
.LBB47_37:
	s_delay_alu instid0(VALU_DEP_1) | instskip(SKIP_1) | instid1(VALU_DEP_1)
	v_dual_add_f64 v[4:5], v[2:3], v[4:5] :: v_dual_mov_b32 v1, 0
	s_lshl_b64 s[4:5], s[2:3], 3
	v_mul_f64_e32 v[4:5], s[6:7], v[4:5]
	s_delay_alu instid0(VALU_DEP_1)
	v_mul_f64_e32 v[4:5], s[6:7], v[4:5]
	s_add_nc_u64 s[6:7], s[12:13], s[4:5]
	s_add_nc_u64 s[4:5], s[8:9], s[4:5]
	s_clause 0x2
	global_store_b64 v1, v[4:5], s[6:7]
	global_store_b64 v1, v[2:3], s[4:5]
	global_load_b64 v[4:5], v1, s[6:7]
	s_wait_loadcnt 0x0
	v_cmp_lt_f64_e32 vcc_lo, v[2:3], v[4:5]
	s_wait_xcnt 0x0
	s_and_b32 exec_lo, exec_lo, vcc_lo
	s_cbranch_execz .LBB47_40
; %bb.38:
	s_mov_b32 s1, exec_lo
	v_mov_b32_e32 v3, 1
	v_mbcnt_lo_u32_b32 v2, s1, 0
	s_lshl_b64 s[4:5], s[2:3], 2
	s_delay_alu instid0(SALU_CYCLE_1)
	s_add_nc_u64 s[4:5], s[18:19], s[4:5]
	global_store_b32 v1, v3, s[4:5] offset:4
	v_cmp_eq_u32_e32 vcc_lo, 0, v2
	s_and_b32 s3, exec_lo, vcc_lo
	s_wait_xcnt 0x0
	s_mov_b32 exec_lo, s3
	s_cbranch_execz .LBB47_40
; %bb.39:
	s_bcnt1_i32_b32 s1, s1
	s_delay_alu instid0(SALU_CYCLE_1)
	v_dual_mov_b32 v1, 0 :: v_dual_mov_b32 v2, s1
	global_atomic_add_u32 v1, v2, s[18:19] scope:SCOPE_DEV
.LBB47_40:
	s_wait_xcnt 0x0
	s_or_b32 exec_lo, exec_lo, s0
	s_cmp_eq_u32 s2, 0
	v_cmp_gt_i32_e32 vcc_lo, s22, v0
	s_cselect_b32 s0, -1, 0
	s_cmp_lg_u64 s[14:15], 0
	s_cselect_b32 s1, -1, 0
	s_cmp_lg_u64 s[16:17], 0
	s_cselect_b32 s2, -1, 0
	s_delay_alu instid0(SALU_CYCLE_1) | instskip(NEXT) | instid1(SALU_CYCLE_1)
	s_and_b32 s1, s1, s2
	s_and_b32 s0, s1, s0
	s_mov_b32 s1, 0
	s_and_b32 s0, s0, vcc_lo
	s_delay_alu instid0(SALU_CYCLE_1)
	s_and_saveexec_b32 s2, s0
	s_cbranch_execz .LBB47_43
; %bb.41:
	v_dual_lshlrev_b32 v1, 1, v0 :: v_dual_lshlrev_b32 v2, 2, v0
	v_mov_b32_e32 v3, 0
	s_lshl_b32 s2, s33, 1
	s_lshl_b32 s0, s33, 2
	s_mov_b32 s3, s1
.LBB47_42:                              ; =>This Inner Loop Header: Depth=1
	v_dual_add_nc_u32 v0, s33, v0 :: v_dual_add_nc_u32 v8, 1, v1
	v_add_nc_u64_e32 v[4:5], s[14:15], v[2:3]
	v_add_nc_u64_e32 v[6:7], s[16:17], v[2:3]
	v_add_nc_u64_e32 v[2:3], s[0:1], v[2:3]
	s_delay_alu instid0(VALU_DEP_4)
	v_cmp_le_i32_e32 vcc_lo, s22, v0
	global_store_b32 v[4:5], v1, off
	s_wait_xcnt 0x0
	v_add_nc_u32_e32 v1, s2, v1
	s_or_b32 s3, vcc_lo, s3
	global_store_b32 v[6:7], v8, off
	s_wait_xcnt 0x0
	s_and_not1_b32 exec_lo, exec_lo, s3
	s_cbranch_execnz .LBB47_42
.LBB47_43:
	s_endpgm
	.section	.rodata,"a",@progbits
	.p2align	6, 0x0
	.amdhsa_kernel _ZN9rocsolver6v33100L10syevj_initIddPdEEv14rocblas_evect_13rocblas_fill_iiT1_iilT0_PS6_PT_S7_PiSA_SA_
		.amdhsa_group_segment_fixed_size 0
		.amdhsa_private_segment_fixed_size 0
		.amdhsa_kernarg_size 352
		.amdhsa_user_sgpr_count 2
		.amdhsa_user_sgpr_dispatch_ptr 0
		.amdhsa_user_sgpr_queue_ptr 0
		.amdhsa_user_sgpr_kernarg_segment_ptr 1
		.amdhsa_user_sgpr_dispatch_id 0
		.amdhsa_user_sgpr_kernarg_preload_length 0
		.amdhsa_user_sgpr_kernarg_preload_offset 0
		.amdhsa_user_sgpr_private_segment_size 0
		.amdhsa_wavefront_size32 1
		.amdhsa_uses_dynamic_stack 0
		.amdhsa_enable_private_segment 0
		.amdhsa_system_sgpr_workgroup_id_x 1
		.amdhsa_system_sgpr_workgroup_id_y 1
		.amdhsa_system_sgpr_workgroup_id_z 0
		.amdhsa_system_sgpr_workgroup_info 0
		.amdhsa_system_vgpr_workitem_id 0
		.amdhsa_next_free_vgpr 27
		.amdhsa_next_free_sgpr 40
		.amdhsa_named_barrier_count 0
		.amdhsa_reserve_vcc 1
		.amdhsa_float_round_mode_32 0
		.amdhsa_float_round_mode_16_64 0
		.amdhsa_float_denorm_mode_32 3
		.amdhsa_float_denorm_mode_16_64 3
		.amdhsa_fp16_overflow 0
		.amdhsa_memory_ordered 1
		.amdhsa_forward_progress 1
		.amdhsa_inst_pref_size 16
		.amdhsa_round_robin_scheduling 0
		.amdhsa_exception_fp_ieee_invalid_op 0
		.amdhsa_exception_fp_denorm_src 0
		.amdhsa_exception_fp_ieee_div_zero 0
		.amdhsa_exception_fp_ieee_overflow 0
		.amdhsa_exception_fp_ieee_underflow 0
		.amdhsa_exception_fp_ieee_inexact 0
		.amdhsa_exception_int_div_zero 0
	.end_amdhsa_kernel
	.section	.text._ZN9rocsolver6v33100L10syevj_initIddPdEEv14rocblas_evect_13rocblas_fill_iiT1_iilT0_PS6_PT_S7_PiSA_SA_,"axG",@progbits,_ZN9rocsolver6v33100L10syevj_initIddPdEEv14rocblas_evect_13rocblas_fill_iiT1_iilT0_PS6_PT_S7_PiSA_SA_,comdat
.Lfunc_end47:
	.size	_ZN9rocsolver6v33100L10syevj_initIddPdEEv14rocblas_evect_13rocblas_fill_iiT1_iilT0_PS6_PT_S7_PiSA_SA_, .Lfunc_end47-_ZN9rocsolver6v33100L10syevj_initIddPdEEv14rocblas_evect_13rocblas_fill_iiT1_iilT0_PS6_PT_S7_PiSA_SA_
                                        ; -- End function
	.set _ZN9rocsolver6v33100L10syevj_initIddPdEEv14rocblas_evect_13rocblas_fill_iiT1_iilT0_PS6_PT_S7_PiSA_SA_.num_vgpr, 27
	.set _ZN9rocsolver6v33100L10syevj_initIddPdEEv14rocblas_evect_13rocblas_fill_iiT1_iilT0_PS6_PT_S7_PiSA_SA_.num_agpr, 0
	.set _ZN9rocsolver6v33100L10syevj_initIddPdEEv14rocblas_evect_13rocblas_fill_iiT1_iilT0_PS6_PT_S7_PiSA_SA_.numbered_sgpr, 40
	.set _ZN9rocsolver6v33100L10syevj_initIddPdEEv14rocblas_evect_13rocblas_fill_iiT1_iilT0_PS6_PT_S7_PiSA_SA_.num_named_barrier, 0
	.set _ZN9rocsolver6v33100L10syevj_initIddPdEEv14rocblas_evect_13rocblas_fill_iiT1_iilT0_PS6_PT_S7_PiSA_SA_.private_seg_size, 0
	.set _ZN9rocsolver6v33100L10syevj_initIddPdEEv14rocblas_evect_13rocblas_fill_iiT1_iilT0_PS6_PT_S7_PiSA_SA_.uses_vcc, 1
	.set _ZN9rocsolver6v33100L10syevj_initIddPdEEv14rocblas_evect_13rocblas_fill_iiT1_iilT0_PS6_PT_S7_PiSA_SA_.uses_flat_scratch, 0
	.set _ZN9rocsolver6v33100L10syevj_initIddPdEEv14rocblas_evect_13rocblas_fill_iiT1_iilT0_PS6_PT_S7_PiSA_SA_.has_dyn_sized_stack, 0
	.set _ZN9rocsolver6v33100L10syevj_initIddPdEEv14rocblas_evect_13rocblas_fill_iiT1_iilT0_PS6_PT_S7_PiSA_SA_.has_recursion, 0
	.set _ZN9rocsolver6v33100L10syevj_initIddPdEEv14rocblas_evect_13rocblas_fill_iiT1_iilT0_PS6_PT_S7_PiSA_SA_.has_indirect_call, 0
	.section	.AMDGPU.csdata,"",@progbits
; Kernel info:
; codeLenInByte = 1924
; TotalNumSgprs: 42
; NumVgprs: 27
; ScratchSize: 0
; MemoryBound: 0
; FloatMode: 240
; IeeeMode: 1
; LDSByteSize: 0 bytes/workgroup (compile time only)
; SGPRBlocks: 0
; VGPRBlocks: 1
; NumSGPRsForWavesPerEU: 42
; NumVGPRsForWavesPerEU: 27
; NamedBarCnt: 0
; Occupancy: 16
; WaveLimiterHint : 0
; COMPUTE_PGM_RSRC2:SCRATCH_EN: 0
; COMPUTE_PGM_RSRC2:USER_SGPR: 2
; COMPUTE_PGM_RSRC2:TRAP_HANDLER: 0
; COMPUTE_PGM_RSRC2:TGID_X_EN: 1
; COMPUTE_PGM_RSRC2:TGID_Y_EN: 1
; COMPUTE_PGM_RSRC2:TGID_Z_EN: 0
; COMPUTE_PGM_RSRC2:TIDIG_COMP_CNT: 0
	.section	.text._ZN9rocsolver6v33100L17syevj_diag_kernelIddPdEEviT1_iilT0_PT_Pi,"axG",@progbits,_ZN9rocsolver6v33100L17syevj_diag_kernelIddPdEEviT1_iilT0_PT_Pi,comdat
	.globl	_ZN9rocsolver6v33100L17syevj_diag_kernelIddPdEEviT1_iilT0_PT_Pi ; -- Begin function _ZN9rocsolver6v33100L17syevj_diag_kernelIddPdEEviT1_iilT0_PT_Pi
	.p2align	8
	.type	_ZN9rocsolver6v33100L17syevj_diag_kernelIddPdEEviT1_iilT0_PT_Pi,@function
_ZN9rocsolver6v33100L17syevj_diag_kernelIddPdEEviT1_iilT0_PT_Pi: ; @_ZN9rocsolver6v33100L17syevj_diag_kernelIddPdEEviT1_iilT0_PT_Pi
; %bb.0:
	s_load_b256 s[4:11], s[0:1], 0x18
	s_bfe_u32 s2, ttmp6, 0x40014
	s_lshr_b32 s3, ttmp7, 16
	s_add_co_i32 s2, s2, 1
	s_bfe_u32 s13, ttmp6, 0x40008
	s_mul_i32 s12, s3, s2
	s_getreg_b32 s2, hwreg(HW_REG_IB_STS2, 6, 4)
	s_add_co_i32 s13, s13, s12
	s_cmp_eq_u32 s2, 0
	s_mov_b32 s15, 0
	s_cselect_b32 s14, s3, s13
	s_wait_kmcnt 0x0
	s_load_b32 s3, s[10:11], s14 offset:0x4 scale_offset
	s_wait_kmcnt 0x0
	s_cmp_lg_u32 s3, 0
	s_cbranch_scc1 .LBB48_48
; %bb.1:
	s_clause 0x1
	s_load_b32 s16, s[0:1], 0x0
	s_load_b32 s3, s[0:1], 0x44
	s_bfe_u32 s10, ttmp6, 0x4000c
	s_and_b32 s11, ttmp6, 15
	s_add_co_i32 s10, s10, 1
	v_and_b32_e32 v18, 0x3ff, v0
	s_mul_i32 s10, ttmp9, s10
	v_bfe_u32 v0, v0, 10, 10
	s_add_co_i32 s11, s11, s10
	s_cmp_eq_u32 s2, 0
	s_cselect_b32 s2, ttmp9, s11
	s_delay_alu instid0(VALU_DEP_1)
	v_max_i32_e32 v1, v18, v0
	s_wait_kmcnt 0x0
	s_add_co_i32 s10, s16, -1
	s_and_b32 s3, s3, 0xffff
	s_lshr_b32 s11, s10, 31
	s_lshl_b32 s20, s3, 1
	s_add_co_i32 s10, s10, s11
	s_mul_i32 s17, s20, s2
	s_and_b32 s3, s10, -2
	s_mov_b32 s10, exec_lo
	s_sub_co_i32 s3, s3, s17
	s_delay_alu instid0(SALU_CYCLE_1) | instskip(NEXT) | instid1(SALU_CYCLE_1)
	s_add_co_i32 s3, s3, 2
	s_min_i32 s3, s20, s3
	s_delay_alu instid0(SALU_CYCLE_1) | instskip(NEXT) | instid1(SALU_CYCLE_1)
	s_ashr_i32 s21, s3, 1
	v_cmpx_gt_i32_e64 s21, v1
	s_cbranch_execz .LBB48_48
; %bb.2:
	s_cmp_eq_u64 s[8:9], 0
	s_mov_b64 s[12:13], 0
	s_cbranch_scc1 .LBB48_4
; %bb.3:
	s_add_nc_u64 s[10:11], s[0:1], 56
	s_load_b32 s10, s[10:11], 0x0
	s_wait_kmcnt 0x0
	s_mul_i32 s10, s10, s14
	s_delay_alu instid0(SALU_CYCLE_1) | instskip(NEXT) | instid1(SALU_CYCLE_1)
	s_add_co_i32 s10, s10, s2
	s_mul_i32 s2, s20, s10
	s_delay_alu instid0(SALU_CYCLE_1) | instskip(NEXT) | instid1(SALU_CYCLE_1)
	s_mul_i32 s10, s2, s20
	s_ashr_i32 s11, s10, 31
	s_delay_alu instid0(SALU_CYCLE_1) | instskip(NEXT) | instid1(SALU_CYCLE_1)
	s_lshl_b64 s[10:11], s[10:11], 3
	s_add_nc_u64 s[12:13], s[8:9], s[10:11]
.LBB48_4:
	v_dual_lshlrev_b32 v1, 1, v18 :: v_dual_lshlrev_b32 v2, 1, v0
	s_cmp_lg_u64 s[12:13], 0
	s_cselect_b32 s18, -1, 0
	s_cmp_eq_u64 s[12:13], 0
	s_cbranch_scc1 .LBB48_6
; %bb.5:
	v_cmp_eq_u32_e32 vcc_lo, v1, v2
	v_mad_u32_u24 v3, s20, v2, v1
	v_mov_b64_e32 v[6:7], 0
	v_mov_b32_e32 v4, 0
	v_cndmask_b32_e64 v5, 0, 0x3ff00000, vcc_lo
	s_delay_alu instid0(VALU_DEP_4)
	v_add_nc_u32_e32 v8, s20, v3
	s_clause 0x3
	global_store_b64 v3, v[4:5], s[12:13] scale_offset
	global_store_b64 v8, v[6:7], s[12:13] scale_offset
	global_store_b64 v3, v[6:7], s[12:13] offset:8 scale_offset
	global_store_b64 v8, v[4:5], s[12:13] offset:8 scale_offset
.LBB48_6:
	s_wait_xcnt 0x1
	v_dual_add_nc_u32 v19, s17, v1 :: v_dual_lshlrev_b32 v3, 2, v18
	s_lshl_b32 s8, s21, 3
	v_cmp_eq_u32_e64 s2, 0, v0
	s_add_co_i32 s22, s8, 0
	v_or_b32_e32 v20, 1, v19
	s_add_co_i32 s23, s22, s8
	s_lshl_b32 s8, s21, 2
	s_delay_alu instid0(SALU_CYCLE_1)
	s_add_co_i32 s19, s23, s8
	s_wait_xcnt 0x0
	s_and_saveexec_b32 s8, s2
	s_cbranch_execz .LBB48_8
; %bb.7:
	v_dual_add_nc_u32 v0, s23, v3 :: v_dual_add_nc_u32 v1, s19, v3
	ds_store_b32 v0, v19
	ds_store_b32 v1, v20
.LBB48_8:
	s_or_b32 exec_lo, exec_lo, s8
	s_cmp_lt_i32 s3, 2
	s_cbranch_scc1 .LBB48_48
; %bb.9:
	v_div_scale_f64 v[0:1], null, s[6:7], s[6:7], 0x100000
	s_mov_b64 s[8:9], 0x10000000000000
	s_add_co_i32 s21, s21, -1
	s_mul_u64 s[4:5], s[4:5], s[14:15]
	v_mul_u32_u24_e32 v25, s20, v2
	v_mad_u32_u24 v28, s20, v2, s20
	s_lshl_b64 s[4:5], s[4:5], 3
                                        ; implicit-def: $vgpr10_vgpr11
	v_dual_add_nc_u32 v21, s17, v2 :: v_dual_add_nc_u32 v26, s23, v3
	v_rcp_f64_e32 v[4:5], v[0:1]
	v_nop
	s_delay_alu instid0(TRANS32_DEP_1) | instskip(NEXT) | instid1(VALU_DEP_1)
	v_fma_f64 v[6:7], -v[0:1], v[4:5], 1.0
	v_fmac_f64_e32 v[4:5], v[4:5], v[6:7]
	s_delay_alu instid0(VALU_DEP_1) | instskip(NEXT) | instid1(VALU_DEP_1)
	v_fma_f64 v[6:7], -v[0:1], v[4:5], 1.0
	v_fmac_f64_e32 v[4:5], v[4:5], v[6:7]
	v_div_scale_f64 v[6:7], vcc_lo, s[8:9], s[6:7], s[8:9]
	s_load_b128 s[8:11], s[0:1], 0x8
	s_wait_kmcnt 0x0
	v_mul_lo_u32 v22, v21, s11
	v_add_nc_u32_e32 v27, s19, v3
	s_ashr_i32 s1, s10, 31
	s_mov_b32 s0, s10
	v_mov_b64_e32 v[2:3], 0
	s_add_nc_u64 s[4:5], s[8:9], s[4:5]
	s_add_co_i32 s8, s3, -1
	s_delay_alu instid0(VALU_DEP_3) | instskip(NEXT) | instid1(VALU_DEP_1)
	v_dual_mul_f64 v[8:9], v[6:7], v[4:5] :: v_dual_add_nc_u32 v29, s11, v22
	v_dual_fma_f64 v[0:1], -v[0:1], v[8:9], v[6:7] :: v_dual_add_nc_u32 v30, -4, v26
                                        ; implicit-def: $vgpr6_vgpr7
	s_delay_alu instid0(VALU_DEP_1) | instskip(SKIP_2) | instid1(VALU_DEP_2)
	v_div_fmas_f64 v[0:1], v[0:1], v[4:5], v[8:9]
	v_dual_lshlrev_b32 v4, 3, v18 :: v_dual_bitop2_b32 v5, 1, v21 bitop3:0x54
	v_cmp_eq_u32_e32 vcc_lo, s21, v18
	v_dual_add_nc_u32 v24, s22, v4 :: v_dual_add_nc_u32 v23, 0, v4
	v_add_nc_u32_e32 v4, 4, v27
	v_div_fixup_f64 v[0:1], v[0:1], s[6:7], 0x100000
	s_lshl_b64 s[6:7], s[0:1], 3
	s_add_co_i32 s1, s19, -4
	v_cmp_gt_i32_e64 s0, s16, v5
	v_cndmask_b32_e64 v31, v4, s1, vcc_lo
	s_add_nc_u64 s[6:7], s[4:5], s[6:7]
	s_add_co_i32 s5, s11, 1
                                        ; implicit-def: $vgpr4_vgpr5
	s_branch .LBB48_11
.LBB48_10:                              ;   in Loop: Header=BB48_11 Depth=1
	s_or_b32 exec_lo, exec_lo, s1
	s_add_co_i32 s8, s8, -1
	s_delay_alu instid0(SALU_CYCLE_1)
	s_cmp_lg_u32 s8, 0
	s_cbranch_scc0 .LBB48_48
.LBB48_11:                              ; =>This Inner Loop Header: Depth=1
	v_cmp_gt_i32_e64 s1, s16, v19
	v_cmp_gt_i32_e64 s3, s16, v20
	s_and_b32 s4, s2, s1
	s_delay_alu instid0(SALU_CYCLE_1) | instskip(NEXT) | instid1(SALU_CYCLE_1)
	s_and_b32 s9, s4, s3
	s_and_saveexec_b32 s10, s9
	s_cbranch_execz .LBB48_27
; %bb.12:                               ;   in Loop: Header=BB48_11 Depth=1
	v_mul_lo_u32 v12, v20, s11
	v_mov_b64_e32 v[10:11], 0
	s_delay_alu instid0(VALU_DEP_2) | instskip(SKIP_3) | instid1(VALU_DEP_1)
	v_add_nc_u32_e32 v6, v19, v12
	global_load_b64 v[8:9], v6, s[6:7] scale_offset
	s_wait_loadcnt 0x0
	v_mul_f64_e32 v[6:7], v[8:9], v[8:9]
	v_cmp_nlt_f64_e32 vcc_lo, v[6:7], v[0:1]
	v_mov_b64_e32 v[6:7], 1.0
	s_and_saveexec_b32 s14, vcc_lo
	s_cbranch_execz .LBB48_26
; %bb.13:                               ;   in Loop: Header=BB48_11 Depth=1
	v_mul_lo_u32 v10, v19, s5
	v_add_nc_u32_e32 v11, v12, v20
	s_clause 0x1
	global_load_b64 v[6:7], v11, s[6:7] scale_offset
	global_load_b64 v[12:13], v10, s[6:7] scale_offset
	s_wait_xcnt 0x0
	v_add_f64_e64 v[10:11], |v[8:9]|, |v[8:9]|
	s_delay_alu instid0(VALU_DEP_1) | instskip(SKIP_2) | instid1(VALU_DEP_1)
	v_cmp_class_f64_e64 s15, v[10:11], 0x204
	s_wait_loadcnt 0x0
	v_add_f64_e64 v[12:13], v[6:7], -v[12:13]
	v_max_num_f64_e64 v[6:7], |v[12:13]|, |v[10:11]|
	s_delay_alu instid0(VALU_DEP_1) | instskip(NEXT) | instid1(VALU_DEP_1)
	v_frexp_exp_i32_f64_e32 v14, v[6:7]
	v_sub_nc_u32_e32 v15, 0, v14
	s_delay_alu instid0(VALU_DEP_1) | instskip(SKIP_1) | instid1(VALU_DEP_2)
	v_ldexp_f64 v[6:7], |v[10:11]|, v15
	v_ldexp_f64 v[16:17], |v[12:13]|, v15
	v_mul_f64_e32 v[6:7], v[6:7], v[6:7]
	s_delay_alu instid0(VALU_DEP_1) | instskip(NEXT) | instid1(VALU_DEP_1)
	v_fmac_f64_e32 v[6:7], v[16:17], v[16:17]
	v_rsq_f64_e32 v[16:17], v[6:7]
	v_cmp_eq_f64_e32 vcc_lo, 0, v[6:7]
	s_delay_alu instid0(TRANS32_DEP_1) | instskip(SKIP_1) | instid1(VALU_DEP_1)
	v_mul_f64_e32 v[32:33], v[6:7], v[16:17]
	v_mul_f64_e32 v[16:17], 0.5, v[16:17]
	v_fma_f64 v[34:35], -v[16:17], v[32:33], 0.5
	s_delay_alu instid0(VALU_DEP_1) | instskip(SKIP_1) | instid1(VALU_DEP_2)
	v_fmac_f64_e32 v[32:33], v[32:33], v[34:35]
	v_fmac_f64_e32 v[16:17], v[16:17], v[34:35]
	v_fma_f64 v[34:35], -v[32:33], v[32:33], v[6:7]
	s_delay_alu instid0(VALU_DEP_1) | instskip(NEXT) | instid1(VALU_DEP_1)
	v_fmac_f64_e32 v[32:33], v[34:35], v[16:17]
                                        ; implicit-def: $vgpr16_vgpr17
	v_cndmask_b32_e32 v7, v33, v7, vcc_lo
	v_cmp_ngt_f64_e64 s4, 0, v[12:13]
	v_cmp_class_f64_e64 s20, v[12:13], 0x204
	s_delay_alu instid0(VALU_DEP_4) | instskip(SKIP_1) | instid1(SALU_CYCLE_1)
	v_cndmask_b32_e32 v6, v32, v6, vcc_lo
	s_and_saveexec_b32 s21, s4
	s_xor_b32 s4, exec_lo, s21
	s_cbranch_execz .LBB48_15
; %bb.14:                               ;   in Loop: Header=BB48_11 Depth=1
	s_delay_alu instid0(VALU_DEP_1) | instskip(SKIP_2) | instid1(VALU_DEP_2)
	v_ldexp_f64 v[6:7], v[6:7], v14
	v_cmp_o_f64_e32 vcc_lo, v[12:13], v[10:11]
	s_or_b32 s21, s15, s20
                                        ; implicit-def: $vgpr14
	v_cndmask_b32_e32 v6, 0, v6, vcc_lo
	s_delay_alu instid0(VALU_DEP_3) | instskip(NEXT) | instid1(VALU_DEP_2)
	v_cndmask_b32_e32 v7, 0x7ff80000, v7, vcc_lo
	v_cndmask_b32_e64 v16, v6, 0, s21
	s_delay_alu instid0(VALU_DEP_2)
	v_cndmask_b32_e64 v17, v7, 0x7ff00000, s21
                                        ; implicit-def: $vgpr6_vgpr7
.LBB48_15:                              ;   in Loop: Header=BB48_11 Depth=1
	s_and_not1_saveexec_b32 s4, s4
	s_cbranch_execz .LBB48_17
; %bb.16:                               ;   in Loop: Header=BB48_11 Depth=1
	v_ldexp_f64 v[6:7], -v[6:7], v14
	v_cmp_o_f64_e32 vcc_lo, v[10:11], v[10:11]
	s_or_b32 s15, s15, s20
	s_delay_alu instid0(VALU_DEP_2) | instskip(NEXT) | instid1(VALU_DEP_3)
	v_cndmask_b32_e32 v6, 0, v6, vcc_lo
	v_cndmask_b32_e32 v7, 0xfff80000, v7, vcc_lo
	s_delay_alu instid0(VALU_DEP_2) | instskip(NEXT) | instid1(VALU_DEP_2)
	v_cndmask_b32_e64 v16, v6, 0, s15
	v_cndmask_b32_e64 v17, v7, 0xfff00000, s15
.LBB48_17:                              ;   in Loop: Header=BB48_11 Depth=1
	s_or_b32 exec_lo, exec_lo, s4
	v_mov_b64_e32 v[14:15], 0
	v_mov_b64_e32 v[6:7], 1.0
	s_mov_b32 s4, exec_lo
	v_cmpx_neq_f64_e32 0, v[10:11]
	s_cbranch_execz .LBB48_25
; %bb.18:                               ;   in Loop: Header=BB48_11 Depth=1
	v_add_f64_e32 v[12:13], v[12:13], v[16:17]
	v_mov_b64_e32 v[6:7], 0
	v_mov_b64_e32 v[14:15], 1.0
	s_mov_b32 s15, exec_lo
	s_delay_alu instid0(VALU_DEP_3)
	v_cmpx_neq_f64_e32 0, v[12:13]
	s_cbranch_execz .LBB48_24
; %bb.19:                               ;   in Loop: Header=BB48_11 Depth=1
	v_cmp_ngt_f64_e64 s20, |v[10:11]|, |v[12:13]|
                                        ; implicit-def: $vgpr6_vgpr7
                                        ; implicit-def: $vgpr14_vgpr15
	s_and_saveexec_b32 s21, s20
	s_delay_alu instid0(SALU_CYCLE_1)
	s_xor_b32 s20, exec_lo, s21
	s_cbranch_execz .LBB48_21
; %bb.20:                               ;   in Loop: Header=BB48_11 Depth=1
	v_div_scale_f64 v[6:7], null, v[12:13], v[12:13], -v[10:11]
	v_div_scale_f64 v[32:33], vcc_lo, -v[10:11], v[12:13], -v[10:11]
	s_delay_alu instid0(VALU_DEP_2) | instskip(SKIP_1) | instid1(TRANS32_DEP_1)
	v_rcp_f64_e32 v[14:15], v[6:7]
	v_nop
	v_fma_f64 v[16:17], -v[6:7], v[14:15], 1.0
	s_delay_alu instid0(VALU_DEP_1) | instskip(NEXT) | instid1(VALU_DEP_1)
	v_fmac_f64_e32 v[14:15], v[14:15], v[16:17]
	v_fma_f64 v[16:17], -v[6:7], v[14:15], 1.0
	s_delay_alu instid0(VALU_DEP_1) | instskip(NEXT) | instid1(VALU_DEP_1)
	v_fmac_f64_e32 v[14:15], v[14:15], v[16:17]
	v_mul_f64_e32 v[16:17], v[32:33], v[14:15]
	s_delay_alu instid0(VALU_DEP_1) | instskip(NEXT) | instid1(VALU_DEP_1)
	v_fma_f64 v[6:7], -v[6:7], v[16:17], v[32:33]
	v_div_fmas_f64 v[6:7], v[6:7], v[14:15], v[16:17]
	s_delay_alu instid0(VALU_DEP_1) | instskip(NEXT) | instid1(VALU_DEP_1)
	v_div_fixup_f64 v[10:11], v[6:7], v[12:13], -v[10:11]
	v_fma_f64 v[6:7], v[10:11], v[10:11], 1.0
	s_delay_alu instid0(VALU_DEP_1) | instskip(SKIP_1) | instid1(VALU_DEP_1)
	v_cmp_gt_f64_e32 vcc_lo, 0x10000000, v[6:7]
	v_cndmask_b32_e64 v12, 0, 0x100, vcc_lo
	v_ldexp_f64 v[6:7], v[6:7], v12
	s_delay_alu instid0(VALU_DEP_1) | instskip(SKIP_1) | instid1(TRANS32_DEP_1)
	v_rsq_f64_e32 v[12:13], v[6:7]
	v_nop
	v_mul_f64_e32 v[14:15], v[6:7], v[12:13]
	v_mul_f64_e32 v[12:13], 0.5, v[12:13]
	s_delay_alu instid0(VALU_DEP_1) | instskip(NEXT) | instid1(VALU_DEP_1)
	v_fma_f64 v[16:17], -v[12:13], v[14:15], 0.5
	v_fmac_f64_e32 v[14:15], v[14:15], v[16:17]
	v_fmac_f64_e32 v[12:13], v[12:13], v[16:17]
	s_delay_alu instid0(VALU_DEP_2) | instskip(NEXT) | instid1(VALU_DEP_1)
	v_fma_f64 v[16:17], -v[14:15], v[14:15], v[6:7]
	v_fmac_f64_e32 v[14:15], v[16:17], v[12:13]
	s_delay_alu instid0(VALU_DEP_1) | instskip(NEXT) | instid1(VALU_DEP_1)
	v_fma_f64 v[16:17], -v[14:15], v[14:15], v[6:7]
	v_fmac_f64_e32 v[14:15], v[16:17], v[12:13]
	v_cndmask_b32_e64 v12, 0, 0xffffff80, vcc_lo
	v_cmp_class_f64_e64 vcc_lo, v[6:7], 0x260
	s_delay_alu instid0(VALU_DEP_2) | instskip(NEXT) | instid1(VALU_DEP_1)
	v_ldexp_f64 v[12:13], v[14:15], v12
	v_dual_cndmask_b32 v7, v13, v7 :: v_dual_cndmask_b32 v6, v12, v6
	s_delay_alu instid0(VALU_DEP_1) | instskip(NEXT) | instid1(VALU_DEP_1)
	v_div_scale_f64 v[12:13], null, v[6:7], v[6:7], 1.0
	v_rcp_f64_e32 v[14:15], v[12:13]
	v_nop
	s_delay_alu instid0(TRANS32_DEP_1) | instskip(NEXT) | instid1(VALU_DEP_1)
	v_fma_f64 v[16:17], -v[12:13], v[14:15], 1.0
	v_fmac_f64_e32 v[14:15], v[14:15], v[16:17]
	s_delay_alu instid0(VALU_DEP_1) | instskip(NEXT) | instid1(VALU_DEP_1)
	v_fma_f64 v[16:17], -v[12:13], v[14:15], 1.0
	v_fmac_f64_e32 v[14:15], v[14:15], v[16:17]
	v_div_scale_f64 v[16:17], vcc_lo, 1.0, v[6:7], 1.0
	s_delay_alu instid0(VALU_DEP_1) | instskip(NEXT) | instid1(VALU_DEP_1)
	v_mul_f64_e32 v[32:33], v[16:17], v[14:15]
	v_fma_f64 v[12:13], -v[12:13], v[32:33], v[16:17]
	s_delay_alu instid0(VALU_DEP_1) | instskip(NEXT) | instid1(VALU_DEP_1)
	v_div_fmas_f64 v[12:13], v[12:13], v[14:15], v[32:33]
	v_div_fixup_f64 v[6:7], v[12:13], v[6:7], 1.0
                                        ; implicit-def: $vgpr12_vgpr13
	s_delay_alu instid0(VALU_DEP_1)
	v_mul_f64_e32 v[14:15], v[10:11], v[6:7]
                                        ; implicit-def: $vgpr10_vgpr11
.LBB48_21:                              ;   in Loop: Header=BB48_11 Depth=1
	s_and_not1_saveexec_b32 s20, s20
	s_cbranch_execz .LBB48_23
; %bb.22:                               ;   in Loop: Header=BB48_11 Depth=1
	v_div_scale_f64 v[6:7], null, v[10:11], v[10:11], -v[12:13]
	v_div_scale_f64 v[32:33], vcc_lo, -v[12:13], v[10:11], -v[12:13]
	s_delay_alu instid0(VALU_DEP_2) | instskip(SKIP_1) | instid1(TRANS32_DEP_1)
	v_rcp_f64_e32 v[14:15], v[6:7]
	v_nop
	v_fma_f64 v[16:17], -v[6:7], v[14:15], 1.0
	s_delay_alu instid0(VALU_DEP_1) | instskip(NEXT) | instid1(VALU_DEP_1)
	v_fmac_f64_e32 v[14:15], v[14:15], v[16:17]
	v_fma_f64 v[16:17], -v[6:7], v[14:15], 1.0
	s_delay_alu instid0(VALU_DEP_1) | instskip(NEXT) | instid1(VALU_DEP_1)
	v_fmac_f64_e32 v[14:15], v[14:15], v[16:17]
	v_mul_f64_e32 v[16:17], v[32:33], v[14:15]
	s_delay_alu instid0(VALU_DEP_1) | instskip(NEXT) | instid1(VALU_DEP_1)
	v_fma_f64 v[6:7], -v[6:7], v[16:17], v[32:33]
	v_div_fmas_f64 v[6:7], v[6:7], v[14:15], v[16:17]
	s_delay_alu instid0(VALU_DEP_1) | instskip(NEXT) | instid1(VALU_DEP_1)
	v_div_fixup_f64 v[6:7], v[6:7], v[10:11], -v[12:13]
	v_fma_f64 v[10:11], v[6:7], v[6:7], 1.0
	s_delay_alu instid0(VALU_DEP_1) | instskip(SKIP_1) | instid1(VALU_DEP_1)
	v_cmp_gt_f64_e32 vcc_lo, 0x10000000, v[10:11]
	v_cndmask_b32_e64 v12, 0, 0x100, vcc_lo
	v_ldexp_f64 v[10:11], v[10:11], v12
	s_delay_alu instid0(VALU_DEP_1) | instskip(SKIP_1) | instid1(TRANS32_DEP_1)
	v_rsq_f64_e32 v[12:13], v[10:11]
	v_nop
	v_mul_f64_e32 v[14:15], v[10:11], v[12:13]
	v_mul_f64_e32 v[12:13], 0.5, v[12:13]
	s_delay_alu instid0(VALU_DEP_1) | instskip(NEXT) | instid1(VALU_DEP_1)
	v_fma_f64 v[16:17], -v[12:13], v[14:15], 0.5
	v_fmac_f64_e32 v[14:15], v[14:15], v[16:17]
	v_fmac_f64_e32 v[12:13], v[12:13], v[16:17]
	s_delay_alu instid0(VALU_DEP_2) | instskip(NEXT) | instid1(VALU_DEP_1)
	v_fma_f64 v[16:17], -v[14:15], v[14:15], v[10:11]
	v_fmac_f64_e32 v[14:15], v[16:17], v[12:13]
	s_delay_alu instid0(VALU_DEP_1) | instskip(NEXT) | instid1(VALU_DEP_1)
	v_fma_f64 v[16:17], -v[14:15], v[14:15], v[10:11]
	v_fmac_f64_e32 v[14:15], v[16:17], v[12:13]
	v_cndmask_b32_e64 v12, 0, 0xffffff80, vcc_lo
	v_cmp_class_f64_e64 vcc_lo, v[10:11], 0x260
	s_delay_alu instid0(VALU_DEP_2) | instskip(NEXT) | instid1(VALU_DEP_1)
	v_ldexp_f64 v[12:13], v[14:15], v12
	v_dual_cndmask_b32 v11, v13, v11 :: v_dual_cndmask_b32 v10, v12, v10
	s_delay_alu instid0(VALU_DEP_1) | instskip(NEXT) | instid1(VALU_DEP_1)
	v_div_scale_f64 v[12:13], null, v[10:11], v[10:11], 1.0
	v_rcp_f64_e32 v[14:15], v[12:13]
	v_nop
	s_delay_alu instid0(TRANS32_DEP_1) | instskip(NEXT) | instid1(VALU_DEP_1)
	v_fma_f64 v[16:17], -v[12:13], v[14:15], 1.0
	v_fmac_f64_e32 v[14:15], v[14:15], v[16:17]
	s_delay_alu instid0(VALU_DEP_1) | instskip(NEXT) | instid1(VALU_DEP_1)
	v_fma_f64 v[16:17], -v[12:13], v[14:15], 1.0
	v_fmac_f64_e32 v[14:15], v[14:15], v[16:17]
	v_div_scale_f64 v[16:17], vcc_lo, 1.0, v[10:11], 1.0
	s_delay_alu instid0(VALU_DEP_1) | instskip(NEXT) | instid1(VALU_DEP_1)
	v_mul_f64_e32 v[32:33], v[16:17], v[14:15]
	v_fma_f64 v[12:13], -v[12:13], v[32:33], v[16:17]
	s_delay_alu instid0(VALU_DEP_1) | instskip(NEXT) | instid1(VALU_DEP_1)
	v_div_fmas_f64 v[12:13], v[12:13], v[14:15], v[32:33]
	v_div_fixup_f64 v[14:15], v[12:13], v[10:11], 1.0
	s_delay_alu instid0(VALU_DEP_1)
	v_mul_f64_e32 v[6:7], v[6:7], v[14:15]
.LBB48_23:                              ;   in Loop: Header=BB48_11 Depth=1
	s_or_b32 exec_lo, exec_lo, s20
.LBB48_24:                              ;   in Loop: Header=BB48_11 Depth=1
	s_delay_alu instid0(SALU_CYCLE_1)
	s_or_b32 exec_lo, exec_lo, s15
.LBB48_25:                              ;   in Loop: Header=BB48_11 Depth=1
	s_delay_alu instid0(SALU_CYCLE_1) | instskip(NEXT) | instid1(VALU_DEP_1)
	s_or_b32 exec_lo, exec_lo, s4
	v_mul_f64_e32 v[10:11], v[8:9], v[14:15]
	v_and_b32_e32 v13, 0x7fffffff, v9
	v_mov_b32_e32 v12, v8
	s_delay_alu instid0(VALU_DEP_1) | instskip(SKIP_1) | instid1(VALU_DEP_2)
	v_div_scale_f64 v[14:15], null, v[12:13], v[12:13], v[10:11]
	v_div_scale_f64 v[12:13], vcc_lo, v[10:11], v[12:13], v[10:11]
	v_rcp_f64_e32 v[16:17], v[14:15]
	v_nop
	s_delay_alu instid0(TRANS32_DEP_1) | instskip(NEXT) | instid1(VALU_DEP_1)
	v_fma_f64 v[32:33], -v[14:15], v[16:17], 1.0
	v_fmac_f64_e32 v[16:17], v[16:17], v[32:33]
	s_delay_alu instid0(VALU_DEP_1) | instskip(NEXT) | instid1(VALU_DEP_1)
	v_fma_f64 v[32:33], -v[14:15], v[16:17], 1.0
	v_fmac_f64_e32 v[16:17], v[16:17], v[32:33]
	s_delay_alu instid0(VALU_DEP_1) | instskip(NEXT) | instid1(VALU_DEP_1)
	v_mul_f64_e32 v[32:33], v[12:13], v[16:17]
	v_fma_f64 v[12:13], -v[14:15], v[32:33], v[12:13]
	s_delay_alu instid0(VALU_DEP_1) | instskip(NEXT) | instid1(VALU_DEP_1)
	v_div_fmas_f64 v[12:13], v[12:13], v[16:17], v[32:33]
	v_div_fixup_f64 v[10:11], v[12:13], |v[8:9]|, v[10:11]
.LBB48_26:                              ;   in Loop: Header=BB48_11 Depth=1
	s_or_b32 exec_lo, exec_lo, s14
	ds_store_b64 v23, v[6:7]
	ds_store_b64 v24, v[10:11]
.LBB48_27:                              ;   in Loop: Header=BB48_11 Depth=1
	s_or_b32 exec_lo, exec_lo, s10
	s_and_b32 s1, s1, s3
	s_wait_storecnt_dscnt 0x0
	s_barrier_signal -1
	s_barrier_wait -1
	s_and_saveexec_b32 s3, s1
	s_cbranch_execz .LBB48_35
; %bb.28:                               ;   in Loop: Header=BB48_11 Depth=1
	ds_load_b64 v[6:7], v23
	ds_load_b64 v[4:5], v24
	s_and_not1_b32 vcc_lo, exec_lo, s18
	s_cbranch_vccnz .LBB48_32
; %bb.29:                               ;   in Loop: Header=BB48_11 Depth=1
	v_subrev_nc_u32_e32 v9, s17, v20
	v_subrev_nc_u32_e32 v8, s17, v19
	s_delay_alu instid0(VALU_DEP_1)
	v_dual_add_nc_u32 v32, v9, v25 :: v_dual_add_nc_u32 v33, v8, v25
	s_clause 0x1
	global_load_b64 v[10:11], v32, s[12:13] scale_offset
	global_load_b64 v[12:13], v33, s[12:13] scale_offset
	s_wait_loadcnt_dscnt 0x100
	v_mul_f64_e32 v[14:15], v[4:5], v[10:11]
	s_wait_loadcnt 0x0
	v_mul_f64_e32 v[16:17], v[4:5], v[12:13]
	s_delay_alu instid0(VALU_DEP_2) | instskip(NEXT) | instid1(VALU_DEP_2)
	v_fmac_f64_e32 v[14:15], v[6:7], v[12:13]
	v_fma_f64 v[10:11], v[6:7], v[10:11], -v[16:17]
	s_clause 0x1
	global_store_b64 v33, v[14:15], s[12:13] scale_offset
	global_store_b64 v32, v[10:11], s[12:13] scale_offset
	s_wait_xcnt 0x0
	s_and_saveexec_b32 s4, s0
	s_cbranch_execz .LBB48_31
; %bb.30:                               ;   in Loop: Header=BB48_11 Depth=1
	v_dual_add_nc_u32 v16, v9, v28 :: v_dual_add_nc_u32 v17, v8, v28
	s_clause 0x1
	global_load_b64 v[8:9], v16, s[12:13] scale_offset
	global_load_b64 v[10:11], v17, s[12:13] scale_offset
	s_wait_loadcnt 0x1
	v_mul_f64_e32 v[12:13], v[4:5], v[8:9]
	s_wait_loadcnt 0x0
	v_mul_f64_e32 v[14:15], v[4:5], v[10:11]
	s_delay_alu instid0(VALU_DEP_2) | instskip(NEXT) | instid1(VALU_DEP_2)
	v_fmac_f64_e32 v[12:13], v[6:7], v[10:11]
	v_fma_f64 v[8:9], v[6:7], v[8:9], -v[14:15]
	s_clause 0x1
	global_store_b64 v17, v[12:13], s[12:13] scale_offset
	global_store_b64 v16, v[8:9], s[12:13] scale_offset
.LBB48_31:                              ;   in Loop: Header=BB48_11 Depth=1
	s_wait_xcnt 0x0
	s_or_b32 exec_lo, exec_lo, s4
.LBB48_32:                              ;   in Loop: Header=BB48_11 Depth=1
	v_mad_u32 v10, v20, s11, v21
	v_mad_u32 v8, v19, s11, v21
	s_clause 0x1
	global_load_b64 v[12:13], v10, s[6:7] scale_offset
	global_load_b64 v[14:15], v8, s[6:7] scale_offset
	s_wait_loadcnt_dscnt 0x100
	v_mul_f64_e32 v[16:17], v[4:5], v[12:13]
	s_wait_loadcnt 0x0
	v_mul_f64_e32 v[32:33], v[4:5], v[14:15]
	s_delay_alu instid0(VALU_DEP_2) | instskip(NEXT) | instid1(VALU_DEP_2)
	v_fmac_f64_e32 v[16:17], v[6:7], v[14:15]
	v_fma_f64 v[12:13], v[6:7], v[12:13], -v[32:33]
	s_clause 0x1
	global_store_b64 v8, v[16:17], s[6:7] scale_offset
	global_store_b64 v10, v[12:13], s[6:7] scale_offset
	s_wait_xcnt 0x0
	s_and_saveexec_b32 s4, s0
	s_cbranch_execz .LBB48_34
; %bb.33:                               ;   in Loop: Header=BB48_11 Depth=1
	v_dual_ashrrev_i32 v11, 31, v10 :: v_dual_ashrrev_i32 v9, 31, v8
	s_delay_alu instid0(VALU_DEP_1) | instskip(NEXT) | instid1(VALU_DEP_2)
	v_lshl_add_u64 v[10:11], v[10:11], 3, s[6:7]
	v_lshl_add_u64 v[8:9], v[8:9], 3, s[6:7]
	s_clause 0x1
	global_load_b64 v[12:13], v[10:11], off offset:8
	global_load_b64 v[14:15], v[8:9], off offset:8
	s_wait_loadcnt 0x1
	v_mul_f64_e32 v[16:17], v[4:5], v[12:13]
	s_wait_loadcnt 0x0
	v_mul_f64_e32 v[32:33], v[4:5], v[14:15]
	s_delay_alu instid0(VALU_DEP_2) | instskip(NEXT) | instid1(VALU_DEP_2)
	v_fmac_f64_e32 v[16:17], v[6:7], v[14:15]
	v_fma_f64 v[12:13], v[6:7], v[12:13], -v[32:33]
	s_clause 0x1
	global_store_b64 v[8:9], v[16:17], off offset:8
	global_store_b64 v[10:11], v[12:13], off offset:8
.LBB48_34:                              ;   in Loop: Header=BB48_11 Depth=1
	s_wait_xcnt 0x0
	s_or_b32 exec_lo, exec_lo, s4
	v_mov_b64_e32 v[10:11], v[4:5]
.LBB48_35:                              ;   in Loop: Header=BB48_11 Depth=1
	s_or_b32 exec_lo, exec_lo, s3
	s_wait_storecnt 0x0
	s_barrier_signal -1
	s_barrier_wait -1
	s_and_saveexec_b32 s3, s1
	s_cbranch_execz .LBB48_38
; %bb.36:                               ;   in Loop: Header=BB48_11 Depth=1
	v_dual_add_nc_u32 v32, v20, v22 :: v_dual_add_nc_u32 v33, v19, v22
	s_clause 0x1
	global_load_b64 v[8:9], v32, s[6:7] scale_offset
	global_load_b64 v[12:13], v33, s[6:7] scale_offset
	s_wait_loadcnt 0x1
	v_mul_f64_e32 v[14:15], v[10:11], v[8:9]
	s_wait_loadcnt 0x0
	v_mul_f64_e32 v[16:17], v[4:5], v[12:13]
	s_delay_alu instid0(VALU_DEP_2) | instskip(NEXT) | instid1(VALU_DEP_2)
	v_fmac_f64_e32 v[14:15], v[6:7], v[12:13]
	v_fma_f64 v[8:9], v[6:7], v[8:9], -v[16:17]
	s_clause 0x1
	global_store_b64 v33, v[14:15], s[6:7] scale_offset
	global_store_b64 v32, v[8:9], s[6:7] scale_offset
	s_wait_xcnt 0x0
	s_and_b32 exec_lo, exec_lo, s0
	s_cbranch_execz .LBB48_38
; %bb.37:                               ;   in Loop: Header=BB48_11 Depth=1
	v_dual_add_nc_u32 v32, v20, v29 :: v_dual_add_nc_u32 v33, v19, v29
	s_clause 0x1
	global_load_b64 v[8:9], v32, s[6:7] scale_offset
	global_load_b64 v[12:13], v33, s[6:7] scale_offset
	s_wait_loadcnt 0x1
	v_mul_f64_e32 v[14:15], v[10:11], v[8:9]
	s_wait_loadcnt 0x0
	v_mul_f64_e32 v[16:17], v[4:5], v[12:13]
	s_delay_alu instid0(VALU_DEP_2) | instskip(NEXT) | instid1(VALU_DEP_2)
	v_fmac_f64_e32 v[14:15], v[6:7], v[12:13]
	v_fma_f64 v[8:9], v[6:7], v[8:9], -v[16:17]
	s_clause 0x1
	global_store_b64 v33, v[14:15], s[6:7] scale_offset
	global_store_b64 v32, v[8:9], s[6:7] scale_offset
.LBB48_38:                              ;   in Loop: Header=BB48_11 Depth=1
	s_wait_xcnt 0x0
	s_or_b32 exec_lo, exec_lo, s3
	s_wait_storecnt 0x0
	s_barrier_signal -1
	s_barrier_wait -1
	s_and_saveexec_b32 s1, s9
	s_cbranch_execz .LBB48_40
; %bb.39:                               ;   in Loop: Header=BB48_11 Depth=1
	v_mad_u32 v8, v20, s11, v19
	v_mad_u32 v9, v19, s11, v20
	s_clause 0x1
	global_store_b64 v8, v[2:3], s[6:7] scale_offset
	global_store_b64 v9, v[2:3], s[6:7] scale_offset
.LBB48_40:                              ;   in Loop: Header=BB48_11 Depth=1
	s_wait_xcnt 0x0
	s_or_b32 exec_lo, exec_lo, s1
	s_delay_alu instid0(SALU_CYCLE_1)
	s_mov_b32 s1, exec_lo
	v_cmpx_lt_i32_e32 0, v18
	s_cbranch_execz .LBB48_46
; %bb.41:                               ;   in Loop: Header=BB48_11 Depth=1
	s_mov_b32 s3, exec_lo
                                        ; implicit-def: $vgpr19
	v_cmpx_ne_u32_e32 1, v18
	s_xor_b32 s3, exec_lo, s3
; %bb.42:                               ;   in Loop: Header=BB48_11 Depth=1
	ds_load_b32 v19, v30
; %bb.43:                               ;   in Loop: Header=BB48_11 Depth=1
	s_and_not1_saveexec_b32 s3, s3
	s_cbranch_execz .LBB48_45
; %bb.44:                               ;   in Loop: Header=BB48_11 Depth=1
	v_mov_b32_e32 v8, s19
	s_wait_dscnt 0x0
	ds_load_b32 v19, v8
.LBB48_45:                              ;   in Loop: Header=BB48_11 Depth=1
	s_or_b32 exec_lo, exec_lo, s3
.LBB48_46:                              ;   in Loop: Header=BB48_11 Depth=1
	s_delay_alu instid0(SALU_CYCLE_1)
	s_or_b32 exec_lo, exec_lo, s1
	ds_load_b32 v20, v31
	s_wait_storecnt_dscnt 0x0
	s_barrier_signal -1
	s_barrier_wait -1
	s_and_saveexec_b32 s1, s2
	s_cbranch_execz .LBB48_10
; %bb.47:                               ;   in Loop: Header=BB48_11 Depth=1
	ds_store_b32 v26, v19
	ds_store_b32 v27, v20
	s_branch .LBB48_10
.LBB48_48:
	s_endpgm
	.section	.rodata,"a",@progbits
	.p2align	6, 0x0
	.amdhsa_kernel _ZN9rocsolver6v33100L17syevj_diag_kernelIddPdEEviT1_iilT0_PT_Pi
		.amdhsa_group_segment_fixed_size 0
		.amdhsa_private_segment_fixed_size 0
		.amdhsa_kernarg_size 312
		.amdhsa_user_sgpr_count 2
		.amdhsa_user_sgpr_dispatch_ptr 0
		.amdhsa_user_sgpr_queue_ptr 0
		.amdhsa_user_sgpr_kernarg_segment_ptr 1
		.amdhsa_user_sgpr_dispatch_id 0
		.amdhsa_user_sgpr_kernarg_preload_length 0
		.amdhsa_user_sgpr_kernarg_preload_offset 0
		.amdhsa_user_sgpr_private_segment_size 0
		.amdhsa_wavefront_size32 1
		.amdhsa_uses_dynamic_stack 0
		.amdhsa_enable_private_segment 0
		.amdhsa_system_sgpr_workgroup_id_x 1
		.amdhsa_system_sgpr_workgroup_id_y 0
		.amdhsa_system_sgpr_workgroup_id_z 1
		.amdhsa_system_sgpr_workgroup_info 0
		.amdhsa_system_vgpr_workitem_id 1
		.amdhsa_next_free_vgpr 36
		.amdhsa_next_free_sgpr 24
		.amdhsa_named_barrier_count 0
		.amdhsa_reserve_vcc 1
		.amdhsa_float_round_mode_32 0
		.amdhsa_float_round_mode_16_64 0
		.amdhsa_float_denorm_mode_32 3
		.amdhsa_float_denorm_mode_16_64 3
		.amdhsa_fp16_overflow 0
		.amdhsa_memory_ordered 1
		.amdhsa_forward_progress 1
		.amdhsa_inst_pref_size 25
		.amdhsa_round_robin_scheduling 0
		.amdhsa_exception_fp_ieee_invalid_op 0
		.amdhsa_exception_fp_denorm_src 0
		.amdhsa_exception_fp_ieee_div_zero 0
		.amdhsa_exception_fp_ieee_overflow 0
		.amdhsa_exception_fp_ieee_underflow 0
		.amdhsa_exception_fp_ieee_inexact 0
		.amdhsa_exception_int_div_zero 0
	.end_amdhsa_kernel
	.section	.text._ZN9rocsolver6v33100L17syevj_diag_kernelIddPdEEviT1_iilT0_PT_Pi,"axG",@progbits,_ZN9rocsolver6v33100L17syevj_diag_kernelIddPdEEviT1_iilT0_PT_Pi,comdat
.Lfunc_end48:
	.size	_ZN9rocsolver6v33100L17syevj_diag_kernelIddPdEEviT1_iilT0_PT_Pi, .Lfunc_end48-_ZN9rocsolver6v33100L17syevj_diag_kernelIddPdEEviT1_iilT0_PT_Pi
                                        ; -- End function
	.set _ZN9rocsolver6v33100L17syevj_diag_kernelIddPdEEviT1_iilT0_PT_Pi.num_vgpr, 36
	.set _ZN9rocsolver6v33100L17syevj_diag_kernelIddPdEEviT1_iilT0_PT_Pi.num_agpr, 0
	.set _ZN9rocsolver6v33100L17syevj_diag_kernelIddPdEEviT1_iilT0_PT_Pi.numbered_sgpr, 24
	.set _ZN9rocsolver6v33100L17syevj_diag_kernelIddPdEEviT1_iilT0_PT_Pi.num_named_barrier, 0
	.set _ZN9rocsolver6v33100L17syevj_diag_kernelIddPdEEviT1_iilT0_PT_Pi.private_seg_size, 0
	.set _ZN9rocsolver6v33100L17syevj_diag_kernelIddPdEEviT1_iilT0_PT_Pi.uses_vcc, 1
	.set _ZN9rocsolver6v33100L17syevj_diag_kernelIddPdEEviT1_iilT0_PT_Pi.uses_flat_scratch, 0
	.set _ZN9rocsolver6v33100L17syevj_diag_kernelIddPdEEviT1_iilT0_PT_Pi.has_dyn_sized_stack, 0
	.set _ZN9rocsolver6v33100L17syevj_diag_kernelIddPdEEviT1_iilT0_PT_Pi.has_recursion, 0
	.set _ZN9rocsolver6v33100L17syevj_diag_kernelIddPdEEviT1_iilT0_PT_Pi.has_indirect_call, 0
	.section	.AMDGPU.csdata,"",@progbits
; Kernel info:
; codeLenInByte = 3184
; TotalNumSgprs: 26
; NumVgprs: 36
; ScratchSize: 0
; MemoryBound: 0
; FloatMode: 240
; IeeeMode: 1
; LDSByteSize: 0 bytes/workgroup (compile time only)
; SGPRBlocks: 0
; VGPRBlocks: 2
; NumSGPRsForWavesPerEU: 26
; NumVGPRsForWavesPerEU: 36
; NamedBarCnt: 0
; Occupancy: 16
; WaveLimiterHint : 0
; COMPUTE_PGM_RSRC2:SCRATCH_EN: 0
; COMPUTE_PGM_RSRC2:USER_SGPR: 2
; COMPUTE_PGM_RSRC2:TRAP_HANDLER: 0
; COMPUTE_PGM_RSRC2:TGID_X_EN: 1
; COMPUTE_PGM_RSRC2:TGID_Y_EN: 0
; COMPUTE_PGM_RSRC2:TGID_Z_EN: 1
; COMPUTE_PGM_RSRC2:TIDIG_COMP_CNT: 1
	.section	.text._ZN9rocsolver6v33100L21syevj_diag_rotate_orgILb0EddPdEEvbiT2_iilPT0_Pi,"axG",@progbits,_ZN9rocsolver6v33100L21syevj_diag_rotate_orgILb0EddPdEEvbiT2_iilPT0_Pi,comdat
	.globl	_ZN9rocsolver6v33100L21syevj_diag_rotate_orgILb0EddPdEEvbiT2_iilPT0_Pi ; -- Begin function _ZN9rocsolver6v33100L21syevj_diag_rotate_orgILb0EddPdEEvbiT2_iilPT0_Pi
	.p2align	8
	.type	_ZN9rocsolver6v33100L21syevj_diag_rotate_orgILb0EddPdEEvbiT2_iilPT0_Pi,@function
_ZN9rocsolver6v33100L21syevj_diag_rotate_orgILb0EddPdEEvbiT2_iilPT0_Pi: ; @_ZN9rocsolver6v33100L21syevj_diag_rotate_orgILb0EddPdEEvbiT2_iilPT0_Pi
; %bb.0:
	s_clause 0x1
	s_load_b64 s[2:3], s[0:1], 0x0
	s_load_b64 s[4:5], s[0:1], 0x28
	s_wait_kmcnt 0x0
	s_bitcmp1_b32 s2, 0
	s_getreg_b32 s2, hwreg(HW_REG_IB_STS2, 6, 4)
	s_cselect_b32 s6, -1, 0
	s_bfe_u32 s8, ttmp6, 0x40014
	s_bfe_u32 s11, ttmp6, 0x40010
	;; [unrolled: 1-line block ×3, first 2 shown]
	s_lshr_b32 s7, ttmp7, 16
	s_and_b32 s10, ttmp7, 0xffff
	s_add_co_i32 s8, s8, 1
	s_add_co_i32 s11, s11, 1
	;; [unrolled: 1-line block ×3, first 2 shown]
	s_bfe_u32 s9, ttmp6, 0x40008
	s_bfe_u32 s12, ttmp6, 0x40004
	s_and_b32 s13, ttmp6, 15
	s_mul_i32 s8, s7, s8
	s_mul_i32 s11, s10, s11
	s_mul_i32 s14, ttmp9, s14
	s_add_co_i32 s9, s9, s8
	s_add_co_i32 s8, s12, s11
	;; [unrolled: 1-line block ×3, first 2 shown]
	s_cmp_eq_u32 s2, 0
	s_cselect_b32 s12, s7, s9
	s_cselect_b32 s17, ttmp9, s13
	s_load_b32 s2, s[4:5], s12 offset:0x4 scale_offset
	s_cselect_b32 s15, s10, s8
	s_mov_b32 s13, 0
	s_wait_kmcnt 0x0
	s_cmp_lg_u32 s2, 0
	s_cselect_b32 s2, -1, 0
	s_cmp_eq_u32 s17, s15
	s_cselect_b32 s4, -1, 0
	s_delay_alu instid0(SALU_CYCLE_1) | instskip(NEXT) | instid1(SALU_CYCLE_1)
	s_and_b32 s4, s4, s6
	s_or_b32 s2, s4, s2
	s_delay_alu instid0(SALU_CYCLE_1)
	s_and_b32 vcc_lo, exec_lo, s2
	s_cbranch_vccnz .LBB49_7
; %bb.1:
	s_load_b32 s2, s[0:1], 0x3c
	v_bfe_u32 v1, v0, 10, 10
	v_and_b32_e32 v0, 0x3ff, v0
	s_mov_b32 s4, exec_lo
	s_wait_kmcnt 0x0
	s_and_b32 s16, s2, 0xffff
	s_delay_alu instid0(SALU_CYCLE_1) | instskip(SKIP_1) | instid1(SALU_CYCLE_1)
	v_mad_u32 v4, s15, s16, v1
	s_mul_i32 s2, s17, s16
	v_add_nc_u32_e32 v5, s2, v0
	s_delay_alu instid0(VALU_DEP_1) | instskip(NEXT) | instid1(VALU_DEP_1)
	v_max_i32_e32 v2, v5, v4
	v_cmpx_gt_i32_e64 s3, v2
	s_cbranch_execz .LBB49_7
; %bb.2:
	s_load_b256 s[4:11], s[0:1], 0x8
	s_sub_co_i32 s2, s3, s2
	s_delay_alu instid0(SALU_CYCLE_1)
	s_min_i32 s14, s2, s16
	s_wait_kmcnt 0x0
	s_mul_u64 s[2:3], s[8:9], s[12:13]
	s_ashr_i32 s9, s6, 31
	s_lshl_b64 s[2:3], s[2:3], 3
	s_mov_b32 s8, s6
	s_add_nc_u64 s[2:3], s[4:5], s[2:3]
	s_lshl_b64 s[4:5], s[8:9], 3
	s_cmp_lt_i32 s14, 1
	s_add_nc_u64 s[2:3], s[2:3], s[4:5]
	s_cbranch_scc1 .LBB49_5
; %bb.3:
	s_add_nc_u64 s[0:1], s[0:1], 48
	v_dual_mov_b32 v3, 0 :: v_dual_lshlrev_b32 v2, 3, v0
	s_load_b32 s0, s[0:1], 0x0
	s_wait_kmcnt 0x0
	s_mul_i32 s0, s0, s12
	s_delay_alu instid0(SALU_CYCLE_1)
	s_add_co_i32 s0, s0, s17
	s_mul_i32 s17, s17, s7
	s_mul_i32 s0, s0, s16
	s_add_co_i32 s15, s15, s17
	s_mul_i32 s0, s0, s16
	v_mad_u32 v6, s15, s16, v1
	s_ashr_i32 s1, s0, 31
	v_mov_b64_e32 v[0:1], 0
	s_lshl_b64 s[0:1], s[0:1], 3
	s_delay_alu instid0(SALU_CYCLE_1) | instskip(NEXT) | instid1(SALU_CYCLE_1)
	s_add_nc_u64 s[0:1], s[10:11], s[0:1]
	v_add_nc_u64_e32 v[2:3], s[0:1], v[2:3]
	s_mov_b32 s1, 0
	s_lshl_b32 s0, s16, 3
.LBB49_4:                               ; =>This Inner Loop Header: Depth=1
	global_load_b64 v[8:9], v[2:3], off
	global_load_b64 v[10:11], v6, s[2:3] scale_offset
	s_wait_xcnt 0x1
	v_add_nc_u64_e32 v[2:3], s[0:1], v[2:3]
	s_wait_xcnt 0x0
	v_add_nc_u32_e32 v6, s7, v6
	s_add_co_i32 s14, s14, -1
	s_delay_alu instid0(SALU_CYCLE_1)
	s_cmp_lg_u32 s14, 0
	s_wait_loadcnt 0x0
	v_fmac_f64_e32 v[0:1], v[8:9], v[10:11]
	s_cbranch_scc1 .LBB49_4
	s_branch .LBB49_6
.LBB49_5:
	v_mov_b64_e32 v[0:1], 0
.LBB49_6:
	v_mad_u32 v2, v5, s7, v4
	s_barrier_signal -1
	s_barrier_wait -1
	global_store_b64 v2, v[0:1], s[2:3] scale_offset
.LBB49_7:
	s_endpgm
	.section	.rodata,"a",@progbits
	.p2align	6, 0x0
	.amdhsa_kernel _ZN9rocsolver6v33100L21syevj_diag_rotate_orgILb0EddPdEEvbiT2_iilPT0_Pi
		.amdhsa_group_segment_fixed_size 0
		.amdhsa_private_segment_fixed_size 0
		.amdhsa_kernarg_size 304
		.amdhsa_user_sgpr_count 2
		.amdhsa_user_sgpr_dispatch_ptr 0
		.amdhsa_user_sgpr_queue_ptr 0
		.amdhsa_user_sgpr_kernarg_segment_ptr 1
		.amdhsa_user_sgpr_dispatch_id 0
		.amdhsa_user_sgpr_kernarg_preload_length 0
		.amdhsa_user_sgpr_kernarg_preload_offset 0
		.amdhsa_user_sgpr_private_segment_size 0
		.amdhsa_wavefront_size32 1
		.amdhsa_uses_dynamic_stack 0
		.amdhsa_enable_private_segment 0
		.amdhsa_system_sgpr_workgroup_id_x 1
		.amdhsa_system_sgpr_workgroup_id_y 1
		.amdhsa_system_sgpr_workgroup_id_z 1
		.amdhsa_system_sgpr_workgroup_info 0
		.amdhsa_system_vgpr_workitem_id 1
		.amdhsa_next_free_vgpr 12
		.amdhsa_next_free_sgpr 18
		.amdhsa_named_barrier_count 0
		.amdhsa_reserve_vcc 1
		.amdhsa_float_round_mode_32 0
		.amdhsa_float_round_mode_16_64 0
		.amdhsa_float_denorm_mode_32 3
		.amdhsa_float_denorm_mode_16_64 3
		.amdhsa_fp16_overflow 0
		.amdhsa_memory_ordered 1
		.amdhsa_forward_progress 1
		.amdhsa_inst_pref_size 5
		.amdhsa_round_robin_scheduling 0
		.amdhsa_exception_fp_ieee_invalid_op 0
		.amdhsa_exception_fp_denorm_src 0
		.amdhsa_exception_fp_ieee_div_zero 0
		.amdhsa_exception_fp_ieee_overflow 0
		.amdhsa_exception_fp_ieee_underflow 0
		.amdhsa_exception_fp_ieee_inexact 0
		.amdhsa_exception_int_div_zero 0
	.end_amdhsa_kernel
	.section	.text._ZN9rocsolver6v33100L21syevj_diag_rotate_orgILb0EddPdEEvbiT2_iilPT0_Pi,"axG",@progbits,_ZN9rocsolver6v33100L21syevj_diag_rotate_orgILb0EddPdEEvbiT2_iilPT0_Pi,comdat
.Lfunc_end49:
	.size	_ZN9rocsolver6v33100L21syevj_diag_rotate_orgILb0EddPdEEvbiT2_iilPT0_Pi, .Lfunc_end49-_ZN9rocsolver6v33100L21syevj_diag_rotate_orgILb0EddPdEEvbiT2_iilPT0_Pi
                                        ; -- End function
	.set _ZN9rocsolver6v33100L21syevj_diag_rotate_orgILb0EddPdEEvbiT2_iilPT0_Pi.num_vgpr, 12
	.set _ZN9rocsolver6v33100L21syevj_diag_rotate_orgILb0EddPdEEvbiT2_iilPT0_Pi.num_agpr, 0
	.set _ZN9rocsolver6v33100L21syevj_diag_rotate_orgILb0EddPdEEvbiT2_iilPT0_Pi.numbered_sgpr, 18
	.set _ZN9rocsolver6v33100L21syevj_diag_rotate_orgILb0EddPdEEvbiT2_iilPT0_Pi.num_named_barrier, 0
	.set _ZN9rocsolver6v33100L21syevj_diag_rotate_orgILb0EddPdEEvbiT2_iilPT0_Pi.private_seg_size, 0
	.set _ZN9rocsolver6v33100L21syevj_diag_rotate_orgILb0EddPdEEvbiT2_iilPT0_Pi.uses_vcc, 1
	.set _ZN9rocsolver6v33100L21syevj_diag_rotate_orgILb0EddPdEEvbiT2_iilPT0_Pi.uses_flat_scratch, 0
	.set _ZN9rocsolver6v33100L21syevj_diag_rotate_orgILb0EddPdEEvbiT2_iilPT0_Pi.has_dyn_sized_stack, 0
	.set _ZN9rocsolver6v33100L21syevj_diag_rotate_orgILb0EddPdEEvbiT2_iilPT0_Pi.has_recursion, 0
	.set _ZN9rocsolver6v33100L21syevj_diag_rotate_orgILb0EddPdEEvbiT2_iilPT0_Pi.has_indirect_call, 0
	.section	.AMDGPU.csdata,"",@progbits
; Kernel info:
; codeLenInByte = 536
; TotalNumSgprs: 20
; NumVgprs: 12
; ScratchSize: 0
; MemoryBound: 0
; FloatMode: 240
; IeeeMode: 1
; LDSByteSize: 0 bytes/workgroup (compile time only)
; SGPRBlocks: 0
; VGPRBlocks: 0
; NumSGPRsForWavesPerEU: 20
; NumVGPRsForWavesPerEU: 12
; NamedBarCnt: 0
; Occupancy: 16
; WaveLimiterHint : 0
; COMPUTE_PGM_RSRC2:SCRATCH_EN: 0
; COMPUTE_PGM_RSRC2:USER_SGPR: 2
; COMPUTE_PGM_RSRC2:TRAP_HANDLER: 0
; COMPUTE_PGM_RSRC2:TGID_X_EN: 1
; COMPUTE_PGM_RSRC2:TGID_Y_EN: 1
; COMPUTE_PGM_RSRC2:TGID_Z_EN: 1
; COMPUTE_PGM_RSRC2:TIDIG_COMP_CNT: 1
	.section	.text._ZN9rocsolver6v33100L21syevj_diag_rotate_orgILb1EddPdEEvbiT2_iilPT0_Pi,"axG",@progbits,_ZN9rocsolver6v33100L21syevj_diag_rotate_orgILb1EddPdEEvbiT2_iilPT0_Pi,comdat
	.globl	_ZN9rocsolver6v33100L21syevj_diag_rotate_orgILb1EddPdEEvbiT2_iilPT0_Pi ; -- Begin function _ZN9rocsolver6v33100L21syevj_diag_rotate_orgILb1EddPdEEvbiT2_iilPT0_Pi
	.p2align	8
	.type	_ZN9rocsolver6v33100L21syevj_diag_rotate_orgILb1EddPdEEvbiT2_iilPT0_Pi,@function
_ZN9rocsolver6v33100L21syevj_diag_rotate_orgILb1EddPdEEvbiT2_iilPT0_Pi: ; @_ZN9rocsolver6v33100L21syevj_diag_rotate_orgILb1EddPdEEvbiT2_iilPT0_Pi
; %bb.0:
	s_clause 0x1
	s_load_b64 s[2:3], s[0:1], 0x0
	s_load_b64 s[4:5], s[0:1], 0x28
	s_wait_kmcnt 0x0
	s_bitcmp1_b32 s2, 0
	s_getreg_b32 s2, hwreg(HW_REG_IB_STS2, 6, 4)
	s_cselect_b32 s6, -1, 0
	s_bfe_u32 s8, ttmp6, 0x40014
	s_bfe_u32 s11, ttmp6, 0x40010
	;; [unrolled: 1-line block ×3, first 2 shown]
	s_lshr_b32 s7, ttmp7, 16
	s_and_b32 s10, ttmp7, 0xffff
	s_add_co_i32 s8, s8, 1
	s_add_co_i32 s11, s11, 1
	;; [unrolled: 1-line block ×3, first 2 shown]
	s_bfe_u32 s9, ttmp6, 0x40008
	s_bfe_u32 s12, ttmp6, 0x40004
	s_and_b32 s13, ttmp6, 15
	s_mul_i32 s8, s7, s8
	s_mul_i32 s11, s10, s11
	s_mul_i32 s14, ttmp9, s14
	s_add_co_i32 s9, s9, s8
	s_add_co_i32 s8, s12, s11
	;; [unrolled: 1-line block ×3, first 2 shown]
	s_cmp_eq_u32 s2, 0
	s_cselect_b32 s12, s7, s9
	s_cselect_b32 s15, ttmp9, s13
	s_load_b32 s4, s[4:5], s12 offset:0x4 scale_offset
	s_cselect_b32 s2, s10, s8
	s_mov_b32 s13, 0
	s_wait_kmcnt 0x0
	s_cmp_lg_u32 s4, 0
	s_cselect_b32 s4, -1, 0
	s_cmp_eq_u32 s15, s2
	s_cselect_b32 s5, -1, 0
	s_delay_alu instid0(SALU_CYCLE_1) | instskip(NEXT) | instid1(SALU_CYCLE_1)
	s_and_b32 s5, s5, s6
	s_or_b32 s4, s5, s4
	s_delay_alu instid0(SALU_CYCLE_1)
	s_and_b32 vcc_lo, exec_lo, s4
	s_cbranch_vccnz .LBB50_7
; %bb.1:
	s_load_b32 s4, s[0:1], 0x3c
	v_bfe_u32 v1, v0, 10, 10
	v_and_b32_e32 v0, 0x3ff, v0
	s_wait_kmcnt 0x0
	s_and_b32 s14, s4, 0xffff
	s_delay_alu instid0(VALU_DEP_2) | instid1(SALU_CYCLE_1)
	v_mad_u32 v1, s2, s14, v1
	s_mul_i32 s16, s15, s14
	s_mov_b32 s2, exec_lo
	v_add_nc_u32_e32 v4, s16, v0
	s_delay_alu instid0(VALU_DEP_1) | instskip(NEXT) | instid1(VALU_DEP_1)
	v_max_i32_e32 v2, v4, v1
	v_cmpx_gt_i32_e64 s3, v2
	s_cbranch_execz .LBB50_7
; %bb.2:
	s_load_b256 s[4:11], s[0:1], 0x8
	s_sub_co_i32 s2, s3, s16
	s_wait_kmcnt 0x0
	v_mul_lo_u32 v5, v1, s7
	s_min_i32 s7, s2, s14
	s_mul_u64 s[2:3], s[8:9], s[12:13]
	s_ashr_i32 s9, s6, 31
	s_lshl_b64 s[2:3], s[2:3], 3
	s_mov_b32 s8, s6
	s_add_nc_u64 s[2:3], s[4:5], s[2:3]
	s_lshl_b64 s[4:5], s[8:9], 3
	s_cmp_lt_i32 s7, 1
	s_add_nc_u64 s[2:3], s[2:3], s[4:5]
	s_cbranch_scc1 .LBB50_5
; %bb.3:
	s_add_nc_u64 s[0:1], s[0:1], 48
	v_dual_mov_b32 v1, 0 :: v_dual_lshlrev_b32 v0, 3, v0
	s_load_b32 s0, s[0:1], 0x0
	v_add_nc_u32_e32 v6, s16, v5
	s_wait_kmcnt 0x0
	s_mul_i32 s0, s0, s12
	s_delay_alu instid0(SALU_CYCLE_1) | instskip(NEXT) | instid1(SALU_CYCLE_1)
	s_add_co_i32 s0, s0, s15
	s_mul_i32 s0, s0, s14
	s_delay_alu instid0(SALU_CYCLE_1) | instskip(NEXT) | instid1(SALU_CYCLE_1)
	s_mul_i32 s0, s0, s14
	s_ashr_i32 s1, s0, 31
	s_delay_alu instid0(SALU_CYCLE_1) | instskip(NEXT) | instid1(SALU_CYCLE_1)
	s_lshl_b64 s[0:1], s[0:1], 3
	s_add_nc_u64 s[0:1], s[10:11], s[0:1]
	s_delay_alu instid0(SALU_CYCLE_1)
	v_add_nc_u64_e32 v[2:3], s[0:1], v[0:1]
	v_mov_b64_e32 v[0:1], 0
	s_mov_b32 s1, 0
	s_lshl_b32 s0, s14, 3
.LBB50_4:                               ; =>This Inner Loop Header: Depth=1
	global_load_b64 v[8:9], v[2:3], off
	global_load_b64 v[10:11], v6, s[2:3] scale_offset
	s_wait_xcnt 0x1
	v_add_nc_u64_e32 v[2:3], s[0:1], v[2:3]
	s_wait_xcnt 0x0
	v_add_nc_u32_e32 v6, 1, v6
	s_add_co_i32 s7, s7, -1
	s_delay_alu instid0(SALU_CYCLE_1)
	s_cmp_lg_u32 s7, 0
	s_wait_loadcnt 0x0
	v_fmac_f64_e32 v[0:1], v[8:9], v[10:11]
	s_cbranch_scc1 .LBB50_4
	s_branch .LBB50_6
.LBB50_5:
	v_mov_b64_e32 v[0:1], 0
.LBB50_6:
	v_add_nc_u32_e32 v2, v5, v4
	s_barrier_signal -1
	s_barrier_wait -1
	global_store_b64 v2, v[0:1], s[2:3] scale_offset
.LBB50_7:
	s_endpgm
	.section	.rodata,"a",@progbits
	.p2align	6, 0x0
	.amdhsa_kernel _ZN9rocsolver6v33100L21syevj_diag_rotate_orgILb1EddPdEEvbiT2_iilPT0_Pi
		.amdhsa_group_segment_fixed_size 0
		.amdhsa_private_segment_fixed_size 0
		.amdhsa_kernarg_size 304
		.amdhsa_user_sgpr_count 2
		.amdhsa_user_sgpr_dispatch_ptr 0
		.amdhsa_user_sgpr_queue_ptr 0
		.amdhsa_user_sgpr_kernarg_segment_ptr 1
		.amdhsa_user_sgpr_dispatch_id 0
		.amdhsa_user_sgpr_kernarg_preload_length 0
		.amdhsa_user_sgpr_kernarg_preload_offset 0
		.amdhsa_user_sgpr_private_segment_size 0
		.amdhsa_wavefront_size32 1
		.amdhsa_uses_dynamic_stack 0
		.amdhsa_enable_private_segment 0
		.amdhsa_system_sgpr_workgroup_id_x 1
		.amdhsa_system_sgpr_workgroup_id_y 1
		.amdhsa_system_sgpr_workgroup_id_z 1
		.amdhsa_system_sgpr_workgroup_info 0
		.amdhsa_system_vgpr_workitem_id 1
		.amdhsa_next_free_vgpr 12
		.amdhsa_next_free_sgpr 17
		.amdhsa_named_barrier_count 0
		.amdhsa_reserve_vcc 1
		.amdhsa_float_round_mode_32 0
		.amdhsa_float_round_mode_16_64 0
		.amdhsa_float_denorm_mode_32 3
		.amdhsa_float_denorm_mode_16_64 3
		.amdhsa_fp16_overflow 0
		.amdhsa_memory_ordered 1
		.amdhsa_forward_progress 1
		.amdhsa_inst_pref_size 5
		.amdhsa_round_robin_scheduling 0
		.amdhsa_exception_fp_ieee_invalid_op 0
		.amdhsa_exception_fp_denorm_src 0
		.amdhsa_exception_fp_ieee_div_zero 0
		.amdhsa_exception_fp_ieee_overflow 0
		.amdhsa_exception_fp_ieee_underflow 0
		.amdhsa_exception_fp_ieee_inexact 0
		.amdhsa_exception_int_div_zero 0
	.end_amdhsa_kernel
	.section	.text._ZN9rocsolver6v33100L21syevj_diag_rotate_orgILb1EddPdEEvbiT2_iilPT0_Pi,"axG",@progbits,_ZN9rocsolver6v33100L21syevj_diag_rotate_orgILb1EddPdEEvbiT2_iilPT0_Pi,comdat
.Lfunc_end50:
	.size	_ZN9rocsolver6v33100L21syevj_diag_rotate_orgILb1EddPdEEvbiT2_iilPT0_Pi, .Lfunc_end50-_ZN9rocsolver6v33100L21syevj_diag_rotate_orgILb1EddPdEEvbiT2_iilPT0_Pi
                                        ; -- End function
	.set _ZN9rocsolver6v33100L21syevj_diag_rotate_orgILb1EddPdEEvbiT2_iilPT0_Pi.num_vgpr, 12
	.set _ZN9rocsolver6v33100L21syevj_diag_rotate_orgILb1EddPdEEvbiT2_iilPT0_Pi.num_agpr, 0
	.set _ZN9rocsolver6v33100L21syevj_diag_rotate_orgILb1EddPdEEvbiT2_iilPT0_Pi.numbered_sgpr, 17
	.set _ZN9rocsolver6v33100L21syevj_diag_rotate_orgILb1EddPdEEvbiT2_iilPT0_Pi.num_named_barrier, 0
	.set _ZN9rocsolver6v33100L21syevj_diag_rotate_orgILb1EddPdEEvbiT2_iilPT0_Pi.private_seg_size, 0
	.set _ZN9rocsolver6v33100L21syevj_diag_rotate_orgILb1EddPdEEvbiT2_iilPT0_Pi.uses_vcc, 1
	.set _ZN9rocsolver6v33100L21syevj_diag_rotate_orgILb1EddPdEEvbiT2_iilPT0_Pi.uses_flat_scratch, 0
	.set _ZN9rocsolver6v33100L21syevj_diag_rotate_orgILb1EddPdEEvbiT2_iilPT0_Pi.has_dyn_sized_stack, 0
	.set _ZN9rocsolver6v33100L21syevj_diag_rotate_orgILb1EddPdEEvbiT2_iilPT0_Pi.has_recursion, 0
	.set _ZN9rocsolver6v33100L21syevj_diag_rotate_orgILb1EddPdEEvbiT2_iilPT0_Pi.has_indirect_call, 0
	.section	.AMDGPU.csdata,"",@progbits
; Kernel info:
; codeLenInByte = 532
; TotalNumSgprs: 19
; NumVgprs: 12
; ScratchSize: 0
; MemoryBound: 0
; FloatMode: 240
; IeeeMode: 1
; LDSByteSize: 0 bytes/workgroup (compile time only)
; SGPRBlocks: 0
; VGPRBlocks: 0
; NumSGPRsForWavesPerEU: 19
; NumVGPRsForWavesPerEU: 12
; NamedBarCnt: 0
; Occupancy: 16
; WaveLimiterHint : 0
; COMPUTE_PGM_RSRC2:SCRATCH_EN: 0
; COMPUTE_PGM_RSRC2:USER_SGPR: 2
; COMPUTE_PGM_RSRC2:TRAP_HANDLER: 0
; COMPUTE_PGM_RSRC2:TGID_X_EN: 1
; COMPUTE_PGM_RSRC2:TGID_Y_EN: 1
; COMPUTE_PGM_RSRC2:TGID_Z_EN: 1
; COMPUTE_PGM_RSRC2:TIDIG_COMP_CNT: 1
	.section	.text._ZN9rocsolver6v33100L17syevj_diag_rotateILb0EddPdEEvbiiT2_iilPT0_Pii,"axG",@progbits,_ZN9rocsolver6v33100L17syevj_diag_rotateILb0EddPdEEvbiiT2_iilPT0_Pii,comdat
	.globl	_ZN9rocsolver6v33100L17syevj_diag_rotateILb0EddPdEEvbiiT2_iilPT0_Pii ; -- Begin function _ZN9rocsolver6v33100L17syevj_diag_rotateILb0EddPdEEvbiiT2_iilPT0_Pii
	.p2align	8
	.type	_ZN9rocsolver6v33100L17syevj_diag_rotateILb0EddPdEEvbiiT2_iilPT0_Pii,@function
_ZN9rocsolver6v33100L17syevj_diag_rotateILb0EddPdEEvbiiT2_iilPT0_Pii: ; @_ZN9rocsolver6v33100L17syevj_diag_rotateILb0EddPdEEvbiiT2_iilPT0_Pii
; %bb.0:
	s_load_b96 s[24:26], s[0:1], 0x0
	s_mov_b64 s[22:23], s[0:1]
	v_mov_b32_e32 v41, v0
	s_mov_b32 s29, 0
	s_mov_b32 s32, 0
	s_wait_kmcnt 0x0
	s_abs_i32 s21, s25
	s_mul_i32 s27, s25, s25
	s_cvt_f32_u32 s0, s21
	s_cmp_lt_u32 s27, 0x2001
	s_delay_alu instid0(SALU_CYCLE_2) | instskip(SKIP_2) | instid1(TRANS32_DEP_1)
	v_rcp_iflag_f32_e32 v0, s0
	s_mov_b32 s0, -1
	v_nop
	v_readfirstlane_b32 s28, v0
	s_cbranch_scc1 .LBB51_2
; %bb.1:
	s_get_pc_i64 s[0:1]
	s_add_nc_u64 s[0:1], s[0:1], __PRETTY_FUNCTION__._ZN9rocsolver6v33100L17syevj_diag_rotateILb0EddPdEEvbiiT2_iilPT0_Pii@rel64+4
	s_add_nc_u64 s[8:9], s[22:23], 64
	v_dual_mov_b32 v0, s0 :: v_dual_mov_b32 v1, s1
	s_get_pc_i64 s[2:3]
	s_add_nc_u64 s[2:3], s[2:3], __assert_fail@rel64+4
	s_delay_alu instid0(SALU_CYCLE_1)
	s_swap_pc_i64 s[30:31], s[2:3]
	; divergent unreachable
	s_mov_b32 s0, 0
.LBB51_2:
	s_delay_alu instid0(SALU_CYCLE_1)
	s_and_not1_b32 vcc_lo, exec_lo, s0
	s_cbranch_vccnz .LBB51_35
; %bb.3:
	s_load_b32 s30, s[22:23], 0x38
	s_bfe_u32 s0, ttmp6, 0x40014
	s_lshr_b32 s1, ttmp7, 16
	s_add_co_i32 s0, s0, 1
	s_bfe_u32 s3, ttmp6, 0x40008
	s_mul_i32 s2, s1, s0
	s_getreg_b32 s0, hwreg(HW_REG_IB_STS2, 6, 4)
	s_add_co_i32 s3, s3, s2
	s_cmp_eq_u32 s0, 0
	s_cselect_b32 s16, s1, s3
	s_mov_b32 s3, 0
	s_wait_kmcnt 0x0
	s_cmp_ge_u32 s16, s30
	s_cbranch_scc1 .LBB51_35
; %bb.4:
	s_mul_f32 s1, s28, 0x4f7ffffe
	s_clause 0x1
	s_load_b128 s[12:15], s[22:23], 0x40
	s_load_b64 s[18:19], s[22:23], 0x30
	s_sub_co_i32 s2, 0, s21
	s_cvt_u32_f32 s1, s1
	s_add_co_i32 s4, s26, -1
	s_ashr_i32 s17, s25, 31
	s_abs_i32 s28, s4
	s_mul_i32 s2, s2, s1
	s_ashr_i32 s20, s4, 31
	s_mul_hi_u32 s2, s1, s2
	s_mov_b32 s5, s29
	s_add_co_i32 s4, s1, s2
	s_cmp_lt_u32 s27, 0x1001
	s_mul_u64 s[34:35], s[28:29], s[4:5]
	s_cselect_b32 s31, -1, 0
	s_bitcmp1_b32 s24, 0
	v_bfe_u32 v7, v41, 10, 10
	s_cselect_b32 s24, -1, 0
	s_bfe_u32 s1, ttmp6, 0x40010
	s_bfe_u32 s4, ttmp6, 0x4000c
	s_and_b32 s2, ttmp7, 0xffff
	s_add_co_i32 s1, s1, 1
	s_add_co_i32 s4, s4, 1
	s_mul_i32 s1, s2, s1
	s_bfe_u32 s5, ttmp6, 0x40004
	s_and_b32 s6, ttmp6, 15
	s_mul_i32 s4, ttmp9, s4
	s_wait_kmcnt 0x0
	s_lshr_b32 s29, s15, 16
	s_and_b32 s15, s15, 0xffff
	s_add_co_i32 s1, s5, s1
	s_add_co_i32 s33, s6, s4
	s_load_b256 s[4:11], s[22:23], 0x10
	s_cmp_eq_u32 s0, 0
	s_mul_i32 s0, s35, s21
	s_cselect_b32 s33, ttmp9, s33
	s_cselect_b32 s34, s2, s1
	s_sub_co_i32 s0, s28, s0
	s_xor_b32 s1, s20, s17
	s_add_co_i32 s2, s35, 1
	s_sub_co_i32 s17, s0, s21
	s_cmp_ge_u32 s0, s21
	v_mul_lo_u32 v0, v7, s25
	s_cselect_b32 s2, s2, s35
	s_cselect_b32 s0, s17, s0
	s_add_co_i32 s17, s2, 1
	s_cmp_ge_u32 s0, s21
	v_and_b32_e32 v6, 0x3ff, v41
	s_cselect_b32 s0, s17, s2
	s_mov_b64 s[36:37], src_shared_base
	s_xor_b32 s0, s0, s1
	s_mul_i32 s39, s29, s15
	s_sub_co_i32 s28, s0, s1
	s_lshl_b32 s0, s27, 3
	s_add_co_i32 s35, s28, 1
	s_add_co_i32 s36, s0, 0
	s_wait_kmcnt 0x0
	s_ashr_i32 s23, s6, 31
	v_mad_u32_u24 v8, v7, s15, v6
	v_dual_lshlrev_b32 v0, 3, v0 :: v_dual_lshlrev_b32 v1, 3, v6
	s_cmp_lt_u32 s33, s35
	s_mul_i32 s0, s28, s25
	s_cselect_b32 s38, -1, 0
	s_sub_co_i32 s26, s26, s0
	s_mov_b32 s22, s6
	s_cmp_lt_u32 s34, s35
	v_cmp_gt_u32_e64 s0, s27, v8
	v_lshl_add_u32 v9, v8, 3, s36
	v_add3_u32 v10, v0, v1, 0
	v_dual_add_nc_u32 v11, 0, v1 :: v_dual_mov_b32 v1, 0
	s_cselect_b32 s40, -1, 0
	s_ashr_i32 s21, s7, 31
	s_mov_b32 s20, s7
	s_lshl_b64 s[6:7], s[22:23], 3
	s_mul_i32 s1, s25, s29
	s_add_nc_u64 s[4:5], s[4:5], s[6:7]
	s_lshl_b32 s41, s39, 3
	s_lshl_b32 s42, s1, 3
	s_lshl_b32 s43, s15, 3
	s_mul_i32 s44, s34, s25
	s_mul_i32 s45, s13, s25
	s_lshl_b32 s46, s25, 3
	s_branch .LBB51_6
.LBB51_5:                               ;   in Loop: Header=BB51_6 Depth=1
	s_add_co_i32 s16, s16, s14
	s_delay_alu instid0(SALU_CYCLE_1)
	s_cmp_lt_u32 s16, s30
	s_cbranch_scc0 .LBB51_35
.LBB51_6:                               ; =>This Loop Header: Depth=1
                                        ;     Child Loop BB51_10 Depth 2
                                        ;       Child Loop BB51_13 Depth 3
                                        ;       Child Loop BB51_19 Depth 3
                                        ;         Child Loop BB51_23 Depth 4
                                        ;           Child Loop BB51_25 Depth 5
                                        ;         Child Loop BB51_29 Depth 4
                                        ;           Child Loop BB51_32 Depth 5
                                        ;             Child Loop BB51_34 Depth 6
	s_wait_xcnt 0x0
	v_mov_b32_e32 v0, s16
	global_load_b32 v0, v0, s[18:19] offset:4 scale_offset
	s_wait_loadcnt 0x0
	v_cmp_ne_u32_e32 vcc_lo, 0, v0
	s_cbranch_vccnz .LBB51_5
; %bb.7:                                ;   in Loop: Header=BB51_6 Depth=1
	s_and_not1_b32 vcc_lo, exec_lo, s38
	s_cbranch_vccnz .LBB51_5
; %bb.8:                                ;   in Loop: Header=BB51_6 Depth=1
	s_mov_b32 s17, s3
	s_mov_b32 s47, s33
	s_mul_u64 s[6:7], s[8:9], s[16:17]
	s_mul_i32 s17, s16, s35
	s_lshl_b64 s[6:7], s[6:7], 3
	s_delay_alu instid0(SALU_CYCLE_1)
	s_add_nc_u64 s[6:7], s[4:5], s[6:7]
	s_branch .LBB51_10
.LBB51_9:                               ;   in Loop: Header=BB51_10 Depth=2
	s_add_co_i32 s47, s47, s12
	s_delay_alu instid0(SALU_CYCLE_1)
	s_cmp_ge_u32 s47, s35
	s_cbranch_scc1 .LBB51_5
.LBB51_10:                              ;   Parent Loop BB51_6 Depth=1
                                        ; =>  This Loop Header: Depth=2
                                        ;       Child Loop BB51_13 Depth 3
                                        ;       Child Loop BB51_19 Depth 3
                                        ;         Child Loop BB51_23 Depth 4
                                        ;           Child Loop BB51_25 Depth 5
                                        ;         Child Loop BB51_29 Depth 4
                                        ;           Child Loop BB51_32 Depth 5
                                        ;             Child Loop BB51_34 Depth 6
	s_add_co_i32 s1, s47, s17
	s_and_not1_b32 vcc_lo, exec_lo, s31
	s_mul_i32 s2, s1, s27
	s_delay_alu instid0(SALU_CYCLE_1) | instskip(NEXT) | instid1(SALU_CYCLE_1)
	s_lshl_b64 s[22:23], s[2:3], 3
	s_add_nc_u64 s[22:23], s[10:11], s[22:23]
	s_cbranch_vccnz .LBB51_15
; %bb.11:                               ;   in Loop: Header=BB51_10 Depth=2
	s_wait_storecnt 0x0
	s_barrier_signal -1
	s_barrier_wait -1
	s_wait_xcnt 0x0
	s_and_saveexec_b32 s1, s0
	s_cbranch_execz .LBB51_14
; %bb.12:                               ;   in Loop: Header=BB51_10 Depth=2
	v_dual_mov_b32 v0, v9 :: v_dual_mov_b32 v2, v8
	s_mov_b32 s2, 0
.LBB51_13:                              ;   Parent Loop BB51_6 Depth=1
                                        ;     Parent Loop BB51_10 Depth=2
                                        ; =>    This Inner Loop Header: Depth=3
	global_load_b64 v[4:5], v2, s[22:23] scale_offset
	s_wait_xcnt 0x0
	v_add_nc_u32_e32 v2, s39, v2
	s_wait_loadcnt 0x0
	ds_store_b64 v0, v[4:5]
	v_add_nc_u32_e32 v0, s41, v0
	v_cmp_le_u32_e32 vcc_lo, s27, v2
	s_or_b32 s2, vcc_lo, s2
	s_delay_alu instid0(SALU_CYCLE_1)
	s_and_not1_b32 exec_lo, exec_lo, s2
	s_cbranch_execnz .LBB51_13
.LBB51_14:                              ;   in Loop: Header=BB51_10 Depth=2
	s_or_b32 exec_lo, exec_lo, s1
	s_wait_dscnt 0x0
	s_barrier_signal -1
	s_barrier_wait -1
.LBB51_15:                              ;   in Loop: Header=BB51_10 Depth=2
	s_and_not1_b32 vcc_lo, exec_lo, s40
	s_cbranch_vccnz .LBB51_9
; %bb.16:                               ;   in Loop: Header=BB51_10 Depth=2
	s_and_b32 s1, s31, exec_lo
	s_cselect_b32 s23, s37, s23
	s_cselect_b32 s22, s36, s22
	s_cmp_eq_u32 s47, s28
	s_mul_i32 s50, s47, s25
	s_cselect_b32 s48, s26, s25
	s_mov_b32 s51, s44
	v_cmp_gt_u32_e64 s1, s48, v7
	s_cmp_gt_i32 s48, 0
	s_mov_b32 s52, s34
	s_cselect_b32 s49, -1, 0
	s_branch .LBB51_19
.LBB51_17:                              ;   in Loop: Header=BB51_19 Depth=3
	s_or_b32 exec_lo, exec_lo, s54
	s_wait_storecnt 0x0
	s_barrier_signal -1
	s_barrier_wait -1
.LBB51_18:                              ;   in Loop: Header=BB51_19 Depth=3
	s_add_co_i32 s52, s52, s13
	s_add_co_i32 s51, s51, s45
	s_cmp_ge_u32 s52, s35
	s_cbranch_scc1 .LBB51_9
.LBB51_19:                              ;   Parent Loop BB51_6 Depth=1
                                        ;     Parent Loop BB51_10 Depth=2
                                        ; =>    This Loop Header: Depth=3
                                        ;         Child Loop BB51_23 Depth 4
                                        ;           Child Loop BB51_25 Depth 5
                                        ;         Child Loop BB51_29 Depth 4
                                        ;           Child Loop BB51_32 Depth 5
                                        ;             Child Loop BB51_34 Depth 6
	s_cmp_eq_u32 s47, s52
	s_cselect_b32 s2, -1, 0
	s_delay_alu instid0(SALU_CYCLE_1) | instskip(NEXT) | instid1(SALU_CYCLE_1)
	s_and_b32 s2, s24, s2
	s_and_b32 vcc_lo, exec_lo, s2
	s_cbranch_vccnz .LBB51_18
; %bb.20:                               ;   in Loop: Header=BB51_19 Depth=3
	s_cmp_eq_u32 s52, s28
	s_wait_storecnt 0x0
	s_cselect_b32 s53, s26, s25
	s_barrier_signal -1
	s_barrier_wait -1
	s_wait_xcnt 0x0
	s_and_saveexec_b32 s54, s1
	s_cbranch_execz .LBB51_26
; %bb.21:                               ;   in Loop: Header=BB51_19 Depth=3
	v_dual_mov_b32 v4, v10 :: v_dual_mov_b32 v5, v7
	s_mov_b32 s55, 0
	v_cmp_gt_u32_e32 vcc_lo, s53, v6
	s_branch .LBB51_23
.LBB51_22:                              ;   in Loop: Header=BB51_23 Depth=4
	s_or_b32 exec_lo, exec_lo, s56
	v_dual_add_nc_u32 v5, s29, v5 :: v_dual_add_nc_u32 v4, s42, v4
	s_delay_alu instid0(VALU_DEP_1) | instskip(SKIP_1) | instid1(SALU_CYCLE_1)
	v_cmp_le_u32_e64 s2, s48, v5
	s_or_b32 s55, s2, s55
	s_and_not1_b32 exec_lo, exec_lo, s55
	s_cbranch_execz .LBB51_26
.LBB51_23:                              ;   Parent Loop BB51_6 Depth=1
                                        ;     Parent Loop BB51_10 Depth=2
                                        ;       Parent Loop BB51_19 Depth=3
                                        ; =>      This Loop Header: Depth=4
                                        ;           Child Loop BB51_25 Depth 5
	s_and_saveexec_b32 s56, vcc_lo
	s_cbranch_execz .LBB51_22
; %bb.24:                               ;   in Loop: Header=BB51_23 Depth=4
	v_dual_add_nc_u32 v0, s50, v5 :: v_dual_mov_b32 v12, v4
	v_mov_b32_e32 v13, v6
	s_mov_b32 s57, 0
	s_delay_alu instid0(VALU_DEP_2) | instskip(NEXT) | instid1(VALU_DEP_1)
	v_mul_u64_e32 v[2:3], s[20:21], v[0:1]
	v_lshl_add_u64 v[2:3], v[2:3], 3, s[6:7]
.LBB51_25:                              ;   Parent Loop BB51_6 Depth=1
                                        ;     Parent Loop BB51_10 Depth=2
                                        ;       Parent Loop BB51_19 Depth=3
                                        ;         Parent Loop BB51_23 Depth=4
                                        ; =>        This Inner Loop Header: Depth=5
	s_delay_alu instid0(VALU_DEP_3) | instskip(NEXT) | instid1(VALU_DEP_1)
	v_dual_add_nc_u32 v0, s51, v13 :: v_dual_add_nc_u32 v13, s15, v13
	v_lshl_add_u64 v[14:15], v[0:1], 3, v[2:3]
	s_delay_alu instid0(VALU_DEP_2)
	v_cmp_le_u32_e64 s2, s53, v13
	global_load_b64 v[14:15], v[14:15], off
	s_or_b32 s57, s2, s57
	s_wait_loadcnt 0x0
	ds_store_b64 v12, v[14:15]
	v_add_nc_u32_e32 v12, s43, v12
	s_wait_xcnt 0x0
	s_and_not1_b32 exec_lo, exec_lo, s57
	s_cbranch_execnz .LBB51_25
	s_branch .LBB51_22
.LBB51_26:                              ;   in Loop: Header=BB51_19 Depth=3
	s_or_b32 exec_lo, exec_lo, s54
	s_wait_dscnt 0x0
	s_barrier_signal -1
	s_barrier_wait -1
	s_and_saveexec_b32 s54, s1
	s_cbranch_execz .LBB51_17
; %bb.27:                               ;   in Loop: Header=BB51_19 Depth=3
	v_cmp_gt_u32_e64 s2, s53, v6
	v_mov_b32_e32 v12, v7
	s_mul_i32 s55, s52, s25
	s_mov_b32 s56, 0
	s_branch .LBB51_29
.LBB51_28:                              ;   in Loop: Header=BB51_29 Depth=4
	s_or_b32 exec_lo, exec_lo, s57
	v_add_nc_u32_e32 v12, s29, v12
	s_delay_alu instid0(VALU_DEP_1) | instskip(SKIP_1) | instid1(SALU_CYCLE_1)
	v_cmp_le_u32_e32 vcc_lo, s48, v12
	s_or_b32 s56, vcc_lo, s56
	s_and_not1_b32 exec_lo, exec_lo, s56
	s_cbranch_execz .LBB51_17
.LBB51_29:                              ;   Parent Loop BB51_6 Depth=1
                                        ;     Parent Loop BB51_10 Depth=2
                                        ;       Parent Loop BB51_19 Depth=3
                                        ; =>      This Loop Header: Depth=4
                                        ;           Child Loop BB51_32 Depth 5
                                        ;             Child Loop BB51_34 Depth 6
	s_and_saveexec_b32 s57, s2
	s_cbranch_execz .LBB51_28
; %bb.30:                               ;   in Loop: Header=BB51_29 Depth=4
	v_dual_mov_b32 v13, v11 :: v_dual_add_nc_u32 v0, s50, v12
	v_mov_b32_e32 v14, v6
	s_mov_b32 s58, 0
	s_delay_alu instid0(VALU_DEP_2) | instskip(NEXT) | instid1(VALU_DEP_1)
	v_mul_u64_e32 v[2:3], s[20:21], v[0:1]
	v_lshl_add_u64 v[2:3], v[2:3], 3, s[6:7]
	s_branch .LBB51_32
.LBB51_31:                              ;   in Loop: Header=BB51_32 Depth=5
	v_dual_add_nc_u32 v0, s55, v14 :: v_dual_add_nc_u32 v14, s15, v14
	v_add_nc_u32_e32 v13, s43, v13
	s_delay_alu instid0(VALU_DEP_2) | instskip(NEXT) | instid1(VALU_DEP_3)
	v_lshl_add_u64 v[16:17], v[0:1], 3, v[2:3]
	v_cmp_le_u32_e32 vcc_lo, s53, v14
	global_store_b64 v[16:17], v[4:5], off
	s_or_b32 s58, vcc_lo, s58
	s_wait_xcnt 0x0
	s_and_not1_b32 exec_lo, exec_lo, s58
	s_cbranch_execz .LBB51_28
.LBB51_32:                              ;   Parent Loop BB51_6 Depth=1
                                        ;     Parent Loop BB51_10 Depth=2
                                        ;       Parent Loop BB51_19 Depth=3
                                        ;         Parent Loop BB51_29 Depth=4
                                        ; =>        This Loop Header: Depth=5
                                        ;             Child Loop BB51_34 Depth 6
	v_mov_b64_e32 v[4:5], 0
	s_and_not1_b32 vcc_lo, exec_lo, s49
	s_cbranch_vccnz .LBB51_31
; %bb.33:                               ;   in Loop: Header=BB51_32 Depth=5
	v_dual_mov_b32 v0, v12 :: v_dual_mov_b32 v15, v13
	s_mov_b32 s59, s48
.LBB51_34:                              ;   Parent Loop BB51_6 Depth=1
                                        ;     Parent Loop BB51_10 Depth=2
                                        ;       Parent Loop BB51_19 Depth=3
                                        ;         Parent Loop BB51_29 Depth=4
                                        ;           Parent Loop BB51_32 Depth=5
                                        ; =>          This Inner Loop Header: Depth=6
	flat_load_b64 v[16:17], v0, s[22:23] scale_offset
	ds_load_b64 v[18:19], v15
	s_wait_xcnt 0x0
	v_dual_add_nc_u32 v15, s46, v15 :: v_dual_add_nc_u32 v0, s25, v0
	s_add_co_i32 s59, s59, -1
	s_delay_alu instid0(SALU_CYCLE_1)
	s_cmp_eq_u32 s59, 0
	s_wait_loadcnt_dscnt 0x0
	v_fmac_f64_e32 v[4:5], v[18:19], v[16:17]
	s_cbranch_scc0 .LBB51_34
	s_branch .LBB51_31
.LBB51_35:
	s_endpgm
	.section	.rodata,"a",@progbits
	.p2align	6, 0x0
	.amdhsa_kernel _ZN9rocsolver6v33100L17syevj_diag_rotateILb0EddPdEEvbiiT2_iilPT0_Pii
		.amdhsa_group_segment_fixed_size 0
		.amdhsa_private_segment_fixed_size 64
		.amdhsa_kernarg_size 320
		.amdhsa_user_sgpr_count 2
		.amdhsa_user_sgpr_dispatch_ptr 0
		.amdhsa_user_sgpr_queue_ptr 0
		.amdhsa_user_sgpr_kernarg_segment_ptr 1
		.amdhsa_user_sgpr_dispatch_id 0
		.amdhsa_user_sgpr_kernarg_preload_length 0
		.amdhsa_user_sgpr_kernarg_preload_offset 0
		.amdhsa_user_sgpr_private_segment_size 0
		.amdhsa_wavefront_size32 1
		.amdhsa_uses_dynamic_stack 0
		.amdhsa_enable_private_segment 1
		.amdhsa_system_sgpr_workgroup_id_x 1
		.amdhsa_system_sgpr_workgroup_id_y 1
		.amdhsa_system_sgpr_workgroup_id_z 1
		.amdhsa_system_sgpr_workgroup_info 0
		.amdhsa_system_vgpr_workitem_id 1
		.amdhsa_next_free_vgpr 49
		.amdhsa_next_free_sgpr 60
		.amdhsa_named_barrier_count 0
		.amdhsa_reserve_vcc 1
		.amdhsa_float_round_mode_32 0
		.amdhsa_float_round_mode_16_64 0
		.amdhsa_float_denorm_mode_32 3
		.amdhsa_float_denorm_mode_16_64 3
		.amdhsa_fp16_overflow 0
		.amdhsa_memory_ordered 1
		.amdhsa_forward_progress 1
		.amdhsa_inst_pref_size 12
		.amdhsa_round_robin_scheduling 0
		.amdhsa_exception_fp_ieee_invalid_op 0
		.amdhsa_exception_fp_denorm_src 0
		.amdhsa_exception_fp_ieee_div_zero 0
		.amdhsa_exception_fp_ieee_overflow 0
		.amdhsa_exception_fp_ieee_underflow 0
		.amdhsa_exception_fp_ieee_inexact 0
		.amdhsa_exception_int_div_zero 0
	.end_amdhsa_kernel
	.section	.text._ZN9rocsolver6v33100L17syevj_diag_rotateILb0EddPdEEvbiiT2_iilPT0_Pii,"axG",@progbits,_ZN9rocsolver6v33100L17syevj_diag_rotateILb0EddPdEEvbiiT2_iilPT0_Pii,comdat
.Lfunc_end51:
	.size	_ZN9rocsolver6v33100L17syevj_diag_rotateILb0EddPdEEvbiiT2_iilPT0_Pii, .Lfunc_end51-_ZN9rocsolver6v33100L17syevj_diag_rotateILb0EddPdEEvbiiT2_iilPT0_Pii
                                        ; -- End function
	.set _ZN9rocsolver6v33100L17syevj_diag_rotateILb0EddPdEEvbiiT2_iilPT0_Pii.num_vgpr, max(42, .L__assert_fail.num_vgpr)
	.set _ZN9rocsolver6v33100L17syevj_diag_rotateILb0EddPdEEvbiiT2_iilPT0_Pii.num_agpr, max(0, .L__assert_fail.num_agpr)
	.set _ZN9rocsolver6v33100L17syevj_diag_rotateILb0EddPdEEvbiiT2_iilPT0_Pii.numbered_sgpr, max(60, .L__assert_fail.numbered_sgpr)
	.set _ZN9rocsolver6v33100L17syevj_diag_rotateILb0EddPdEEvbiiT2_iilPT0_Pii.num_named_barrier, max(0, .L__assert_fail.num_named_barrier)
	.set _ZN9rocsolver6v33100L17syevj_diag_rotateILb0EddPdEEvbiiT2_iilPT0_Pii.private_seg_size, 0+max(.L__assert_fail.private_seg_size)
	.set _ZN9rocsolver6v33100L17syevj_diag_rotateILb0EddPdEEvbiiT2_iilPT0_Pii.uses_vcc, or(1, .L__assert_fail.uses_vcc)
	.set _ZN9rocsolver6v33100L17syevj_diag_rotateILb0EddPdEEvbiiT2_iilPT0_Pii.uses_flat_scratch, or(0, .L__assert_fail.uses_flat_scratch)
	.set _ZN9rocsolver6v33100L17syevj_diag_rotateILb0EddPdEEvbiiT2_iilPT0_Pii.has_dyn_sized_stack, or(0, .L__assert_fail.has_dyn_sized_stack)
	.set _ZN9rocsolver6v33100L17syevj_diag_rotateILb0EddPdEEvbiiT2_iilPT0_Pii.has_recursion, or(0, .L__assert_fail.has_recursion)
	.set _ZN9rocsolver6v33100L17syevj_diag_rotateILb0EddPdEEvbiiT2_iilPT0_Pii.has_indirect_call, or(0, .L__assert_fail.has_indirect_call)
	.section	.AMDGPU.csdata,"",@progbits
; Kernel info:
; codeLenInByte = 1484
; TotalNumSgprs: 62
; NumVgprs: 49
; ScratchSize: 64
; MemoryBound: 0
; FloatMode: 240
; IeeeMode: 1
; LDSByteSize: 0 bytes/workgroup (compile time only)
; SGPRBlocks: 0
; VGPRBlocks: 3
; NumSGPRsForWavesPerEU: 62
; NumVGPRsForWavesPerEU: 49
; NamedBarCnt: 0
; Occupancy: 16
; WaveLimiterHint : 1
; COMPUTE_PGM_RSRC2:SCRATCH_EN: 1
; COMPUTE_PGM_RSRC2:USER_SGPR: 2
; COMPUTE_PGM_RSRC2:TRAP_HANDLER: 0
; COMPUTE_PGM_RSRC2:TGID_X_EN: 1
; COMPUTE_PGM_RSRC2:TGID_Y_EN: 1
; COMPUTE_PGM_RSRC2:TGID_Z_EN: 1
; COMPUTE_PGM_RSRC2:TIDIG_COMP_CNT: 1
	.section	.text._ZN9rocsolver6v33100L17syevj_diag_rotateILb1EddPdEEvbiiT2_iilPT0_Pii,"axG",@progbits,_ZN9rocsolver6v33100L17syevj_diag_rotateILb1EddPdEEvbiiT2_iilPT0_Pii,comdat
	.globl	_ZN9rocsolver6v33100L17syevj_diag_rotateILb1EddPdEEvbiiT2_iilPT0_Pii ; -- Begin function _ZN9rocsolver6v33100L17syevj_diag_rotateILb1EddPdEEvbiiT2_iilPT0_Pii
	.p2align	8
	.type	_ZN9rocsolver6v33100L17syevj_diag_rotateILb1EddPdEEvbiiT2_iilPT0_Pii,@function
_ZN9rocsolver6v33100L17syevj_diag_rotateILb1EddPdEEvbiiT2_iilPT0_Pii: ; @_ZN9rocsolver6v33100L17syevj_diag_rotateILb1EddPdEEvbiiT2_iilPT0_Pii
; %bb.0:
	s_load_b96 s[24:26], s[0:1], 0x0
	s_mov_b64 s[22:23], s[0:1]
	v_mov_b32_e32 v41, v0
	s_mov_b32 s29, 0
	s_mov_b32 s32, 0
	s_wait_kmcnt 0x0
	s_abs_i32 s21, s25
	s_mul_i32 s27, s25, s25
	s_cvt_f32_u32 s0, s21
	s_cmp_lt_u32 s27, 0x2001
	s_delay_alu instid0(SALU_CYCLE_2) | instskip(SKIP_2) | instid1(TRANS32_DEP_1)
	v_rcp_iflag_f32_e32 v0, s0
	s_mov_b32 s0, -1
	v_nop
	v_readfirstlane_b32 s28, v0
	s_cbranch_scc1 .LBB52_2
; %bb.1:
	s_get_pc_i64 s[0:1]
	s_add_nc_u64 s[0:1], s[0:1], __PRETTY_FUNCTION__._ZN9rocsolver6v33100L17syevj_diag_rotateILb1EddPdEEvbiiT2_iilPT0_Pii@rel64+4
	s_add_nc_u64 s[8:9], s[22:23], 64
	v_dual_mov_b32 v0, s0 :: v_dual_mov_b32 v1, s1
	s_get_pc_i64 s[2:3]
	s_add_nc_u64 s[2:3], s[2:3], __assert_fail@rel64+4
	s_delay_alu instid0(SALU_CYCLE_1)
	s_swap_pc_i64 s[30:31], s[2:3]
	; divergent unreachable
	s_mov_b32 s0, 0
.LBB52_2:
	s_delay_alu instid0(SALU_CYCLE_1)
	s_and_not1_b32 vcc_lo, exec_lo, s0
	s_cbranch_vccnz .LBB52_35
; %bb.3:
	s_load_b32 s30, s[22:23], 0x38
	s_bfe_u32 s0, ttmp6, 0x40014
	s_lshr_b32 s1, ttmp7, 16
	s_add_co_i32 s0, s0, 1
	s_bfe_u32 s3, ttmp6, 0x40008
	s_mul_i32 s2, s1, s0
	s_getreg_b32 s0, hwreg(HW_REG_IB_STS2, 6, 4)
	s_add_co_i32 s3, s3, s2
	s_cmp_eq_u32 s0, 0
	s_cselect_b32 s16, s1, s3
	s_mov_b32 s3, 0
	s_wait_kmcnt 0x0
	s_cmp_ge_u32 s16, s30
	s_cbranch_scc1 .LBB52_35
; %bb.4:
	s_mul_f32 s1, s28, 0x4f7ffffe
	s_clause 0x1
	s_load_b128 s[12:15], s[22:23], 0x40
	s_load_b64 s[18:19], s[22:23], 0x30
	s_sub_co_i32 s2, 0, s21
	s_cvt_u32_f32 s1, s1
	s_add_co_i32 s4, s26, -1
	s_ashr_i32 s17, s25, 31
	s_abs_i32 s28, s4
	s_mul_i32 s2, s2, s1
	s_ashr_i32 s20, s4, 31
	s_mul_hi_u32 s2, s1, s2
	s_mov_b32 s5, s29
	s_add_co_i32 s4, s1, s2
	s_cmp_lt_u32 s27, 0x1001
	s_mul_u64 s[34:35], s[28:29], s[4:5]
	s_cselect_b32 s31, -1, 0
	s_bitcmp1_b32 s24, 0
	v_bfe_u32 v7, v41, 10, 10
	s_cselect_b32 s24, -1, 0
	s_bfe_u32 s1, ttmp6, 0x40010
	s_bfe_u32 s4, ttmp6, 0x4000c
	s_and_b32 s2, ttmp7, 0xffff
	s_add_co_i32 s1, s1, 1
	s_add_co_i32 s4, s4, 1
	s_mul_i32 s1, s2, s1
	s_bfe_u32 s5, ttmp6, 0x40004
	s_and_b32 s6, ttmp6, 15
	s_mul_i32 s4, ttmp9, s4
	s_wait_kmcnt 0x0
	s_lshr_b32 s29, s15, 16
	s_and_b32 s15, s15, 0xffff
	s_add_co_i32 s1, s5, s1
	s_add_co_i32 s33, s6, s4
	s_load_b256 s[4:11], s[22:23], 0x10
	s_cmp_eq_u32 s0, 0
	s_mul_i32 s0, s35, s21
	s_cselect_b32 s33, ttmp9, s33
	s_cselect_b32 s34, s2, s1
	s_sub_co_i32 s0, s28, s0
	s_xor_b32 s1, s20, s17
	s_add_co_i32 s2, s35, 1
	s_sub_co_i32 s17, s0, s21
	s_cmp_ge_u32 s0, s21
	v_mul_lo_u32 v0, v7, s25
	s_cselect_b32 s2, s2, s35
	s_cselect_b32 s0, s17, s0
	s_add_co_i32 s17, s2, 1
	s_cmp_ge_u32 s0, s21
	v_and_b32_e32 v6, 0x3ff, v41
	s_cselect_b32 s0, s17, s2
	s_mov_b64 s[36:37], src_shared_base
	s_xor_b32 s0, s0, s1
	s_mul_i32 s39, s29, s15
	s_sub_co_i32 s28, s0, s1
	s_lshl_b32 s0, s27, 3
	s_add_co_i32 s35, s28, 1
	s_add_co_i32 s36, s0, 0
	s_wait_kmcnt 0x0
	s_ashr_i32 s23, s6, 31
	v_mad_u32_u24 v8, v7, s15, v6
	v_dual_lshlrev_b32 v0, 3, v0 :: v_dual_lshlrev_b32 v1, 3, v6
	s_cmp_lt_u32 s33, s35
	s_mul_i32 s0, s28, s25
	s_cselect_b32 s38, -1, 0
	s_sub_co_i32 s26, s26, s0
	s_mov_b32 s22, s6
	s_cmp_lt_u32 s34, s35
	v_cmp_gt_u32_e64 s0, s27, v8
	v_lshl_add_u32 v9, v8, 3, s36
	v_add3_u32 v10, v0, v1, 0
	v_dual_add_nc_u32 v11, 0, v0 :: v_dual_mov_b32 v1, 0
	s_cselect_b32 s40, -1, 0
	s_ashr_i32 s21, s7, 31
	s_mov_b32 s20, s7
	s_lshl_b64 s[6:7], s[22:23], 3
	s_mul_i32 s1, s25, s29
	s_add_nc_u64 s[4:5], s[4:5], s[6:7]
	s_lshl_b32 s41, s39, 3
	s_lshl_b32 s42, s1, 3
	;; [unrolled: 1-line block ×3, first 2 shown]
	s_mul_i32 s44, s33, s25
	s_mul_i32 s45, s12, s25
	s_branch .LBB52_6
.LBB52_5:                               ;   in Loop: Header=BB52_6 Depth=1
	s_add_co_i32 s16, s16, s14
	s_delay_alu instid0(SALU_CYCLE_1)
	s_cmp_lt_u32 s16, s30
	s_cbranch_scc0 .LBB52_35
.LBB52_6:                               ; =>This Loop Header: Depth=1
                                        ;     Child Loop BB52_10 Depth 2
                                        ;       Child Loop BB52_13 Depth 3
                                        ;       Child Loop BB52_19 Depth 3
                                        ;         Child Loop BB52_23 Depth 4
                                        ;           Child Loop BB52_25 Depth 5
                                        ;         Child Loop BB52_29 Depth 4
                                        ;           Child Loop BB52_32 Depth 5
                                        ;             Child Loop BB52_34 Depth 6
	s_wait_xcnt 0x0
	v_mov_b32_e32 v0, s16
	global_load_b32 v0, v0, s[18:19] offset:4 scale_offset
	s_wait_loadcnt 0x0
	v_cmp_ne_u32_e32 vcc_lo, 0, v0
	s_cbranch_vccnz .LBB52_5
; %bb.7:                                ;   in Loop: Header=BB52_6 Depth=1
	s_and_not1_b32 vcc_lo, exec_lo, s38
	s_cbranch_vccnz .LBB52_5
; %bb.8:                                ;   in Loop: Header=BB52_6 Depth=1
	s_mov_b32 s17, s3
	s_mov_b32 s46, s44
	s_mul_u64 s[6:7], s[8:9], s[16:17]
	s_mul_i32 s17, s16, s35
	s_lshl_b64 s[6:7], s[6:7], 3
	s_mov_b32 s47, s33
	s_add_nc_u64 s[6:7], s[4:5], s[6:7]
	s_branch .LBB52_10
.LBB52_9:                               ;   in Loop: Header=BB52_10 Depth=2
	s_add_co_i32 s47, s47, s12
	s_add_co_i32 s46, s46, s45
	s_cmp_ge_u32 s47, s35
	s_cbranch_scc1 .LBB52_5
.LBB52_10:                              ;   Parent Loop BB52_6 Depth=1
                                        ; =>  This Loop Header: Depth=2
                                        ;       Child Loop BB52_13 Depth 3
                                        ;       Child Loop BB52_19 Depth 3
                                        ;         Child Loop BB52_23 Depth 4
                                        ;           Child Loop BB52_25 Depth 5
                                        ;         Child Loop BB52_29 Depth 4
                                        ;           Child Loop BB52_32 Depth 5
                                        ;             Child Loop BB52_34 Depth 6
	s_add_co_i32 s1, s47, s17
	s_and_not1_b32 vcc_lo, exec_lo, s31
	s_mul_i32 s2, s1, s27
	s_delay_alu instid0(SALU_CYCLE_1) | instskip(NEXT) | instid1(SALU_CYCLE_1)
	s_lshl_b64 s[22:23], s[2:3], 3
	s_add_nc_u64 s[22:23], s[10:11], s[22:23]
	s_cbranch_vccnz .LBB52_15
; %bb.11:                               ;   in Loop: Header=BB52_10 Depth=2
	s_wait_storecnt 0x0
	s_barrier_signal -1
	s_barrier_wait -1
	s_wait_xcnt 0x0
	s_and_saveexec_b32 s1, s0
	s_cbranch_execz .LBB52_14
; %bb.12:                               ;   in Loop: Header=BB52_10 Depth=2
	v_dual_mov_b32 v0, v9 :: v_dual_mov_b32 v2, v8
	s_mov_b32 s2, 0
.LBB52_13:                              ;   Parent Loop BB52_6 Depth=1
                                        ;     Parent Loop BB52_10 Depth=2
                                        ; =>    This Inner Loop Header: Depth=3
	global_load_b64 v[4:5], v2, s[22:23] scale_offset
	s_wait_xcnt 0x0
	v_add_nc_u32_e32 v2, s39, v2
	s_wait_loadcnt 0x0
	ds_store_b64 v0, v[4:5]
	v_add_nc_u32_e32 v0, s41, v0
	v_cmp_le_u32_e32 vcc_lo, s27, v2
	s_or_b32 s2, vcc_lo, s2
	s_delay_alu instid0(SALU_CYCLE_1)
	s_and_not1_b32 exec_lo, exec_lo, s2
	s_cbranch_execnz .LBB52_13
.LBB52_14:                              ;   in Loop: Header=BB52_10 Depth=2
	s_or_b32 exec_lo, exec_lo, s1
	s_wait_dscnt 0x0
	s_barrier_signal -1
	s_barrier_wait -1
.LBB52_15:                              ;   in Loop: Header=BB52_10 Depth=2
	s_and_not1_b32 vcc_lo, exec_lo, s40
	s_cbranch_vccnz .LBB52_9
; %bb.16:                               ;   in Loop: Header=BB52_10 Depth=2
	s_and_b32 s1, s31, exec_lo
	s_cselect_b32 s23, s37, s23
	s_cselect_b32 s22, s36, s22
	s_cmp_eq_u32 s47, s28
	s_mul_i32 s50, s47, s25
	s_cselect_b32 s48, s26, s25
	s_mov_b32 s51, s34
	v_cmp_gt_u32_e64 s1, s48, v6
	s_cmp_gt_i32 s48, 0
	s_cselect_b32 s49, -1, 0
	s_branch .LBB52_19
.LBB52_17:                              ;   in Loop: Header=BB52_19 Depth=3
	s_or_b32 exec_lo, exec_lo, s2
	s_wait_storecnt 0x0
	s_barrier_signal -1
	s_barrier_wait -1
.LBB52_18:                              ;   in Loop: Header=BB52_19 Depth=3
	s_add_co_i32 s51, s51, s13
	s_delay_alu instid0(SALU_CYCLE_1)
	s_cmp_ge_u32 s51, s35
	s_cbranch_scc1 .LBB52_9
.LBB52_19:                              ;   Parent Loop BB52_6 Depth=1
                                        ;     Parent Loop BB52_10 Depth=2
                                        ; =>    This Loop Header: Depth=3
                                        ;         Child Loop BB52_23 Depth 4
                                        ;           Child Loop BB52_25 Depth 5
                                        ;         Child Loop BB52_29 Depth 4
                                        ;           Child Loop BB52_32 Depth 5
                                        ;             Child Loop BB52_34 Depth 6
	s_cmp_eq_u32 s47, s51
	s_cselect_b32 s2, -1, 0
	s_delay_alu instid0(SALU_CYCLE_1) | instskip(NEXT) | instid1(SALU_CYCLE_1)
	s_and_b32 s2, s24, s2
	s_and_b32 vcc_lo, exec_lo, s2
	s_cbranch_vccnz .LBB52_18
; %bb.20:                               ;   in Loop: Header=BB52_19 Depth=3
	s_cmp_eq_u32 s51, s28
	s_mul_i32 s53, s51, s25
	s_cselect_b32 s52, s26, s25
	s_wait_storecnt 0x0
	v_cmp_gt_u32_e32 vcc_lo, s52, v7
	s_barrier_signal -1
	s_barrier_wait -1
	s_wait_xcnt 0x0
	s_and_saveexec_b32 s54, vcc_lo
	s_cbranch_execz .LBB52_26
; %bb.21:                               ;   in Loop: Header=BB52_19 Depth=3
	v_dual_mov_b32 v4, v10 :: v_dual_mov_b32 v5, v7
	s_mov_b32 s55, 0
	s_branch .LBB52_23
.LBB52_22:                              ;   in Loop: Header=BB52_23 Depth=4
	s_or_b32 exec_lo, exec_lo, s56
	v_dual_add_nc_u32 v5, s29, v5 :: v_dual_add_nc_u32 v4, s42, v4
	s_delay_alu instid0(VALU_DEP_1) | instskip(SKIP_1) | instid1(SALU_CYCLE_1)
	v_cmp_le_u32_e64 s2, s52, v5
	s_or_b32 s55, s2, s55
	s_and_not1_b32 exec_lo, exec_lo, s55
	s_cbranch_execz .LBB52_26
.LBB52_23:                              ;   Parent Loop BB52_6 Depth=1
                                        ;     Parent Loop BB52_10 Depth=2
                                        ;       Parent Loop BB52_19 Depth=3
                                        ; =>      This Loop Header: Depth=4
                                        ;           Child Loop BB52_25 Depth 5
	s_and_saveexec_b32 s56, s1
	s_cbranch_execz .LBB52_22
; %bb.24:                               ;   in Loop: Header=BB52_23 Depth=4
	v_dual_add_nc_u32 v0, s53, v5 :: v_dual_mov_b32 v12, v4
	v_mov_b32_e32 v13, v6
	s_mov_b32 s57, 0
	s_delay_alu instid0(VALU_DEP_2) | instskip(NEXT) | instid1(VALU_DEP_1)
	v_mul_u64_e32 v[2:3], s[20:21], v[0:1]
	v_lshl_add_u64 v[2:3], v[2:3], 3, s[6:7]
.LBB52_25:                              ;   Parent Loop BB52_6 Depth=1
                                        ;     Parent Loop BB52_10 Depth=2
                                        ;       Parent Loop BB52_19 Depth=3
                                        ;         Parent Loop BB52_23 Depth=4
                                        ; =>        This Inner Loop Header: Depth=5
	s_delay_alu instid0(VALU_DEP_3) | instskip(NEXT) | instid1(VALU_DEP_1)
	v_dual_add_nc_u32 v0, s46, v13 :: v_dual_add_nc_u32 v13, s15, v13
	v_lshl_add_u64 v[14:15], v[0:1], 3, v[2:3]
	s_delay_alu instid0(VALU_DEP_2)
	v_cmp_le_u32_e64 s2, s48, v13
	global_load_b64 v[14:15], v[14:15], off
	s_or_b32 s57, s2, s57
	s_wait_loadcnt 0x0
	ds_store_b64 v12, v[14:15]
	v_add_nc_u32_e32 v12, s43, v12
	s_wait_xcnt 0x0
	s_and_not1_b32 exec_lo, exec_lo, s57
	s_cbranch_execnz .LBB52_25
	s_branch .LBB52_22
.LBB52_26:                              ;   in Loop: Header=BB52_19 Depth=3
	s_or_b32 exec_lo, exec_lo, s54
	s_wait_dscnt 0x0
	s_barrier_signal -1
	s_barrier_wait -1
	s_and_saveexec_b32 s2, vcc_lo
	s_cbranch_execz .LBB52_17
; %bb.27:                               ;   in Loop: Header=BB52_19 Depth=3
	v_dual_mov_b32 v12, v11 :: v_dual_mov_b32 v13, v7
	s_mov_b32 s54, 0
	s_branch .LBB52_29
.LBB52_28:                              ;   in Loop: Header=BB52_29 Depth=4
	s_or_b32 exec_lo, exec_lo, s55
	v_dual_add_nc_u32 v13, s29, v13 :: v_dual_add_nc_u32 v12, s42, v12
	s_delay_alu instid0(VALU_DEP_1) | instskip(SKIP_1) | instid1(SALU_CYCLE_1)
	v_cmp_le_u32_e32 vcc_lo, s52, v13
	s_or_b32 s54, vcc_lo, s54
	s_and_not1_b32 exec_lo, exec_lo, s54
	s_cbranch_execz .LBB52_17
.LBB52_29:                              ;   Parent Loop BB52_6 Depth=1
                                        ;     Parent Loop BB52_10 Depth=2
                                        ;       Parent Loop BB52_19 Depth=3
                                        ; =>      This Loop Header: Depth=4
                                        ;           Child Loop BB52_32 Depth 5
                                        ;             Child Loop BB52_34 Depth 6
	s_and_saveexec_b32 s55, s1
	s_cbranch_execz .LBB52_28
; %bb.30:                               ;   in Loop: Header=BB52_29 Depth=4
	v_dual_add_nc_u32 v0, s53, v13 :: v_dual_mov_b32 v14, v6
	s_mov_b32 s56, 0
	s_delay_alu instid0(VALU_DEP_1) | instskip(NEXT) | instid1(VALU_DEP_1)
	v_mul_u64_e32 v[2:3], s[20:21], v[0:1]
	v_lshl_add_u64 v[2:3], v[2:3], 3, s[6:7]
	s_branch .LBB52_32
.LBB52_31:                              ;   in Loop: Header=BB52_32 Depth=5
	v_dual_add_nc_u32 v0, s50, v14 :: v_dual_add_nc_u32 v14, s15, v14
	s_delay_alu instid0(VALU_DEP_1) | instskip(NEXT) | instid1(VALU_DEP_2)
	v_lshl_add_u64 v[16:17], v[0:1], 3, v[2:3]
	v_cmp_le_u32_e32 vcc_lo, s48, v14
	global_store_b64 v[16:17], v[4:5], off
	s_or_b32 s56, vcc_lo, s56
	s_wait_xcnt 0x0
	s_and_not1_b32 exec_lo, exec_lo, s56
	s_cbranch_execz .LBB52_28
.LBB52_32:                              ;   Parent Loop BB52_6 Depth=1
                                        ;     Parent Loop BB52_10 Depth=2
                                        ;       Parent Loop BB52_19 Depth=3
                                        ;         Parent Loop BB52_29 Depth=4
                                        ; =>        This Loop Header: Depth=5
                                        ;             Child Loop BB52_34 Depth 6
	v_mov_b64_e32 v[4:5], 0
	s_and_not1_b32 vcc_lo, exec_lo, s49
	s_cbranch_vccnz .LBB52_31
; %bb.33:                               ;   in Loop: Header=BB52_32 Depth=5
	v_dual_mov_b32 v0, v14 :: v_dual_mov_b32 v15, v12
	s_mov_b32 s57, s48
.LBB52_34:                              ;   Parent Loop BB52_6 Depth=1
                                        ;     Parent Loop BB52_10 Depth=2
                                        ;       Parent Loop BB52_19 Depth=3
                                        ;         Parent Loop BB52_29 Depth=4
                                        ;           Parent Loop BB52_32 Depth=5
                                        ; =>          This Inner Loop Header: Depth=6
	flat_load_b64 v[16:17], v0, s[22:23] scale_offset
	ds_load_b64 v[18:19], v15
	s_wait_xcnt 0x0
	v_dual_add_nc_u32 v15, 8, v15 :: v_dual_add_nc_u32 v0, s25, v0
	s_add_co_i32 s57, s57, -1
	s_delay_alu instid0(SALU_CYCLE_1)
	s_cmp_eq_u32 s57, 0
	s_wait_loadcnt_dscnt 0x0
	v_fmac_f64_e32 v[4:5], v[16:17], v[18:19]
	s_cbranch_scc0 .LBB52_34
	s_branch .LBB52_31
.LBB52_35:
	s_endpgm
	.section	.rodata,"a",@progbits
	.p2align	6, 0x0
	.amdhsa_kernel _ZN9rocsolver6v33100L17syevj_diag_rotateILb1EddPdEEvbiiT2_iilPT0_Pii
		.amdhsa_group_segment_fixed_size 0
		.amdhsa_private_segment_fixed_size 64
		.amdhsa_kernarg_size 320
		.amdhsa_user_sgpr_count 2
		.amdhsa_user_sgpr_dispatch_ptr 0
		.amdhsa_user_sgpr_queue_ptr 0
		.amdhsa_user_sgpr_kernarg_segment_ptr 1
		.amdhsa_user_sgpr_dispatch_id 0
		.amdhsa_user_sgpr_kernarg_preload_length 0
		.amdhsa_user_sgpr_kernarg_preload_offset 0
		.amdhsa_user_sgpr_private_segment_size 0
		.amdhsa_wavefront_size32 1
		.amdhsa_uses_dynamic_stack 0
		.amdhsa_enable_private_segment 1
		.amdhsa_system_sgpr_workgroup_id_x 1
		.amdhsa_system_sgpr_workgroup_id_y 1
		.amdhsa_system_sgpr_workgroup_id_z 1
		.amdhsa_system_sgpr_workgroup_info 0
		.amdhsa_system_vgpr_workitem_id 1
		.amdhsa_next_free_vgpr 49
		.amdhsa_next_free_sgpr 58
		.amdhsa_named_barrier_count 0
		.amdhsa_reserve_vcc 1
		.amdhsa_float_round_mode_32 0
		.amdhsa_float_round_mode_16_64 0
		.amdhsa_float_denorm_mode_32 3
		.amdhsa_float_denorm_mode_16_64 3
		.amdhsa_fp16_overflow 0
		.amdhsa_memory_ordered 1
		.amdhsa_forward_progress 1
		.amdhsa_inst_pref_size 12
		.amdhsa_round_robin_scheduling 0
		.amdhsa_exception_fp_ieee_invalid_op 0
		.amdhsa_exception_fp_denorm_src 0
		.amdhsa_exception_fp_ieee_div_zero 0
		.amdhsa_exception_fp_ieee_overflow 0
		.amdhsa_exception_fp_ieee_underflow 0
		.amdhsa_exception_fp_ieee_inexact 0
		.amdhsa_exception_int_div_zero 0
	.end_amdhsa_kernel
	.section	.text._ZN9rocsolver6v33100L17syevj_diag_rotateILb1EddPdEEvbiiT2_iilPT0_Pii,"axG",@progbits,_ZN9rocsolver6v33100L17syevj_diag_rotateILb1EddPdEEvbiiT2_iilPT0_Pii,comdat
.Lfunc_end52:
	.size	_ZN9rocsolver6v33100L17syevj_diag_rotateILb1EddPdEEvbiiT2_iilPT0_Pii, .Lfunc_end52-_ZN9rocsolver6v33100L17syevj_diag_rotateILb1EddPdEEvbiiT2_iilPT0_Pii
                                        ; -- End function
	.set _ZN9rocsolver6v33100L17syevj_diag_rotateILb1EddPdEEvbiiT2_iilPT0_Pii.num_vgpr, max(42, .L__assert_fail.num_vgpr)
	.set _ZN9rocsolver6v33100L17syevj_diag_rotateILb1EddPdEEvbiiT2_iilPT0_Pii.num_agpr, max(0, .L__assert_fail.num_agpr)
	.set _ZN9rocsolver6v33100L17syevj_diag_rotateILb1EddPdEEvbiiT2_iilPT0_Pii.numbered_sgpr, max(58, .L__assert_fail.numbered_sgpr)
	.set _ZN9rocsolver6v33100L17syevj_diag_rotateILb1EddPdEEvbiiT2_iilPT0_Pii.num_named_barrier, max(0, .L__assert_fail.num_named_barrier)
	.set _ZN9rocsolver6v33100L17syevj_diag_rotateILb1EddPdEEvbiiT2_iilPT0_Pii.private_seg_size, 0+max(.L__assert_fail.private_seg_size)
	.set _ZN9rocsolver6v33100L17syevj_diag_rotateILb1EddPdEEvbiiT2_iilPT0_Pii.uses_vcc, or(1, .L__assert_fail.uses_vcc)
	.set _ZN9rocsolver6v33100L17syevj_diag_rotateILb1EddPdEEvbiiT2_iilPT0_Pii.uses_flat_scratch, or(0, .L__assert_fail.uses_flat_scratch)
	.set _ZN9rocsolver6v33100L17syevj_diag_rotateILb1EddPdEEvbiiT2_iilPT0_Pii.has_dyn_sized_stack, or(0, .L__assert_fail.has_dyn_sized_stack)
	.set _ZN9rocsolver6v33100L17syevj_diag_rotateILb1EddPdEEvbiiT2_iilPT0_Pii.has_recursion, or(0, .L__assert_fail.has_recursion)
	.set _ZN9rocsolver6v33100L17syevj_diag_rotateILb1EddPdEEvbiiT2_iilPT0_Pii.has_indirect_call, or(0, .L__assert_fail.has_indirect_call)
	.section	.AMDGPU.csdata,"",@progbits
; Kernel info:
; codeLenInByte = 1476
; TotalNumSgprs: 60
; NumVgprs: 49
; ScratchSize: 64
; MemoryBound: 0
; FloatMode: 240
; IeeeMode: 1
; LDSByteSize: 0 bytes/workgroup (compile time only)
; SGPRBlocks: 0
; VGPRBlocks: 3
; NumSGPRsForWavesPerEU: 60
; NumVGPRsForWavesPerEU: 49
; NamedBarCnt: 0
; Occupancy: 16
; WaveLimiterHint : 1
; COMPUTE_PGM_RSRC2:SCRATCH_EN: 1
; COMPUTE_PGM_RSRC2:USER_SGPR: 2
; COMPUTE_PGM_RSRC2:TRAP_HANDLER: 0
; COMPUTE_PGM_RSRC2:TGID_X_EN: 1
; COMPUTE_PGM_RSRC2:TGID_Y_EN: 1
; COMPUTE_PGM_RSRC2:TGID_Z_EN: 1
; COMPUTE_PGM_RSRC2:TIDIG_COMP_CNT: 1
	.section	.text._ZN9rocsolver6v33100L21syevj_offd_kernel_orgIddPdEEviiT1_iilT0_PT_PiS7_S7_,"axG",@progbits,_ZN9rocsolver6v33100L21syevj_offd_kernel_orgIddPdEEviiT1_iilT0_PT_PiS7_S7_,comdat
	.globl	_ZN9rocsolver6v33100L21syevj_offd_kernel_orgIddPdEEviiT1_iilT0_PT_PiS7_S7_ ; -- Begin function _ZN9rocsolver6v33100L21syevj_offd_kernel_orgIddPdEEviiT1_iilT0_PT_PiS7_S7_
	.p2align	8
	.type	_ZN9rocsolver6v33100L21syevj_offd_kernel_orgIddPdEEviiT1_iilT0_PT_PiS7_S7_,@function
_ZN9rocsolver6v33100L21syevj_offd_kernel_orgIddPdEEviiT1_iilT0_PT_PiS7_S7_: ; @_ZN9rocsolver6v33100L21syevj_offd_kernel_orgIddPdEEviiT1_iilT0_PT_PiS7_S7_
; %bb.0:
	s_load_b128 s[12:15], s[0:1], 0x38
	s_bfe_u32 s2, ttmp6, 0x40014
	s_lshr_b32 s3, ttmp7, 16
	s_add_co_i32 s2, s2, 1
	s_bfe_u32 s4, ttmp6, 0x40008
	s_mul_i32 s2, s3, s2
	s_getreg_b32 s16, hwreg(HW_REG_IB_STS2, 6, 4)
	s_add_co_i32 s4, s4, s2
	s_cmp_eq_u32 s16, 0
	s_cselect_b32 s2, s3, s4
	s_wait_kmcnt 0x0
	s_load_b32 s3, s[14:15], s2 offset:0x4 scale_offset
	s_wait_kmcnt 0x0
	s_cmp_lg_u32 s3, 0
	s_mov_b32 s3, 0
	s_cbranch_scc1 .LBB53_39
; %bb.1:
	s_load_b256 s[4:11], s[0:1], 0x18
	s_bfe_u32 s14, ttmp6, 0x4000c
	s_and_b32 s15, ttmp6, 15
	s_add_co_i32 s14, s14, 1
	s_delay_alu instid0(SALU_CYCLE_1) | instskip(NEXT) | instid1(SALU_CYCLE_1)
	s_mul_i32 s14, ttmp9, s14
	s_add_co_i32 s15, s15, s14
	s_cmp_eq_u32 s16, 0
	s_cselect_b32 s17, ttmp9, s15
	s_wait_kmcnt 0x0
	s_load_b32 s18, s[10:11], s17 offset:0x0 scale_offset
	s_load_b32 s19, s[12:13], s17 offset:0x0 scale_offset
	s_load_b64 s[14:15], s[0:1], 0x0
	s_wait_kmcnt 0x0
	s_max_i32 s16, s18, s19
	s_delay_alu instid0(SALU_CYCLE_1)
	s_cmp_ge_i32 s16, s14
	s_cbranch_scc1 .LBB53_39
; %bb.2:
	s_load_b32 s10, s[0:1], 0x54
	v_bfe_u32 v8, v0, 10, 10
	s_min_i32 s20, s18, s19
	s_wait_kmcnt 0x0
	s_and_b32 s14, s10, 0xffff
	s_mov_b32 s10, exec_lo
	s_mul_i32 s20, s20, s14
	s_delay_alu instid0(SALU_CYCLE_1) | instskip(NEXT) | instid1(VALU_DEP_1)
	v_add_nc_u32_e32 v36, s20, v8
	v_cmpx_gt_i32_e64 s15, v36
	s_cbranch_execz .LBB53_39
; %bb.3:
	s_cmp_eq_u64 s[8:9], 0
	s_mov_b64 s[12:13], 0
	s_cbranch_scc1 .LBB53_5
; %bb.4:
	s_add_nc_u64 s[10:11], s[0:1], 0x48
	s_load_b32 s10, s[10:11], 0x0
	s_wait_kmcnt 0x0
	s_mul_i32 s10, s10, s2
	s_delay_alu instid0(SALU_CYCLE_1) | instskip(NEXT) | instid1(SALU_CYCLE_1)
	s_add_co_i32 s10, s10, s17
	s_mul_i32 s10, s10, s14
	s_delay_alu instid0(SALU_CYCLE_1) | instskip(NEXT) | instid1(SALU_CYCLE_1)
	s_mul_i32 s10, s10, s14
	s_lshl_b32 s10, s10, 2
	s_delay_alu instid0(SALU_CYCLE_1) | instskip(NEXT) | instid1(SALU_CYCLE_1)
	s_ashr_i32 s11, s10, 31
	s_lshl_b64 s[10:11], s[10:11], 3
	s_delay_alu instid0(SALU_CYCLE_1)
	s_add_nc_u64 s[12:13], s[8:9], s[10:11]
.LBB53_5:
	v_and_b32_e32 v0, 0x3ff, v0
	v_add_nc_u32_e32 v11, s14, v8
	s_lshl_b32 s19, s14, 1
	s_cmp_lg_u64 s[12:13], 0
	s_cselect_b32 s18, -1, 0
	v_mad_u32_u24 v12, s19, v8, v0
	v_mad_u32_u24 v10, v11, s19, v0
	s_cmp_eq_u64 s[12:13], 0
	s_cbranch_scc1 .LBB53_7
; %bb.6:
	v_cmp_eq_u32_e32 vcc_lo, v0, v8
	v_dual_mov_b32 v2, 0 :: v_dual_add_nc_u32 v1, s14, v0
	v_mov_b64_e32 v[4:5], 0
	v_cndmask_b32_e64 v3, 0, 0x3ff00000, vcc_lo
	s_delay_alu instid0(VALU_DEP_3)
	v_mad_u32_u24 v6, s19, v8, v1
	v_mad_u32_u24 v1, v11, s19, v1
	s_clause 0x3
	global_store_b64 v12, v[2:3], s[12:13] scale_offset
	global_store_b64 v10, v[4:5], s[12:13] scale_offset
	;; [unrolled: 1-line block ×4, first 2 shown]
.LBB53_7:
	s_cmp_eq_u32 s14, 0
	s_mov_b32 s17, 0
	s_cbranch_scc1 .LBB53_39
; %bb.8:
	s_wait_xcnt 0x0
	v_div_scale_f64 v[2:3], null, s[6:7], s[6:7], 0x100000
	s_mov_b64 s[8:9], 0x10000000000000
	s_lshl_b32 s21, s14, 3
	v_div_scale_f64 v[14:15], vcc_lo, s[8:9], s[6:7], s[8:9]
	s_load_b128 s[8:11], s[0:1], 0x8
	s_wait_xcnt 0x0
	s_cvt_f32_u32 s0, s14
	v_mul_u32_u24_e32 v43, s19, v8
	v_mul_u32_u24_e32 v44, s19, v11
	v_mov_b64_e32 v[16:17], 0
	v_rcp_iflag_f32_e32 v1, s0
	s_mul_u64 s[0:1], s[4:5], s[2:3]
	s_mul_i32 s5, s16, s14
	s_sub_co_i32 s4, 0, s14
	s_lshl_b64 s[0:1], s[0:1], 3
                                        ; implicit-def: $vgpr22_vgpr23
                                        ; implicit-def: $vgpr28_vgpr29
                                        ; implicit-def: $vgpr24_vgpr25
	v_dual_mov_b32 v13, 0 :: v_dual_add_nc_u32 v39, s5, v8
	s_delay_alu instid0(TRANS32_DEP_1) | instskip(SKIP_1) | instid1(VALU_DEP_3)
	v_readfirstlane_b32 s2, v1
	v_dual_add_nc_u32 v37, s20, v0 :: v_dual_lshlrev_b32 v9, 3, v0
	v_mov_b32_e32 v1, v13
	s_mul_f32 s2, s2, 0x4f7ffffe
	s_delay_alu instid0(VALU_DEP_2)
	v_add_nc_u32_e32 v41, 0, v9
	s_wait_kmcnt 0x0
	v_mul_lo_u32 v38, v37, s11
	s_cvt_u32_f32 s16, s2
	v_mul_lo_u32 v40, v39, s11
	s_ashr_i32 s3, s10, 31
	s_mov_b32 s2, s10
	s_mul_i32 s4, s4, s16
	v_rcp_f64_e32 v[4:5], v[2:3]
	s_mul_hi_u32 s4, s16, s4
	s_add_nc_u64 s[0:1], s[8:9], s[0:1]
	s_add_co_i32 s16, s16, s4
	s_lshl_b64 s[2:3], s[2:3], 3
	v_add3_u32 v42, 0, s21, v9
	s_add_nc_u64 s[8:9], s[0:1], s[2:3]
	v_cmp_eq_u32_e64 s0, 0, v8
	v_lshl_add_u64 v[8:9], v[12:13], 3, s[12:13]
	v_dual_mov_b32 v11, v13 :: v_dual_add_nc_u32 v12, v38, v36
	v_add_nc_u32_e32 v20, v40, v37
	v_cmp_gt_i32_e64 s1, s15, v37
	v_cmp_gt_i32_e64 s2, s15, v39
	s_delay_alu instid0(VALU_DEP_4) | instskip(NEXT) | instid1(VALU_DEP_4)
	v_lshl_add_u64 v[10:11], v[10:11], 3, s[12:13]
	v_ashrrev_i32_e32 v21, 31, v20
	s_delay_alu instid0(VALU_DEP_1) | instskip(NEXT) | instid1(TRANS32_DEP_1)
	v_lshl_add_u64 v[20:21], v[20:21], 3, s[8:9]
	v_fma_f64 v[6:7], -v[2:3], v[4:5], 1.0
	s_delay_alu instid0(VALU_DEP_1) | instskip(NEXT) | instid1(VALU_DEP_1)
	v_fmac_f64_e32 v[4:5], v[4:5], v[6:7]
	v_fma_f64 v[6:7], -v[2:3], v[4:5], 1.0
	s_delay_alu instid0(VALU_DEP_1) | instskip(NEXT) | instid1(VALU_DEP_1)
	v_fmac_f64_e32 v[4:5], v[4:5], v[6:7]
	v_mul_f64_e32 v[6:7], v[14:15], v[4:5]
	s_delay_alu instid0(VALU_DEP_1) | instskip(SKIP_1) | instid1(VALU_DEP_1)
	v_fma_f64 v[2:3], -v[2:3], v[6:7], v[14:15]
	v_dual_add_nc_u32 v14, v38, v39 :: v_dual_ashrrev_i32 v13, 31, v12
	v_ashrrev_i32_e32 v15, 31, v14
	s_delay_alu instid0(VALU_DEP_2) | instskip(NEXT) | instid1(VALU_DEP_2)
	v_lshl_add_u64 v[12:13], v[12:13], 3, s[8:9]
	v_lshl_add_u64 v[14:15], v[14:15], 3, s[8:9]
	v_div_fmas_f64 v[2:3], v[2:3], v[4:5], v[6:7]
	v_mul_u64_e32 v[4:5], s[16:17], v[0:1]
	v_mul_lo_u32 v1, v36, s11
	v_add_nc_u32_e32 v6, v38, v37
	s_delay_alu instid0(VALU_DEP_1) | instskip(NEXT) | instid1(VALU_DEP_1)
	v_dual_ashrrev_i32 v7, 31, v6 :: v_dual_add_nc_u32 v18, v1, v37
	v_lshl_add_u64 v[6:7], v[6:7], 3, s[8:9]
	s_delay_alu instid0(VALU_DEP_2) | instskip(NEXT) | instid1(VALU_DEP_1)
	v_ashrrev_i32_e32 v19, 31, v18
	v_lshl_add_u64 v[18:19], v[18:19], 3, s[8:9]
	v_div_fixup_f64 v[2:3], v[2:3], s[6:7], 0x100000
	s_and_b32 s6, s0, s1
	s_mov_b32 s7, s14
	s_branch .LBB53_10
.LBB53_9:                               ;   in Loop: Header=BB53_10 Depth=1
	s_wait_xcnt 0x0
	s_or_b32 exec_lo, exec_lo, s3
	v_add_nc_u64_e32 v[4:5], s[16:17], v[4:5]
	v_add_nc_u32_e32 v0, 1, v0
	s_add_co_i32 s7, s7, -1
	s_delay_alu instid0(SALU_CYCLE_1)
	s_cmp_lg_u32 s7, 0
	s_cbranch_scc0 .LBB53_39
.LBB53_10:                              ; =>This Inner Loop Header: Depth=1
	s_delay_alu instid0(VALU_DEP_2) | instskip(SKIP_1) | instid1(VALU_DEP_1)
	v_mul_lo_u32 v26, s14, v5
	v_not_b32_e32 v27, v5
	v_mad_u32 v27, s14, v27, v0
	s_delay_alu instid0(VALU_DEP_3) | instskip(NEXT) | instid1(VALU_DEP_1)
	v_sub_nc_u32_e32 v26, v0, v26
	v_cmp_le_u32_e32 vcc_lo, s14, v26
	s_delay_alu instid0(VALU_DEP_3) | instskip(NEXT) | instid1(VALU_DEP_1)
	v_cndmask_b32_e32 v26, v26, v27, vcc_lo
	v_subrev_nc_u32_e32 v27, s14, v26
	v_cmp_le_u32_e32 vcc_lo, s14, v26
	s_delay_alu instid0(VALU_DEP_2) | instskip(NEXT) | instid1(VALU_DEP_1)
	v_cndmask_b32_e32 v47, v26, v27, vcc_lo
	v_add_nc_u32_e32 v45, s5, v47
	s_delay_alu instid0(VALU_DEP_1) | instskip(SKIP_2) | instid1(SALU_CYCLE_1)
	v_mul_lo_u32 v46, v45, s11
	v_cmp_gt_i32_e64 s3, s15, v45
	s_and_b32 s4, s6, s3
	s_and_saveexec_b32 s10, s4
	s_cbranch_execz .LBB53_26
; %bb.11:                               ;   in Loop: Header=BB53_10 Depth=1
	v_add_nc_u32_e32 v24, v46, v37
	v_mov_b64_e32 v[28:29], 0
	global_load_b64 v[26:27], v24, s[8:9] scale_offset
	s_wait_loadcnt 0x0
	v_mul_f64_e32 v[24:25], v[26:27], v[26:27]
	s_delay_alu instid0(VALU_DEP_1)
	v_cmp_nlt_f64_e32 vcc_lo, v[24:25], v[2:3]
	v_mov_b64_e32 v[24:25], 1.0
	s_and_saveexec_b32 s19, vcc_lo
	s_cbranch_execz .LBB53_25
; %bb.12:                               ;   in Loop: Header=BB53_10 Depth=1
	v_add_nc_u32_e32 v28, v46, v45
	s_clause 0x1
	global_load_b64 v[24:25], v28, s[8:9] scale_offset
	global_load_b64 v[30:31], v[6:7], off
	s_wait_xcnt 0x1
	v_add_f64_e64 v[28:29], |v[26:27]|, |v[26:27]|
	s_delay_alu instid0(VALU_DEP_1) | instskip(SKIP_2) | instid1(VALU_DEP_1)
	v_cmp_class_f64_e64 s20, v[28:29], 0x204
	s_wait_loadcnt 0x0
	v_add_f64_e64 v[30:31], v[24:25], -v[30:31]
	v_max_num_f64_e64 v[24:25], |v[30:31]|, |v[28:29]|
	v_cmp_ngt_f64_e64 s4, 0, v[30:31]
	v_cmp_class_f64_e64 s21, v[30:31], 0x204
	s_delay_alu instid0(VALU_DEP_3) | instskip(NEXT) | instid1(VALU_DEP_1)
	v_frexp_exp_i32_f64_e32 v32, v[24:25]
	v_sub_nc_u32_e32 v33, 0, v32
	s_delay_alu instid0(VALU_DEP_1) | instskip(SKIP_1) | instid1(VALU_DEP_2)
	v_ldexp_f64 v[24:25], |v[28:29]|, v33
	v_ldexp_f64 v[34:35], |v[30:31]|, v33
	v_mul_f64_e32 v[24:25], v[24:25], v[24:25]
	s_delay_alu instid0(VALU_DEP_1) | instskip(NEXT) | instid1(VALU_DEP_1)
	v_fmac_f64_e32 v[24:25], v[34:35], v[34:35]
	v_rsq_f64_e32 v[34:35], v[24:25]
	v_cmp_eq_f64_e32 vcc_lo, 0, v[24:25]
	s_delay_alu instid0(TRANS32_DEP_1) | instskip(SKIP_1) | instid1(VALU_DEP_1)
	v_mul_f64_e32 v[48:49], v[24:25], v[34:35]
	v_mul_f64_e32 v[34:35], 0.5, v[34:35]
	v_fma_f64 v[50:51], -v[34:35], v[48:49], 0.5
	s_delay_alu instid0(VALU_DEP_1) | instskip(SKIP_1) | instid1(VALU_DEP_2)
	v_fmac_f64_e32 v[48:49], v[48:49], v[50:51]
	v_fmac_f64_e32 v[34:35], v[34:35], v[50:51]
	v_fma_f64 v[50:51], -v[48:49], v[48:49], v[24:25]
	s_delay_alu instid0(VALU_DEP_1) | instskip(NEXT) | instid1(VALU_DEP_1)
	v_fmac_f64_e32 v[48:49], v[50:51], v[34:35]
                                        ; implicit-def: $vgpr34_vgpr35
	v_dual_cndmask_b32 v25, v49, v25 :: v_dual_cndmask_b32 v24, v48, v24
	s_wait_xcnt 0x0
	s_and_saveexec_b32 s22, s4
	s_delay_alu instid0(SALU_CYCLE_1)
	s_xor_b32 s4, exec_lo, s22
	s_cbranch_execz .LBB53_14
; %bb.13:                               ;   in Loop: Header=BB53_10 Depth=1
	v_ldexp_f64 v[24:25], v[24:25], v32
	v_cmp_o_f64_e32 vcc_lo, v[30:31], v[28:29]
	s_or_b32 s22, s20, s21
                                        ; implicit-def: $vgpr32
	s_delay_alu instid0(VALU_DEP_2) | instskip(NEXT) | instid1(VALU_DEP_3)
	v_cndmask_b32_e32 v24, 0, v24, vcc_lo
	v_cndmask_b32_e32 v25, 0x7ff80000, v25, vcc_lo
	s_delay_alu instid0(VALU_DEP_2) | instskip(NEXT) | instid1(VALU_DEP_2)
	v_cndmask_b32_e64 v34, v24, 0, s22
	v_cndmask_b32_e64 v35, v25, 0x7ff00000, s22
                                        ; implicit-def: $vgpr24_vgpr25
.LBB53_14:                              ;   in Loop: Header=BB53_10 Depth=1
	s_and_not1_saveexec_b32 s4, s4
	s_cbranch_execz .LBB53_16
; %bb.15:                               ;   in Loop: Header=BB53_10 Depth=1
	v_ldexp_f64 v[24:25], -v[24:25], v32
	v_cmp_o_f64_e32 vcc_lo, v[28:29], v[28:29]
	s_or_b32 s20, s20, s21
	s_delay_alu instid0(VALU_DEP_2) | instskip(NEXT) | instid1(VALU_DEP_3)
	v_cndmask_b32_e32 v24, 0, v24, vcc_lo
	v_cndmask_b32_e32 v25, 0xfff80000, v25, vcc_lo
	s_delay_alu instid0(VALU_DEP_2) | instskip(NEXT) | instid1(VALU_DEP_2)
	v_cndmask_b32_e64 v34, v24, 0, s20
	v_cndmask_b32_e64 v35, v25, 0xfff00000, s20
.LBB53_16:                              ;   in Loop: Header=BB53_10 Depth=1
	s_or_b32 exec_lo, exec_lo, s4
	v_mov_b64_e32 v[32:33], 0
	v_mov_b64_e32 v[24:25], 1.0
	s_mov_b32 s4, exec_lo
	v_cmpx_neq_f64_e32 0, v[28:29]
	s_cbranch_execz .LBB53_24
; %bb.17:                               ;   in Loop: Header=BB53_10 Depth=1
	v_add_f64_e32 v[30:31], v[30:31], v[34:35]
	v_mov_b64_e32 v[24:25], 0
	v_mov_b64_e32 v[32:33], 1.0
	s_mov_b32 s20, exec_lo
	s_delay_alu instid0(VALU_DEP_3)
	v_cmpx_neq_f64_e32 0, v[30:31]
	s_cbranch_execz .LBB53_23
; %bb.18:                               ;   in Loop: Header=BB53_10 Depth=1
	v_cmp_ngt_f64_e64 s21, |v[28:29]|, |v[30:31]|
                                        ; implicit-def: $vgpr32_vgpr33
                                        ; implicit-def: $vgpr24_vgpr25
	s_and_saveexec_b32 s22, s21
	s_delay_alu instid0(SALU_CYCLE_1)
	s_xor_b32 s21, exec_lo, s22
	s_cbranch_execz .LBB53_20
; %bb.19:                               ;   in Loop: Header=BB53_10 Depth=1
	v_div_scale_f64 v[24:25], null, v[30:31], v[30:31], -v[28:29]
	v_div_scale_f64 v[48:49], vcc_lo, -v[28:29], v[30:31], -v[28:29]
	s_delay_alu instid0(VALU_DEP_2) | instskip(SKIP_1) | instid1(TRANS32_DEP_1)
	v_rcp_f64_e32 v[32:33], v[24:25]
	v_nop
	v_fma_f64 v[34:35], -v[24:25], v[32:33], 1.0
	s_delay_alu instid0(VALU_DEP_1) | instskip(NEXT) | instid1(VALU_DEP_1)
	v_fmac_f64_e32 v[32:33], v[32:33], v[34:35]
	v_fma_f64 v[34:35], -v[24:25], v[32:33], 1.0
	s_delay_alu instid0(VALU_DEP_1) | instskip(NEXT) | instid1(VALU_DEP_1)
	v_fmac_f64_e32 v[32:33], v[32:33], v[34:35]
	v_mul_f64_e32 v[34:35], v[48:49], v[32:33]
	s_delay_alu instid0(VALU_DEP_1) | instskip(NEXT) | instid1(VALU_DEP_1)
	v_fma_f64 v[24:25], -v[24:25], v[34:35], v[48:49]
	v_div_fmas_f64 v[24:25], v[24:25], v[32:33], v[34:35]
	s_delay_alu instid0(VALU_DEP_1) | instskip(NEXT) | instid1(VALU_DEP_1)
	v_div_fixup_f64 v[28:29], v[24:25], v[30:31], -v[28:29]
	v_fma_f64 v[24:25], v[28:29], v[28:29], 1.0
	s_delay_alu instid0(VALU_DEP_1) | instskip(SKIP_1) | instid1(VALU_DEP_1)
	v_cmp_gt_f64_e32 vcc_lo, 0x10000000, v[24:25]
	v_cndmask_b32_e64 v30, 0, 0x100, vcc_lo
	v_ldexp_f64 v[24:25], v[24:25], v30
	s_delay_alu instid0(VALU_DEP_1) | instskip(SKIP_1) | instid1(TRANS32_DEP_1)
	v_rsq_f64_e32 v[30:31], v[24:25]
	v_nop
	v_mul_f64_e32 v[32:33], v[24:25], v[30:31]
	v_mul_f64_e32 v[30:31], 0.5, v[30:31]
	s_delay_alu instid0(VALU_DEP_1) | instskip(NEXT) | instid1(VALU_DEP_1)
	v_fma_f64 v[34:35], -v[30:31], v[32:33], 0.5
	v_fmac_f64_e32 v[32:33], v[32:33], v[34:35]
	v_fmac_f64_e32 v[30:31], v[30:31], v[34:35]
	s_delay_alu instid0(VALU_DEP_2) | instskip(NEXT) | instid1(VALU_DEP_1)
	v_fma_f64 v[34:35], -v[32:33], v[32:33], v[24:25]
	v_fmac_f64_e32 v[32:33], v[34:35], v[30:31]
	s_delay_alu instid0(VALU_DEP_1) | instskip(NEXT) | instid1(VALU_DEP_1)
	v_fma_f64 v[34:35], -v[32:33], v[32:33], v[24:25]
	v_fmac_f64_e32 v[32:33], v[34:35], v[30:31]
	v_cndmask_b32_e64 v30, 0, 0xffffff80, vcc_lo
	v_cmp_class_f64_e64 vcc_lo, v[24:25], 0x260
	s_delay_alu instid0(VALU_DEP_2) | instskip(NEXT) | instid1(VALU_DEP_1)
	v_ldexp_f64 v[30:31], v[32:33], v30
	v_dual_cndmask_b32 v25, v31, v25 :: v_dual_cndmask_b32 v24, v30, v24
	s_delay_alu instid0(VALU_DEP_1) | instskip(NEXT) | instid1(VALU_DEP_1)
	v_div_scale_f64 v[30:31], null, v[24:25], v[24:25], 1.0
	v_rcp_f64_e32 v[32:33], v[30:31]
	v_nop
	s_delay_alu instid0(TRANS32_DEP_1) | instskip(NEXT) | instid1(VALU_DEP_1)
	v_fma_f64 v[34:35], -v[30:31], v[32:33], 1.0
	v_fmac_f64_e32 v[32:33], v[32:33], v[34:35]
	s_delay_alu instid0(VALU_DEP_1) | instskip(NEXT) | instid1(VALU_DEP_1)
	v_fma_f64 v[34:35], -v[30:31], v[32:33], 1.0
	v_fmac_f64_e32 v[32:33], v[32:33], v[34:35]
	v_div_scale_f64 v[34:35], vcc_lo, 1.0, v[24:25], 1.0
	s_delay_alu instid0(VALU_DEP_1) | instskip(NEXT) | instid1(VALU_DEP_1)
	v_mul_f64_e32 v[48:49], v[34:35], v[32:33]
	v_fma_f64 v[30:31], -v[30:31], v[48:49], v[34:35]
	s_delay_alu instid0(VALU_DEP_1) | instskip(NEXT) | instid1(VALU_DEP_1)
	v_div_fmas_f64 v[30:31], v[30:31], v[32:33], v[48:49]
	v_div_fixup_f64 v[24:25], v[30:31], v[24:25], 1.0
                                        ; implicit-def: $vgpr30_vgpr31
	s_delay_alu instid0(VALU_DEP_1)
	v_mul_f64_e32 v[32:33], v[28:29], v[24:25]
                                        ; implicit-def: $vgpr28_vgpr29
.LBB53_20:                              ;   in Loop: Header=BB53_10 Depth=1
	s_and_not1_saveexec_b32 s21, s21
	s_cbranch_execz .LBB53_22
; %bb.21:                               ;   in Loop: Header=BB53_10 Depth=1
	v_div_scale_f64 v[24:25], null, v[28:29], v[28:29], -v[30:31]
	v_div_scale_f64 v[48:49], vcc_lo, -v[30:31], v[28:29], -v[30:31]
	s_delay_alu instid0(VALU_DEP_2) | instskip(SKIP_1) | instid1(TRANS32_DEP_1)
	v_rcp_f64_e32 v[32:33], v[24:25]
	v_nop
	v_fma_f64 v[34:35], -v[24:25], v[32:33], 1.0
	s_delay_alu instid0(VALU_DEP_1) | instskip(NEXT) | instid1(VALU_DEP_1)
	v_fmac_f64_e32 v[32:33], v[32:33], v[34:35]
	v_fma_f64 v[34:35], -v[24:25], v[32:33], 1.0
	s_delay_alu instid0(VALU_DEP_1) | instskip(NEXT) | instid1(VALU_DEP_1)
	v_fmac_f64_e32 v[32:33], v[32:33], v[34:35]
	v_mul_f64_e32 v[34:35], v[48:49], v[32:33]
	s_delay_alu instid0(VALU_DEP_1) | instskip(NEXT) | instid1(VALU_DEP_1)
	v_fma_f64 v[24:25], -v[24:25], v[34:35], v[48:49]
	v_div_fmas_f64 v[24:25], v[24:25], v[32:33], v[34:35]
	s_delay_alu instid0(VALU_DEP_1) | instskip(NEXT) | instid1(VALU_DEP_1)
	v_div_fixup_f64 v[24:25], v[24:25], v[28:29], -v[30:31]
	v_fma_f64 v[28:29], v[24:25], v[24:25], 1.0
	s_delay_alu instid0(VALU_DEP_1) | instskip(SKIP_1) | instid1(VALU_DEP_1)
	v_cmp_gt_f64_e32 vcc_lo, 0x10000000, v[28:29]
	v_cndmask_b32_e64 v30, 0, 0x100, vcc_lo
	v_ldexp_f64 v[28:29], v[28:29], v30
	s_delay_alu instid0(VALU_DEP_1) | instskip(SKIP_1) | instid1(TRANS32_DEP_1)
	v_rsq_f64_e32 v[30:31], v[28:29]
	v_nop
	v_mul_f64_e32 v[32:33], v[28:29], v[30:31]
	v_mul_f64_e32 v[30:31], 0.5, v[30:31]
	s_delay_alu instid0(VALU_DEP_1) | instskip(NEXT) | instid1(VALU_DEP_1)
	v_fma_f64 v[34:35], -v[30:31], v[32:33], 0.5
	v_fmac_f64_e32 v[32:33], v[32:33], v[34:35]
	v_fmac_f64_e32 v[30:31], v[30:31], v[34:35]
	s_delay_alu instid0(VALU_DEP_2) | instskip(NEXT) | instid1(VALU_DEP_1)
	v_fma_f64 v[34:35], -v[32:33], v[32:33], v[28:29]
	v_fmac_f64_e32 v[32:33], v[34:35], v[30:31]
	s_delay_alu instid0(VALU_DEP_1) | instskip(NEXT) | instid1(VALU_DEP_1)
	v_fma_f64 v[34:35], -v[32:33], v[32:33], v[28:29]
	v_fmac_f64_e32 v[32:33], v[34:35], v[30:31]
	v_cndmask_b32_e64 v30, 0, 0xffffff80, vcc_lo
	v_cmp_class_f64_e64 vcc_lo, v[28:29], 0x260
	s_delay_alu instid0(VALU_DEP_2) | instskip(NEXT) | instid1(VALU_DEP_1)
	v_ldexp_f64 v[30:31], v[32:33], v30
	v_dual_cndmask_b32 v29, v31, v29 :: v_dual_cndmask_b32 v28, v30, v28
	s_delay_alu instid0(VALU_DEP_1) | instskip(NEXT) | instid1(VALU_DEP_1)
	v_div_scale_f64 v[30:31], null, v[28:29], v[28:29], 1.0
	v_rcp_f64_e32 v[32:33], v[30:31]
	v_nop
	s_delay_alu instid0(TRANS32_DEP_1) | instskip(NEXT) | instid1(VALU_DEP_1)
	v_fma_f64 v[34:35], -v[30:31], v[32:33], 1.0
	v_fmac_f64_e32 v[32:33], v[32:33], v[34:35]
	s_delay_alu instid0(VALU_DEP_1) | instskip(NEXT) | instid1(VALU_DEP_1)
	v_fma_f64 v[34:35], -v[30:31], v[32:33], 1.0
	v_fmac_f64_e32 v[32:33], v[32:33], v[34:35]
	v_div_scale_f64 v[34:35], vcc_lo, 1.0, v[28:29], 1.0
	s_delay_alu instid0(VALU_DEP_1) | instskip(NEXT) | instid1(VALU_DEP_1)
	v_mul_f64_e32 v[48:49], v[34:35], v[32:33]
	v_fma_f64 v[30:31], -v[30:31], v[48:49], v[34:35]
	s_delay_alu instid0(VALU_DEP_1) | instskip(NEXT) | instid1(VALU_DEP_1)
	v_div_fmas_f64 v[30:31], v[30:31], v[32:33], v[48:49]
	v_div_fixup_f64 v[32:33], v[30:31], v[28:29], 1.0
	s_delay_alu instid0(VALU_DEP_1)
	v_mul_f64_e32 v[24:25], v[24:25], v[32:33]
.LBB53_22:                              ;   in Loop: Header=BB53_10 Depth=1
	s_or_b32 exec_lo, exec_lo, s21
.LBB53_23:                              ;   in Loop: Header=BB53_10 Depth=1
	s_delay_alu instid0(SALU_CYCLE_1)
	s_or_b32 exec_lo, exec_lo, s20
.LBB53_24:                              ;   in Loop: Header=BB53_10 Depth=1
	s_delay_alu instid0(SALU_CYCLE_1) | instskip(NEXT) | instid1(VALU_DEP_1)
	s_or_b32 exec_lo, exec_lo, s4
	v_mul_f64_e32 v[28:29], v[26:27], v[32:33]
	v_and_b32_e32 v31, 0x7fffffff, v27
	v_mov_b32_e32 v30, v26
	s_delay_alu instid0(VALU_DEP_1) | instskip(SKIP_1) | instid1(VALU_DEP_2)
	v_div_scale_f64 v[32:33], null, v[30:31], v[30:31], v[28:29]
	v_div_scale_f64 v[30:31], vcc_lo, v[28:29], v[30:31], v[28:29]
	v_rcp_f64_e32 v[34:35], v[32:33]
	v_nop
	s_delay_alu instid0(TRANS32_DEP_1) | instskip(NEXT) | instid1(VALU_DEP_1)
	v_fma_f64 v[48:49], -v[32:33], v[34:35], 1.0
	v_fmac_f64_e32 v[34:35], v[34:35], v[48:49]
	s_delay_alu instid0(VALU_DEP_1) | instskip(NEXT) | instid1(VALU_DEP_1)
	v_fma_f64 v[48:49], -v[32:33], v[34:35], 1.0
	v_fmac_f64_e32 v[34:35], v[34:35], v[48:49]
	s_delay_alu instid0(VALU_DEP_1) | instskip(NEXT) | instid1(VALU_DEP_1)
	v_mul_f64_e32 v[48:49], v[30:31], v[34:35]
	v_fma_f64 v[30:31], -v[32:33], v[48:49], v[30:31]
	s_delay_alu instid0(VALU_DEP_1) | instskip(NEXT) | instid1(VALU_DEP_1)
	v_div_fmas_f64 v[30:31], v[30:31], v[34:35], v[48:49]
	v_div_fixup_f64 v[28:29], v[30:31], |v[26:27]|, v[28:29]
.LBB53_25:                              ;   in Loop: Header=BB53_10 Depth=1
	s_or_b32 exec_lo, exec_lo, s19
	ds_store_b64 v41, v[24:25]
	ds_store_b64 v42, v[28:29]
.LBB53_26:                              ;   in Loop: Header=BB53_10 Depth=1
	s_or_b32 exec_lo, exec_lo, s10
	s_and_b32 s4, s1, s3
	s_wait_storecnt_dscnt 0x0
	s_barrier_signal -1
	s_barrier_wait -1
	s_and_saveexec_b32 s10, s4
	s_cbranch_execz .LBB53_34
; %bb.27:                               ;   in Loop: Header=BB53_10 Depth=1
	ds_load_b64 v[24:25], v41
	ds_load_b64 v[22:23], v42
	s_and_not1_b32 vcc_lo, exec_lo, s18
	s_cbranch_vccnz .LBB53_31
; %bb.28:                               ;   in Loop: Header=BB53_10 Depth=1
	v_add_nc_u32_e32 v26, s14, v47
	s_delay_alu instid0(VALU_DEP_1)
	v_add_nc_u32_e32 v27, v26, v43
	s_clause 0x1
	global_load_b64 v[28:29], v27, s[12:13] scale_offset
	global_load_b64 v[30:31], v[8:9], off
	s_wait_loadcnt_dscnt 0x100
	v_mul_f64_e32 v[32:33], v[22:23], v[28:29]
	s_wait_loadcnt 0x0
	v_mul_f64_e32 v[34:35], v[22:23], v[30:31]
	s_delay_alu instid0(VALU_DEP_2) | instskip(NEXT) | instid1(VALU_DEP_2)
	v_fmac_f64_e32 v[32:33], v[24:25], v[30:31]
	v_fma_f64 v[28:29], v[24:25], v[28:29], -v[34:35]
	s_clause 0x1
	global_store_b64 v[8:9], v[32:33], off
	global_store_b64 v27, v[28:29], s[12:13] scale_offset
	s_wait_xcnt 0x0
	s_and_saveexec_b32 s19, s2
	s_cbranch_execz .LBB53_30
; %bb.29:                               ;   in Loop: Header=BB53_10 Depth=1
	v_add_nc_u32_e32 v34, v26, v44
	s_clause 0x1
	global_load_b64 v[26:27], v34, s[12:13] scale_offset
	global_load_b64 v[28:29], v[10:11], off
	s_wait_loadcnt 0x1
	v_mul_f64_e32 v[30:31], v[22:23], v[26:27]
	s_wait_loadcnt 0x0
	v_mul_f64_e32 v[32:33], v[22:23], v[28:29]
	s_delay_alu instid0(VALU_DEP_2) | instskip(NEXT) | instid1(VALU_DEP_2)
	v_fmac_f64_e32 v[30:31], v[24:25], v[28:29]
	v_fma_f64 v[26:27], v[24:25], v[26:27], -v[32:33]
	s_clause 0x1
	global_store_b64 v[10:11], v[30:31], off
	global_store_b64 v34, v[26:27], s[12:13] scale_offset
.LBB53_30:                              ;   in Loop: Header=BB53_10 Depth=1
	s_wait_xcnt 0x0
	s_or_b32 exec_lo, exec_lo, s19
.LBB53_31:                              ;   in Loop: Header=BB53_10 Depth=1
	v_add_nc_u32_e32 v34, v46, v36
	s_clause 0x1
	global_load_b64 v[26:27], v34, s[8:9] scale_offset
	global_load_b64 v[28:29], v[12:13], off
	s_wait_loadcnt_dscnt 0x100
	v_mul_f64_e32 v[30:31], v[22:23], v[26:27]
	s_wait_loadcnt 0x0
	v_mul_f64_e32 v[32:33], v[22:23], v[28:29]
	s_delay_alu instid0(VALU_DEP_2) | instskip(NEXT) | instid1(VALU_DEP_2)
	v_fmac_f64_e32 v[30:31], v[24:25], v[28:29]
	v_fma_f64 v[26:27], v[24:25], v[26:27], -v[32:33]
	s_clause 0x1
	global_store_b64 v[12:13], v[30:31], off
	global_store_b64 v34, v[26:27], s[8:9] scale_offset
	s_wait_xcnt 0x0
	s_and_saveexec_b32 s19, s2
	s_cbranch_execz .LBB53_33
; %bb.32:                               ;   in Loop: Header=BB53_10 Depth=1
	v_add_nc_u32_e32 v34, v46, v39
	s_clause 0x1
	global_load_b64 v[26:27], v34, s[8:9] scale_offset
	global_load_b64 v[28:29], v[14:15], off
	s_wait_loadcnt 0x1
	v_mul_f64_e32 v[30:31], v[22:23], v[26:27]
	s_wait_loadcnt 0x0
	v_mul_f64_e32 v[32:33], v[22:23], v[28:29]
	s_delay_alu instid0(VALU_DEP_2) | instskip(NEXT) | instid1(VALU_DEP_2)
	v_fmac_f64_e32 v[30:31], v[24:25], v[28:29]
	v_fma_f64 v[26:27], v[24:25], v[26:27], -v[32:33]
	s_clause 0x1
	global_store_b64 v[14:15], v[30:31], off
	global_store_b64 v34, v[26:27], s[8:9] scale_offset
.LBB53_33:                              ;   in Loop: Header=BB53_10 Depth=1
	s_wait_xcnt 0x0
	s_or_b32 exec_lo, exec_lo, s19
	v_mov_b64_e32 v[28:29], v[22:23]
.LBB53_34:                              ;   in Loop: Header=BB53_10 Depth=1
	s_or_b32 exec_lo, exec_lo, s10
	s_wait_storecnt 0x0
	s_barrier_signal -1
	s_barrier_wait -1
	s_and_saveexec_b32 s10, s4
	s_cbranch_execz .LBB53_37
; %bb.35:                               ;   in Loop: Header=BB53_10 Depth=1
	v_add_nc_u32_e32 v46, v45, v1
	s_clause 0x1
	global_load_b64 v[26:27], v46, s[8:9] scale_offset
	global_load_b64 v[30:31], v[18:19], off
	s_wait_loadcnt 0x1
	v_mul_f64_e32 v[32:33], v[28:29], v[26:27]
	s_wait_loadcnt 0x0
	v_mul_f64_e32 v[34:35], v[22:23], v[30:31]
	s_delay_alu instid0(VALU_DEP_2) | instskip(NEXT) | instid1(VALU_DEP_2)
	v_fmac_f64_e32 v[32:33], v[24:25], v[30:31]
	v_fma_f64 v[26:27], v[24:25], v[26:27], -v[34:35]
	s_clause 0x1
	global_store_b64 v[18:19], v[32:33], off
	global_store_b64 v46, v[26:27], s[8:9] scale_offset
	s_wait_xcnt 0x0
	s_and_b32 exec_lo, exec_lo, s2
	s_cbranch_execz .LBB53_37
; %bb.36:                               ;   in Loop: Header=BB53_10 Depth=1
	v_add_nc_u32_e32 v46, v45, v40
	s_clause 0x1
	global_load_b64 v[26:27], v46, s[8:9] scale_offset
	global_load_b64 v[30:31], v[20:21], off
	s_wait_loadcnt 0x1
	v_mul_f64_e32 v[32:33], v[28:29], v[26:27]
	s_wait_loadcnt 0x0
	v_mul_f64_e32 v[34:35], v[22:23], v[30:31]
	s_delay_alu instid0(VALU_DEP_2) | instskip(NEXT) | instid1(VALU_DEP_2)
	v_fmac_f64_e32 v[32:33], v[24:25], v[30:31]
	v_fma_f64 v[26:27], v[24:25], v[26:27], -v[34:35]
	s_clause 0x1
	global_store_b64 v[20:21], v[32:33], off
	global_store_b64 v46, v[26:27], s[8:9] scale_offset
.LBB53_37:                              ;   in Loop: Header=BB53_10 Depth=1
	s_wait_xcnt 0x0
	s_or_b32 exec_lo, exec_lo, s10
	s_and_b32 s4, s0, s3
	s_wait_storecnt 0x0
	s_barrier_signal -1
	s_barrier_wait -1
	s_and_saveexec_b32 s3, s4
	s_cbranch_execz .LBB53_9
; %bb.38:                               ;   in Loop: Header=BB53_10 Depth=1
	v_mad_u32 v26, v45, s11, v37
	v_add_nc_u32_e32 v27, v45, v38
	s_clause 0x1
	global_store_b64 v26, v[16:17], s[8:9] scale_offset
	global_store_b64 v27, v[16:17], s[8:9] scale_offset
	s_branch .LBB53_9
.LBB53_39:
	s_endpgm
	.section	.rodata,"a",@progbits
	.p2align	6, 0x0
	.amdhsa_kernel _ZN9rocsolver6v33100L21syevj_offd_kernel_orgIddPdEEviiT1_iilT0_PT_PiS7_S7_
		.amdhsa_group_segment_fixed_size 0
		.amdhsa_private_segment_fixed_size 0
		.amdhsa_kernarg_size 328
		.amdhsa_user_sgpr_count 2
		.amdhsa_user_sgpr_dispatch_ptr 0
		.amdhsa_user_sgpr_queue_ptr 0
		.amdhsa_user_sgpr_kernarg_segment_ptr 1
		.amdhsa_user_sgpr_dispatch_id 0
		.amdhsa_user_sgpr_kernarg_preload_length 0
		.amdhsa_user_sgpr_kernarg_preload_offset 0
		.amdhsa_user_sgpr_private_segment_size 0
		.amdhsa_wavefront_size32 1
		.amdhsa_uses_dynamic_stack 0
		.amdhsa_enable_private_segment 0
		.amdhsa_system_sgpr_workgroup_id_x 1
		.amdhsa_system_sgpr_workgroup_id_y 0
		.amdhsa_system_sgpr_workgroup_id_z 1
		.amdhsa_system_sgpr_workgroup_info 0
		.amdhsa_system_vgpr_workitem_id 1
		.amdhsa_next_free_vgpr 52
		.amdhsa_next_free_sgpr 23
		.amdhsa_named_barrier_count 0
		.amdhsa_reserve_vcc 1
		.amdhsa_float_round_mode_32 0
		.amdhsa_float_round_mode_16_64 0
		.amdhsa_float_denorm_mode_32 3
		.amdhsa_float_denorm_mode_16_64 3
		.amdhsa_fp16_overflow 0
		.amdhsa_memory_ordered 1
		.amdhsa_forward_progress 1
		.amdhsa_inst_pref_size 25
		.amdhsa_round_robin_scheduling 0
		.amdhsa_exception_fp_ieee_invalid_op 0
		.amdhsa_exception_fp_denorm_src 0
		.amdhsa_exception_fp_ieee_div_zero 0
		.amdhsa_exception_fp_ieee_overflow 0
		.amdhsa_exception_fp_ieee_underflow 0
		.amdhsa_exception_fp_ieee_inexact 0
		.amdhsa_exception_int_div_zero 0
	.end_amdhsa_kernel
	.section	.text._ZN9rocsolver6v33100L21syevj_offd_kernel_orgIddPdEEviiT1_iilT0_PT_PiS7_S7_,"axG",@progbits,_ZN9rocsolver6v33100L21syevj_offd_kernel_orgIddPdEEviiT1_iilT0_PT_PiS7_S7_,comdat
.Lfunc_end53:
	.size	_ZN9rocsolver6v33100L21syevj_offd_kernel_orgIddPdEEviiT1_iilT0_PT_PiS7_S7_, .Lfunc_end53-_ZN9rocsolver6v33100L21syevj_offd_kernel_orgIddPdEEviiT1_iilT0_PT_PiS7_S7_
                                        ; -- End function
	.set _ZN9rocsolver6v33100L21syevj_offd_kernel_orgIddPdEEviiT1_iilT0_PT_PiS7_S7_.num_vgpr, 52
	.set _ZN9rocsolver6v33100L21syevj_offd_kernel_orgIddPdEEviiT1_iilT0_PT_PiS7_S7_.num_agpr, 0
	.set _ZN9rocsolver6v33100L21syevj_offd_kernel_orgIddPdEEviiT1_iilT0_PT_PiS7_S7_.numbered_sgpr, 23
	.set _ZN9rocsolver6v33100L21syevj_offd_kernel_orgIddPdEEviiT1_iilT0_PT_PiS7_S7_.num_named_barrier, 0
	.set _ZN9rocsolver6v33100L21syevj_offd_kernel_orgIddPdEEviiT1_iilT0_PT_PiS7_S7_.private_seg_size, 0
	.set _ZN9rocsolver6v33100L21syevj_offd_kernel_orgIddPdEEviiT1_iilT0_PT_PiS7_S7_.uses_vcc, 1
	.set _ZN9rocsolver6v33100L21syevj_offd_kernel_orgIddPdEEviiT1_iilT0_PT_PiS7_S7_.uses_flat_scratch, 0
	.set _ZN9rocsolver6v33100L21syevj_offd_kernel_orgIddPdEEviiT1_iilT0_PT_PiS7_S7_.has_dyn_sized_stack, 0
	.set _ZN9rocsolver6v33100L21syevj_offd_kernel_orgIddPdEEviiT1_iilT0_PT_PiS7_S7_.has_recursion, 0
	.set _ZN9rocsolver6v33100L21syevj_offd_kernel_orgIddPdEEviiT1_iilT0_PT_PiS7_S7_.has_indirect_call, 0
	.section	.AMDGPU.csdata,"",@progbits
; Kernel info:
; codeLenInByte = 3168
; TotalNumSgprs: 25
; NumVgprs: 52
; ScratchSize: 0
; MemoryBound: 0
; FloatMode: 240
; IeeeMode: 1
; LDSByteSize: 0 bytes/workgroup (compile time only)
; SGPRBlocks: 0
; VGPRBlocks: 3
; NumSGPRsForWavesPerEU: 25
; NumVGPRsForWavesPerEU: 52
; NamedBarCnt: 0
; Occupancy: 16
; WaveLimiterHint : 0
; COMPUTE_PGM_RSRC2:SCRATCH_EN: 0
; COMPUTE_PGM_RSRC2:USER_SGPR: 2
; COMPUTE_PGM_RSRC2:TRAP_HANDLER: 0
; COMPUTE_PGM_RSRC2:TGID_X_EN: 1
; COMPUTE_PGM_RSRC2:TGID_Y_EN: 0
; COMPUTE_PGM_RSRC2:TGID_Z_EN: 1
; COMPUTE_PGM_RSRC2:TIDIG_COMP_CNT: 1
	.section	.text._ZN9rocsolver6v33100L17syevj_offd_kernelIddPdEEviiT1_iilT0_PT_PiS7_S7_i,"axG",@progbits,_ZN9rocsolver6v33100L17syevj_offd_kernelIddPdEEviiT1_iilT0_PT_PiS7_S7_i,comdat
	.globl	_ZN9rocsolver6v33100L17syevj_offd_kernelIddPdEEviiT1_iilT0_PT_PiS7_S7_i ; -- Begin function _ZN9rocsolver6v33100L17syevj_offd_kernelIddPdEEviiT1_iilT0_PT_PiS7_S7_i
	.p2align	8
	.type	_ZN9rocsolver6v33100L17syevj_offd_kernelIddPdEEviiT1_iilT0_PT_PiS7_S7_i,@function
_ZN9rocsolver6v33100L17syevj_offd_kernelIddPdEEviiT1_iilT0_PT_PiS7_S7_i: ; @_ZN9rocsolver6v33100L17syevj_offd_kernelIddPdEEviiT1_iilT0_PT_PiS7_S7_i
; %bb.0:
	s_clause 0x1
	s_load_b64 s[20:21], s[0:1], 0x0
	s_load_b32 s33, s[0:1], 0x48
	s_bfe_u32 s4, ttmp6, 0x40014
	s_lshr_b32 s3, ttmp7, 16
	s_add_co_i32 s4, s4, 1
	s_getreg_b32 s23, hwreg(HW_REG_IB_STS2, 6, 4)
	s_mul_i32 s4, s3, s4
	s_mov_b32 s25, 0
	s_wait_kmcnt 0x0
	s_abs_i32 s28, s20
	s_delay_alu instid0(SALU_CYCLE_1) | instskip(NEXT) | instid1(SALU_CYCLE_3)
	s_cvt_f32_u32 s2, s28
	v_rcp_iflag_f32_e32 v1, s2
	s_bfe_u32 s2, ttmp6, 0x40008
	s_delay_alu instid0(SALU_CYCLE_1) | instskip(SKIP_3) | instid1(TRANS32_DEP_1)
	s_add_co_i32 s2, s2, s4
	s_cmp_eq_u32 s23, 0
	s_cselect_b32 s22, s3, s2
	v_nop
	v_readfirstlane_b32 s12, v1
	s_cmp_ge_u32 s22, s33
	s_cbranch_scc1 .LBB54_82
; %bb.1:
	s_load_b256 s[4:11], s[0:1], 0x18
	s_mov_b64 s[14:15], 0x10000000000000
	s_mul_f32 s12, s12, 0x4f7ffffe
	s_sub_co_i32 s24, 0, s28
	s_load_b128 s[16:19], s[0:1], 0x8
	s_mov_b64 s[2:3], src_shared_base
	s_cvt_u32_f32 s30, s12
	s_add_co_i32 s2, s21, -1
	s_mov_b32 s31, s25
	s_ashr_i32 s29, s20, 31
	v_and_b32_e32 v20, 0x3ff, v0
	v_bfe_u32 v21, v0, 10, 10
	s_mov_b32 s40, s3
	s_delay_alu instid0(VALU_DEP_2)
	v_lshl_add_u32 v23, v20, 3, 0
	s_wait_kmcnt 0x0
	v_div_scale_f64 v[2:3], null, s[6:7], s[6:7], 0x100000
	v_div_scale_f64 v[8:9], vcc_lo, s[14:15], s[6:7], s[14:15]
	s_clause 0x2
	s_load_b128 s[12:15], s[0:1], 0x38
	s_load_b32 s38, s[0:1], 0x50
	s_load_b64 s[26:27], s[0:1], 0x58
	s_wait_xcnt 0x0
	s_mul_i32 s0, s24, s30
	s_abs_i32 s24, s2
	s_mul_hi_u32 s0, s30, s0
	s_delay_alu instid0(SALU_CYCLE_1) | instskip(NEXT) | instid1(SALU_CYCLE_1)
	s_add_co_i32 s30, s30, s0
	s_mul_u64 s[0:1], s[24:25], s[30:31]
	s_ashr_i32 s0, s2, 31
	s_mul_i32 s2, s1, s28
	s_cvt_f32_u32 s31, s20
	s_sub_co_i32 s2, s24, s2
	s_xor_b32 s0, s0, s29
	s_add_co_i32 s24, s1, 1
	s_sub_co_i32 s30, s2, s28
	s_cmp_ge_u32 s2, s28
	v_rcp_iflag_f32_e32 v0, s31
	s_cselect_b32 s1, s24, s1
	s_cselect_b32 s2, s30, s2
	s_add_co_i32 s24, s1, 1
	s_cmp_ge_u32 s2, s28
	s_mov_b32 s28, s20
	s_cselect_b32 s1, s24, s1
	v_nop
	v_readfirstlane_b32 s24, v0
	s_xor_b32 s1, s1, s0
	s_bfe_u32 s30, ttmp6, 0x4000c
	s_sub_co_i32 s39, s1, s0
	s_add_co_i32 s30, s30, 1
	v_rcp_f64_e32 v[4:5], v[2:3]
	s_add_co_i32 s0, s39, 1
	s_and_b32 s3, ttmp6, 15
	s_lshr_b32 s1, s0, 31
	s_mul_i32 s30, ttmp9, s30
	s_add_co_i32 s1, s0, s1
	s_add_co_i32 s3, s3, s30
	s_and_b32 s1, s1, -2
	s_mul_i32 s2, s20, s20
	s_sub_co_i32 s1, s0, s1
	s_delay_alu instid0(SALU_CYCLE_1) | instskip(NEXT) | instid1(SALU_CYCLE_1)
	s_add_co_i32 s0, s1, s0
	s_lshr_b32 s1, s0, 31
	s_delay_alu instid0(SALU_CYCLE_1) | instskip(NEXT) | instid1(SALU_CYCLE_1)
	s_add_co_i32 s0, s0, s1
	s_ashr_i32 s41, s0, 1
	s_cmp_eq_u32 s23, 0
	s_mul_i32 s23, s39, s20
	s_cselect_b32 s42, ttmp9, s3
	s_lshl_b64 s[0:1], s[28:29], 4
	s_lshl_b32 s28, s20, 1
	s_lshl_b32 s44, s20, 3
	s_ashr_i32 s29, s28, 31
	s_lshl_b32 s45, s2, 2
	s_add_co_i32 s2, s44, 0
	s_mul_u64 s[30:31], s[28:29], s[28:29]
	s_wait_kmcnt 0x0
	s_lshr_b32 s43, s27, 16
	s_and_b32 s27, s27, 0xffff
	s_ashr_i32 s3, s18, 31
	s_add_co_i32 s29, s2, s44
	s_lshl_b64 s[30:31], s[30:31], 3
	s_cmp_lt_u32 s42, s41
	s_mov_b32 s2, s18
	s_cselect_b32 s46, -1, 0
	s_sub_co_i32 s47, s21, s23
	s_cmp_lg_u64 s[8:9], 0
	v_nop
	s_delay_alu instid0(TRANS32_DEP_1)
	v_fma_f64 v[6:7], -v[2:3], v[4:5], 1.0
	s_cselect_b32 s49, -1, 0
	s_cmp_gt_i32 s20, 0
	s_add_nc_u64 s[0:1], s[30:31], s[0:1]
	s_cselect_b32 s50, -1, 0
	s_sub_co_i32 s51, 0, s20
	v_cmp_gt_u64_e64 s48, 0x10001, s[0:1]
	s_lshl_b64 s[2:3], s[2:3], 3
	v_cmp_gt_u32_e64 s0, s20, v21
	v_cmp_gt_u32_e64 s1, s20, v20
	s_add_nc_u64 s[16:17], s[16:17], s[2:3]
	s_mul_i32 s2, s20, s43
	s_lshl_b32 s53, s27, 3
	s_lshl_b32 s52, s2, 1
	v_fmac_f64_e32 v[4:5], v[4:5], v[6:7]
	s_delay_alu instid0(VALU_DEP_1) | instskip(NEXT) | instid1(VALU_DEP_1)
	v_fma_f64 v[6:7], -v[2:3], v[4:5], 1.0
	v_fmac_f64_e32 v[4:5], v[4:5], v[6:7]
	s_delay_alu instid0(VALU_DEP_1) | instskip(NEXT) | instid1(VALU_DEP_1)
	v_mul_f64_e32 v[6:7], v[8:9], v[4:5]
	v_fma_f64 v[2:3], -v[2:3], v[6:7], v[8:9]
	s_delay_alu instid0(VALU_DEP_1) | instskip(SKIP_1) | instid1(VALU_DEP_1)
	v_div_fmas_f64 v[0:1], v[2:3], v[4:5], v[6:7]
	v_mul_lo_u32 v2, v21, s20
	v_dual_mov_b32 v5, 0 :: v_dual_lshlrev_b32 v22, 1, v2
	s_delay_alu instid0(VALU_DEP_1) | instskip(NEXT) | instid1(VALU_DEP_1)
	v_dual_add_nc_u32 v3, s20, v21 :: v_dual_add_nc_u32 v24, v20, v22
	v_mul_lo_u32 v3, s20, v3
	s_delay_alu instid0(VALU_DEP_1) | instskip(SKIP_4) | instid1(SALU_CYCLE_2)
	v_lshl_add_u32 v25, v3, 1, v20
	v_mov_b64_e32 v[2:3], 0
	v_div_fixup_f64 v[0:1], v[0:1], s[6:7], 0x100000
	s_mul_f32 s6, s24, 0x4f7ffffe
	s_ashr_i32 s7, s19, 31
	s_cvt_u32_f32 s18, s6
	s_mov_b32 s6, s19
	s_delay_alu instid0(SALU_CYCLE_2) | instskip(NEXT) | instid1(SALU_CYCLE_1)
	s_mul_i32 s19, s51, s18
	s_mul_hi_u32 s19, s18, s19
	s_delay_alu instid0(SALU_CYCLE_1)
	s_add_co_i32 s18, s18, s19
	s_mov_b32 s19, s25
	s_branch .LBB54_3
.LBB54_2:                               ;   in Loop: Header=BB54_3 Depth=1
	s_add_co_i32 s22, s22, s26
	s_delay_alu instid0(SALU_CYCLE_1)
	s_cmp_ge_u32 s22, s33
	s_cbranch_scc1 .LBB54_82
.LBB54_3:                               ; =>This Loop Header: Depth=1
                                        ;     Child Loop BB54_8 Depth 2
                                        ;       Child Loop BB54_16 Depth 3
                                        ;         Child Loop BB54_18 Depth 4
                                        ;       Child Loop BB54_23 Depth 3
                                        ;         Child Loop BB54_26 Depth 4
                                        ;           Child Loop BB54_33 Depth 5
                                        ;         Child Loop BB54_48 Depth 4
                                        ;           Child Loop BB54_51 Depth 5
                                        ;         Child Loop BB54_61 Depth 4
                                        ;           Child Loop BB54_64 Depth 5
                                        ;         Child Loop BB54_70 Depth 4
                                        ;           Child Loop BB54_73 Depth 5
                                        ;       Child Loop BB54_79 Depth 3
                                        ;         Child Loop BB54_81 Depth 4
	s_wait_xcnt 0x0
	v_mov_b32_e32 v4, s22
	global_load_b32 v4, v4, s[14:15] offset:4 scale_offset
	s_wait_loadcnt 0x0
	v_cmp_ne_u32_e32 vcc_lo, 0, v4
	s_cbranch_vccnz .LBB54_2
; %bb.4:                                ;   in Loop: Header=BB54_3 Depth=1
	s_and_not1_b32 vcc_lo, exec_lo, s46
	s_cbranch_vccnz .LBB54_2
; %bb.5:                                ;   in Loop: Header=BB54_3 Depth=1
	s_mov_b32 s23, s25
	s_mov_b32 s54, s42
	s_mul_u64 s[2:3], s[4:5], s[22:23]
	s_mul_i32 s23, s22, s41
	s_lshl_b64 s[2:3], s[2:3], 3
	s_delay_alu instid0(SALU_CYCLE_1)
	s_add_nc_u64 s[30:31], s[16:17], s[2:3]
	s_branch .LBB54_8
.LBB54_6:                               ;   in Loop: Header=BB54_8 Depth=2
	s_or_b32 exec_lo, exec_lo, s3
	s_wait_storecnt 0x0
	s_barrier_signal -1
	s_barrier_wait -1
.LBB54_7:                               ;   in Loop: Header=BB54_8 Depth=2
	s_add_co_i32 s54, s54, s38
	s_delay_alu instid0(SALU_CYCLE_1)
	s_cmp_lt_u32 s54, s41
	s_cbranch_scc0 .LBB54_2
.LBB54_8:                               ;   Parent Loop BB54_3 Depth=1
                                        ; =>  This Loop Header: Depth=2
                                        ;       Child Loop BB54_16 Depth 3
                                        ;         Child Loop BB54_18 Depth 4
                                        ;       Child Loop BB54_23 Depth 3
                                        ;         Child Loop BB54_26 Depth 4
                                        ;           Child Loop BB54_33 Depth 5
                                        ;         Child Loop BB54_48 Depth 4
                                        ;           Child Loop BB54_51 Depth 5
	;; [unrolled: 2-line block ×4, first 2 shown]
                                        ;       Child Loop BB54_79 Depth 3
                                        ;         Child Loop BB54_81 Depth 4
	s_wait_xcnt 0x0
	v_mov_b32_e32 v7, s54
	s_clause 0x1
	global_load_b32 v4, v7, s[10:11] scale_offset
	global_load_b32 v6, v7, s[12:13] scale_offset
	s_wait_loadcnt 0x1
	v_readfirstlane_b32 s2, v4
	s_wait_loadcnt 0x0
	v_readfirstlane_b32 s3, v6
	s_max_i32 s55, s2, s3
	s_delay_alu instid0(SALU_CYCLE_1)
	s_cmp_gt_i32 s55, s39
	s_cbranch_scc1 .LBB54_7
; %bb.9:                                ;   in Loop: Header=BB54_8 Depth=2
	s_and_not1_b32 vcc_lo, exec_lo, s49
	s_cbranch_vccnz .LBB54_11
; %bb.10:                               ;   in Loop: Header=BB54_8 Depth=2
	s_add_co_i32 s2, s54, s23
	s_delay_alu instid0(SALU_CYCLE_1) | instskip(NEXT) | instid1(SALU_CYCLE_1)
	s_mul_i32 s24, s45, s2
	s_lshl_b64 s[2:3], s[24:25], 3
	s_delay_alu instid0(SALU_CYCLE_1)
	s_add_nc_u64 s[34:35], s[8:9], s[2:3]
	s_branch .LBB54_12
.LBB54_11:                              ;   in Loop: Header=BB54_8 Depth=2
	s_mov_b64 s[34:35], 0
.LBB54_12:                              ;   in Loop: Header=BB54_8 Depth=2
	v_dual_mov_b32 v6, s47 :: v_dual_min_i32 v4, v6, v4
	s_cmp_eq_u32 s55, s39
	s_cselect_b32 s2, s47, s20
	s_delay_alu instid0(VALU_DEP_1) | instskip(NEXT) | instid1(VALU_DEP_2)
	v_cmp_eq_u32_e32 vcc_lo, s39, v4
	v_cndmask_b32_e32 v6, s20, v6, vcc_lo
	s_delay_alu instid0(VALU_DEP_1)
	v_add_nc_u32_e32 v26, s2, v6
	s_and_b32 s2, s48, exec_lo
	s_cselect_b32 s37, s40, s35
	s_cselect_b32 s36, s29, s34
	s_cmp_lg_u64 s[34:35], 0
	v_cmp_lt_u32_e32 vcc_lo, v21, v26
	s_cselect_b32 s24, -1, 0
	s_cmp_eq_u64 s[34:35], 0
	s_cbranch_scc1 .LBB54_20
; %bb.13:                               ;   in Loop: Header=BB54_8 Depth=2
	s_barrier_signal -1
	s_barrier_wait -1
	s_wait_xcnt 0x0
	s_and_saveexec_b32 s56, vcc_lo
	s_cbranch_execz .LBB54_19
; %bb.14:                               ;   in Loop: Header=BB54_8 Depth=2
	v_dual_mov_b32 v6, v22 :: v_dual_mov_b32 v7, v21
	s_mov_b32 s57, 0
	v_cmp_lt_u32_e32 vcc_lo, v20, v26
	s_branch .LBB54_16
.LBB54_15:                              ;   in Loop: Header=BB54_16 Depth=3
	s_or_b32 exec_lo, exec_lo, s58
	v_dual_add_nc_u32 v7, s43, v7 :: v_dual_add_nc_u32 v6, s52, v6
	s_delay_alu instid0(VALU_DEP_1) | instskip(SKIP_1) | instid1(SALU_CYCLE_1)
	v_cmp_ge_u32_e64 s2, v7, v26
	s_or_b32 s57, s2, s57
	s_and_not1_b32 exec_lo, exec_lo, s57
	s_cbranch_execz .LBB54_19
.LBB54_16:                              ;   Parent Loop BB54_3 Depth=1
                                        ;     Parent Loop BB54_8 Depth=2
                                        ; =>    This Loop Header: Depth=3
                                        ;         Child Loop BB54_18 Depth 4
	s_and_saveexec_b32 s58, vcc_lo
	s_cbranch_execz .LBB54_15
; %bb.17:                               ;   in Loop: Header=BB54_16 Depth=3
	v_mov_b32_e32 v8, v20
	s_mov_b32 s59, 0
.LBB54_18:                              ;   Parent Loop BB54_3 Depth=1
                                        ;     Parent Loop BB54_8 Depth=2
                                        ;       Parent Loop BB54_16 Depth=3
                                        ; =>      This Inner Loop Header: Depth=4
	s_delay_alu instid0(VALU_DEP_1) | instskip(SKIP_2) | instid1(VALU_DEP_3)
	v_cmp_eq_u32_e64 s2, v7, v8
	v_dual_add_nc_u32 v9, v6, v8 :: v_dual_add_nc_u32 v8, s27, v8
	v_mov_b32_e32 v10, v5
	v_cndmask_b32_e64 v11, 0, 0x3ff00000, s2
	s_delay_alu instid0(VALU_DEP_3)
	v_cmp_ge_u32_e64 s3, v8, v26
	flat_store_b64 v9, v[10:11], s[36:37] scale_offset
	s_or_b32 s59, s3, s59
	s_wait_xcnt 0x0
	s_and_not1_b32 exec_lo, exec_lo, s59
	s_cbranch_execnz .LBB54_18
	s_branch .LBB54_15
.LBB54_19:                              ;   in Loop: Header=BB54_8 Depth=2
	s_or_b32 exec_lo, exec_lo, s56
	s_wait_storecnt_dscnt 0x0
	s_barrier_signal -1
	s_barrier_wait -1
.LBB54_20:                              ;   in Loop: Header=BB54_8 Depth=2
	s_and_not1_b32 vcc_lo, exec_lo, s50
	s_cbranch_vccnz .LBB54_75
; %bb.21:                               ;   in Loop: Header=BB54_8 Depth=2
	v_mul_lo_u32 v27, v4, s20
	s_mul_i32 s55, s55, s20
	s_mov_b32 s56, 0
	s_delay_alu instid0(VALU_DEP_1)
	v_dual_mov_b32 v29, v20 :: v_dual_add_nc_u32 v28, v20, v27
	s_branch .LBB54_23
.LBB54_22:                              ;   in Loop: Header=BB54_23 Depth=3
	s_or_b32 exec_lo, exec_lo, s3
	v_add_nc_u32_e32 v29, 1, v29
	s_add_co_i32 s56, s56, 1
	s_delay_alu instid0(SALU_CYCLE_1)
	s_cmp_eq_u32 s56, s20
	s_cbranch_scc1 .LBB54_75
.LBB54_23:                              ;   Parent Loop BB54_3 Depth=1
                                        ;     Parent Loop BB54_8 Depth=2
                                        ; =>    This Loop Header: Depth=3
                                        ;         Child Loop BB54_26 Depth 4
                                        ;           Child Loop BB54_33 Depth 5
                                        ;         Child Loop BB54_48 Depth 4
                                        ;           Child Loop BB54_51 Depth 5
	;; [unrolled: 2-line block ×4, first 2 shown]
	s_wait_xcnt 0x0
	s_and_saveexec_b32 s57, s0
	s_cbranch_execz .LBB54_45
; %bb.24:                               ;   in Loop: Header=BB54_23 Depth=3
	v_mov_b32_e32 v30, v21
	s_mov_b32 s58, 0
	s_branch .LBB54_26
.LBB54_25:                              ;   in Loop: Header=BB54_26 Depth=4
	s_or_b32 exec_lo, exec_lo, s59
	v_add_nc_u32_e32 v30, s43, v30
	s_delay_alu instid0(VALU_DEP_1) | instskip(SKIP_1) | instid1(SALU_CYCLE_1)
	v_cmp_le_u32_e32 vcc_lo, s20, v30
	s_or_b32 s58, vcc_lo, s58
	s_and_not1_b32 exec_lo, exec_lo, s58
	s_cbranch_execz .LBB54_45
.LBB54_26:                              ;   Parent Loop BB54_3 Depth=1
                                        ;     Parent Loop BB54_8 Depth=2
                                        ;       Parent Loop BB54_23 Depth=3
                                        ; =>      This Loop Header: Depth=4
                                        ;           Child Loop BB54_33 Depth 5
	s_and_saveexec_b32 s59, s1
	s_cbranch_execz .LBB54_25
; %bb.27:                               ;   in Loop: Header=BB54_26 Depth=4
	v_cmp_eq_u32_e64 s2, 0, v30
	v_dual_mov_b32 v31, v23 :: v_dual_mov_b32 v6, v29
	s_mov_b32 s60, 0
	s_mov_b32 s61, 0
	s_branch .LBB54_33
.LBB54_28:                              ;   in Loop: Header=BB54_33 Depth=5
	s_or_b32 exec_lo, exec_lo, s65
.LBB54_29:                              ;   in Loop: Header=BB54_33 Depth=5
	s_delay_alu instid0(SALU_CYCLE_1)
	s_or_b32 exec_lo, exec_lo, s64
.LBB54_30:                              ;   in Loop: Header=BB54_33 Depth=5
	s_delay_alu instid0(SALU_CYCLE_1) | instskip(NEXT) | instid1(VALU_DEP_1)
	s_or_b32 exec_lo, exec_lo, s3
	v_mul_f64_e32 v[10:11], v[8:9], v[16:17]
	v_and_b32_e32 v15, 0x7fffffff, v9
	v_mov_b32_e32 v14, v8
	s_delay_alu instid0(VALU_DEP_1) | instskip(SKIP_1) | instid1(VALU_DEP_2)
	v_div_scale_f64 v[16:17], null, v[14:15], v[14:15], v[10:11]
	v_div_scale_f64 v[14:15], vcc_lo, v[10:11], v[14:15], v[10:11]
	v_rcp_f64_e32 v[18:19], v[16:17]
	v_nop
	s_delay_alu instid0(TRANS32_DEP_1) | instskip(NEXT) | instid1(VALU_DEP_1)
	v_fma_f64 v[32:33], -v[16:17], v[18:19], 1.0
	v_fmac_f64_e32 v[18:19], v[18:19], v[32:33]
	s_delay_alu instid0(VALU_DEP_1) | instskip(NEXT) | instid1(VALU_DEP_1)
	v_fma_f64 v[32:33], -v[16:17], v[18:19], 1.0
	v_fmac_f64_e32 v[18:19], v[18:19], v[32:33]
	s_delay_alu instid0(VALU_DEP_1) | instskip(NEXT) | instid1(VALU_DEP_1)
	v_mul_f64_e32 v[32:33], v[14:15], v[18:19]
	v_fma_f64 v[14:15], -v[16:17], v[32:33], v[14:15]
	s_delay_alu instid0(VALU_DEP_1) | instskip(NEXT) | instid1(VALU_DEP_1)
	v_div_fmas_f64 v[14:15], v[14:15], v[18:19], v[32:33]
	v_div_fixup_f64 v[14:15], v[14:15], |v[8:9]|, v[10:11]
.LBB54_31:                              ;   in Loop: Header=BB54_33 Depth=5
	s_or_b32 exec_lo, exec_lo, s63
	v_add_nc_u32_e32 v4, s44, v31
	ds_store_b64 v31, v[12:13]
	ds_store_b64 v4, v[14:15]
.LBB54_32:                              ;   in Loop: Header=BB54_33 Depth=5
	s_or_b32 exec_lo, exec_lo, s62
	s_add_co_i32 s61, s61, s27
	s_delay_alu instid0(SALU_CYCLE_1) | instskip(SKIP_1) | instid1(VALU_DEP_2)
	v_dual_add_nc_u32 v31, s53, v31 :: v_dual_add_nc_u32 v4, s61, v20
	v_add_nc_u32_e32 v6, s27, v6
	v_cmp_le_u32_e32 vcc_lo, s20, v4
	s_or_b32 s60, vcc_lo, s60
	s_delay_alu instid0(SALU_CYCLE_1)
	s_and_not1_b32 exec_lo, exec_lo, s60
	s_cbranch_execz .LBB54_25
.LBB54_33:                              ;   Parent Loop BB54_3 Depth=1
                                        ;     Parent Loop BB54_8 Depth=2
                                        ;       Parent Loop BB54_23 Depth=3
                                        ;         Parent Loop BB54_26 Depth=4
                                        ; =>        This Inner Loop Header: Depth=5
	v_mov_b32_e32 v7, v5
	s_delay_alu instid0(VALU_DEP_1) | instskip(SKIP_1) | instid1(VALU_DEP_2)
	v_mul_u64_e32 v[8:9], s[18:19], v[6:7]
	v_add_nc_u32_e32 v8, s61, v20
	v_mul_lo_u32 v4, s20, v9
	v_not_b32_e32 v7, v9
	s_delay_alu instid0(VALU_DEP_1) | instskip(NEXT) | instid1(VALU_DEP_3)
	v_mul_lo_u32 v7, s20, v7
	v_sub_nc_u32_e32 v4, s56, v4
	s_delay_alu instid0(VALU_DEP_1) | instskip(NEXT) | instid1(VALU_DEP_3)
	v_add_nc_u32_e32 v4, v8, v4
	v_add3_u32 v7, s56, v7, v8
	s_delay_alu instid0(VALU_DEP_2) | instskip(NEXT) | instid1(VALU_DEP_2)
	v_cmp_le_u32_e32 vcc_lo, s20, v4
	v_cndmask_b32_e32 v4, v4, v7, vcc_lo
	s_delay_alu instid0(VALU_DEP_1) | instskip(SKIP_1) | instid1(VALU_DEP_2)
	v_subrev_nc_u32_e32 v7, s20, v4
	v_cmp_le_u32_e32 vcc_lo, s20, v4
	v_dual_cndmask_b32 v7, v4, v7 :: v_dual_add_nc_u32 v4, s61, v28
	s_delay_alu instid0(VALU_DEP_1) | instskip(NEXT) | instid1(VALU_DEP_2)
	v_add_nc_u32_e32 v10, s55, v7
	v_cmp_gt_u32_e32 vcc_lo, s21, v4
	s_delay_alu instid0(VALU_DEP_2) | instskip(SKIP_1) | instid1(SALU_CYCLE_1)
	v_cmp_gt_u32_e64 s3, s21, v10
	s_and_b32 s62, s2, vcc_lo
	s_and_b32 s3, s62, s3
	s_delay_alu instid0(SALU_CYCLE_1)
	s_and_saveexec_b32 s62, s3
	s_cbranch_execz .LBB54_32
; %bb.34:                               ;   in Loop: Header=BB54_33 Depth=5
	v_mov_b32_e32 v11, v5
	v_mov_b64_e32 v[14:15], 0
	s_delay_alu instid0(VALU_DEP_2) | instskip(NEXT) | instid1(VALU_DEP_1)
	v_mul_u64_e32 v[8:9], s[6:7], v[10:11]
	v_lshl_add_u64 v[16:17], v[8:9], 3, s[30:31]
	s_delay_alu instid0(VALU_DEP_1) | instskip(SKIP_3) | instid1(VALU_DEP_1)
	v_lshl_add_u64 v[8:9], v[4:5], 3, v[16:17]
	global_load_b64 v[8:9], v[8:9], off
	s_wait_loadcnt 0x0
	v_mul_f64_e32 v[12:13], v[8:9], v[8:9]
	v_cmp_nlt_f64_e32 vcc_lo, v[12:13], v[0:1]
	v_mov_b64_e32 v[12:13], 1.0
	s_wait_xcnt 0x0
	s_and_saveexec_b32 s63, vcc_lo
	s_cbranch_execz .LBB54_31
; %bb.35:                               ;   in Loop: Header=BB54_33 Depth=5
	v_mul_u64_e32 v[12:13], s[6:7], v[4:5]
	v_lshl_add_u64 v[10:11], v[10:11], 3, v[16:17]
	s_delay_alu instid0(VALU_DEP_2) | instskip(NEXT) | instid1(VALU_DEP_1)
	v_lshl_add_u64 v[12:13], v[12:13], 3, s[30:31]
	v_lshl_add_u64 v[12:13], v[4:5], 3, v[12:13]
	s_clause 0x1
	global_load_b64 v[14:15], v[10:11], off
	global_load_b64 v[12:13], v[12:13], off
	s_wait_xcnt 0x1
	v_add_f64_e64 v[10:11], |v[8:9]|, |v[8:9]|
	s_delay_alu instid0(VALU_DEP_1) | instskip(SKIP_3) | instid1(VALU_DEP_1)
	v_cmp_class_f64_e64 s64, v[10:11], 0x204
	s_wait_loadcnt 0x0
	v_add_f64_e64 v[14:15], v[14:15], -v[12:13]
	s_wait_xcnt 0x0
	v_max_num_f64_e64 v[12:13], |v[14:15]|, |v[10:11]|
	v_cmp_ngt_f64_e64 s3, 0, v[14:15]
	v_cmp_class_f64_e64 s65, v[14:15], 0x204
	s_delay_alu instid0(VALU_DEP_3) | instskip(NEXT) | instid1(VALU_DEP_1)
	v_frexp_exp_i32_f64_e32 v4, v[12:13]
	v_sub_nc_u32_e32 v7, 0, v4
	s_delay_alu instid0(VALU_DEP_1) | instskip(SKIP_1) | instid1(VALU_DEP_2)
	v_ldexp_f64 v[12:13], |v[10:11]|, v7
	v_ldexp_f64 v[16:17], |v[14:15]|, v7
	v_mul_f64_e32 v[12:13], v[12:13], v[12:13]
	s_delay_alu instid0(VALU_DEP_1) | instskip(NEXT) | instid1(VALU_DEP_1)
	v_fmac_f64_e32 v[12:13], v[16:17], v[16:17]
	v_rsq_f64_e32 v[16:17], v[12:13]
	v_cmp_eq_f64_e32 vcc_lo, 0, v[12:13]
	s_delay_alu instid0(TRANS32_DEP_1) | instskip(SKIP_1) | instid1(VALU_DEP_1)
	v_mul_f64_e32 v[18:19], v[12:13], v[16:17]
	v_mul_f64_e32 v[16:17], 0.5, v[16:17]
	v_fma_f64 v[32:33], -v[16:17], v[18:19], 0.5
	s_delay_alu instid0(VALU_DEP_1) | instskip(SKIP_1) | instid1(VALU_DEP_2)
	v_fmac_f64_e32 v[18:19], v[18:19], v[32:33]
	v_fmac_f64_e32 v[16:17], v[16:17], v[32:33]
	v_fma_f64 v[32:33], -v[18:19], v[18:19], v[12:13]
	s_delay_alu instid0(VALU_DEP_1) | instskip(NEXT) | instid1(VALU_DEP_1)
	v_fmac_f64_e32 v[18:19], v[32:33], v[16:17]
	v_dual_cndmask_b32 v13, v19, v13 :: v_dual_cndmask_b32 v12, v18, v12
                                        ; implicit-def: $vgpr18_vgpr19
	s_and_saveexec_b32 s66, s3
	s_delay_alu instid0(SALU_CYCLE_1)
	s_xor_b32 s3, exec_lo, s66
	s_cbranch_execz .LBB54_37
; %bb.36:                               ;   in Loop: Header=BB54_33 Depth=5
	s_delay_alu instid0(VALU_DEP_1) | instskip(SKIP_2) | instid1(VALU_DEP_2)
	v_ldexp_f64 v[12:13], v[12:13], v4
	v_cmp_o_f64_e32 vcc_lo, v[14:15], v[10:11]
	s_or_b32 s66, s64, s65
	v_cndmask_b32_e32 v4, 0, v12, vcc_lo
	s_delay_alu instid0(VALU_DEP_3) | instskip(NEXT) | instid1(VALU_DEP_2)
	v_cndmask_b32_e32 v7, 0x7ff80000, v13, vcc_lo
                                        ; implicit-def: $vgpr12_vgpr13
	v_cndmask_b32_e64 v18, v4, 0, s66
	s_delay_alu instid0(VALU_DEP_2)
	v_cndmask_b32_e64 v19, v7, 0x7ff00000, s66
                                        ; implicit-def: $vgpr4
.LBB54_37:                              ;   in Loop: Header=BB54_33 Depth=5
	s_and_not1_saveexec_b32 s3, s3
	s_cbranch_execz .LBB54_39
; %bb.38:                               ;   in Loop: Header=BB54_33 Depth=5
	v_ldexp_f64 v[12:13], -v[12:13], v4
	v_cmp_o_f64_e32 vcc_lo, v[10:11], v[10:11]
	s_or_b32 s64, s64, s65
	s_delay_alu instid0(VALU_DEP_2) | instskip(NEXT) | instid1(VALU_DEP_3)
	v_cndmask_b32_e32 v4, 0, v12, vcc_lo
	v_cndmask_b32_e32 v7, 0xfff80000, v13, vcc_lo
	s_delay_alu instid0(VALU_DEP_2) | instskip(NEXT) | instid1(VALU_DEP_2)
	v_cndmask_b32_e64 v18, v4, 0, s64
	v_cndmask_b32_e64 v19, v7, 0xfff00000, s64
.LBB54_39:                              ;   in Loop: Header=BB54_33 Depth=5
	s_or_b32 exec_lo, exec_lo, s3
	v_mov_b64_e32 v[16:17], 0
	v_mov_b64_e32 v[12:13], 1.0
	s_mov_b32 s3, exec_lo
	v_cmpx_neq_f64_e32 0, v[10:11]
	s_cbranch_execz .LBB54_30
; %bb.40:                               ;   in Loop: Header=BB54_33 Depth=5
	v_add_f64_e32 v[14:15], v[14:15], v[18:19]
	v_mov_b64_e32 v[12:13], 0
	v_mov_b64_e32 v[16:17], 1.0
	s_mov_b32 s64, exec_lo
	s_delay_alu instid0(VALU_DEP_3)
	v_cmpx_neq_f64_e32 0, v[14:15]
	s_cbranch_execz .LBB54_29
; %bb.41:                               ;   in Loop: Header=BB54_33 Depth=5
	v_cmp_ngt_f64_e64 s65, |v[10:11]|, |v[14:15]|
                                        ; implicit-def: $vgpr12_vgpr13
                                        ; implicit-def: $vgpr16_vgpr17
	s_and_saveexec_b32 s66, s65
	s_delay_alu instid0(SALU_CYCLE_1)
	s_xor_b32 s65, exec_lo, s66
	s_cbranch_execz .LBB54_43
; %bb.42:                               ;   in Loop: Header=BB54_33 Depth=5
	v_div_scale_f64 v[12:13], null, v[14:15], v[14:15], -v[10:11]
	v_div_scale_f64 v[32:33], vcc_lo, -v[10:11], v[14:15], -v[10:11]
	s_delay_alu instid0(VALU_DEP_2) | instskip(SKIP_1) | instid1(TRANS32_DEP_1)
	v_rcp_f64_e32 v[16:17], v[12:13]
	v_nop
	v_fma_f64 v[18:19], -v[12:13], v[16:17], 1.0
	s_delay_alu instid0(VALU_DEP_1) | instskip(NEXT) | instid1(VALU_DEP_1)
	v_fmac_f64_e32 v[16:17], v[16:17], v[18:19]
	v_fma_f64 v[18:19], -v[12:13], v[16:17], 1.0
	s_delay_alu instid0(VALU_DEP_1) | instskip(NEXT) | instid1(VALU_DEP_1)
	v_fmac_f64_e32 v[16:17], v[16:17], v[18:19]
	v_mul_f64_e32 v[18:19], v[32:33], v[16:17]
	s_delay_alu instid0(VALU_DEP_1) | instskip(NEXT) | instid1(VALU_DEP_1)
	v_fma_f64 v[12:13], -v[12:13], v[18:19], v[32:33]
	v_div_fmas_f64 v[12:13], v[12:13], v[16:17], v[18:19]
	s_delay_alu instid0(VALU_DEP_1) | instskip(NEXT) | instid1(VALU_DEP_1)
	v_div_fixup_f64 v[10:11], v[12:13], v[14:15], -v[10:11]
	v_fma_f64 v[12:13], v[10:11], v[10:11], 1.0
	s_delay_alu instid0(VALU_DEP_1) | instskip(SKIP_1) | instid1(VALU_DEP_1)
	v_cmp_gt_f64_e32 vcc_lo, 0x10000000, v[12:13]
	v_cndmask_b32_e64 v4, 0, 0x100, vcc_lo
	v_ldexp_f64 v[12:13], v[12:13], v4
	v_cndmask_b32_e64 v4, 0, 0xffffff80, vcc_lo
	s_delay_alu instid0(VALU_DEP_2) | instskip(SKIP_1) | instid1(TRANS32_DEP_1)
	v_rsq_f64_e32 v[14:15], v[12:13]
	v_cmp_class_f64_e64 vcc_lo, v[12:13], 0x260
	v_mul_f64_e32 v[16:17], v[12:13], v[14:15]
	v_mul_f64_e32 v[14:15], 0.5, v[14:15]
	s_delay_alu instid0(VALU_DEP_1) | instskip(NEXT) | instid1(VALU_DEP_1)
	v_fma_f64 v[18:19], -v[14:15], v[16:17], 0.5
	v_fmac_f64_e32 v[16:17], v[16:17], v[18:19]
	v_fmac_f64_e32 v[14:15], v[14:15], v[18:19]
	s_delay_alu instid0(VALU_DEP_2) | instskip(NEXT) | instid1(VALU_DEP_1)
	v_fma_f64 v[18:19], -v[16:17], v[16:17], v[12:13]
	v_fmac_f64_e32 v[16:17], v[18:19], v[14:15]
	s_delay_alu instid0(VALU_DEP_1) | instskip(NEXT) | instid1(VALU_DEP_1)
	v_fma_f64 v[18:19], -v[16:17], v[16:17], v[12:13]
	v_fmac_f64_e32 v[16:17], v[18:19], v[14:15]
	s_delay_alu instid0(VALU_DEP_1) | instskip(NEXT) | instid1(VALU_DEP_1)
	v_ldexp_f64 v[14:15], v[16:17], v4
	v_dual_cndmask_b32 v13, v15, v13 :: v_dual_cndmask_b32 v12, v14, v12
	s_delay_alu instid0(VALU_DEP_1) | instskip(NEXT) | instid1(VALU_DEP_1)
	v_div_scale_f64 v[14:15], null, v[12:13], v[12:13], 1.0
	v_rcp_f64_e32 v[16:17], v[14:15]
	v_nop
	s_delay_alu instid0(TRANS32_DEP_1) | instskip(NEXT) | instid1(VALU_DEP_1)
	v_fma_f64 v[18:19], -v[14:15], v[16:17], 1.0
	v_fmac_f64_e32 v[16:17], v[16:17], v[18:19]
	s_delay_alu instid0(VALU_DEP_1) | instskip(NEXT) | instid1(VALU_DEP_1)
	v_fma_f64 v[18:19], -v[14:15], v[16:17], 1.0
	v_fmac_f64_e32 v[16:17], v[16:17], v[18:19]
	v_div_scale_f64 v[18:19], vcc_lo, 1.0, v[12:13], 1.0
	s_delay_alu instid0(VALU_DEP_1) | instskip(NEXT) | instid1(VALU_DEP_1)
	v_mul_f64_e32 v[32:33], v[18:19], v[16:17]
	v_fma_f64 v[14:15], -v[14:15], v[32:33], v[18:19]
	s_delay_alu instid0(VALU_DEP_1) | instskip(NEXT) | instid1(VALU_DEP_1)
	v_div_fmas_f64 v[14:15], v[14:15], v[16:17], v[32:33]
	v_div_fixup_f64 v[12:13], v[14:15], v[12:13], 1.0
                                        ; implicit-def: $vgpr14_vgpr15
	s_delay_alu instid0(VALU_DEP_1)
	v_mul_f64_e32 v[16:17], v[10:11], v[12:13]
                                        ; implicit-def: $vgpr10_vgpr11
.LBB54_43:                              ;   in Loop: Header=BB54_33 Depth=5
	s_and_not1_saveexec_b32 s65, s65
	s_cbranch_execz .LBB54_28
; %bb.44:                               ;   in Loop: Header=BB54_33 Depth=5
	v_div_scale_f64 v[12:13], null, v[10:11], v[10:11], -v[14:15]
	v_div_scale_f64 v[32:33], vcc_lo, -v[14:15], v[10:11], -v[14:15]
	s_delay_alu instid0(VALU_DEP_2) | instskip(SKIP_1) | instid1(TRANS32_DEP_1)
	v_rcp_f64_e32 v[16:17], v[12:13]
	v_nop
	v_fma_f64 v[18:19], -v[12:13], v[16:17], 1.0
	s_delay_alu instid0(VALU_DEP_1) | instskip(NEXT) | instid1(VALU_DEP_1)
	v_fmac_f64_e32 v[16:17], v[16:17], v[18:19]
	v_fma_f64 v[18:19], -v[12:13], v[16:17], 1.0
	s_delay_alu instid0(VALU_DEP_1) | instskip(NEXT) | instid1(VALU_DEP_1)
	v_fmac_f64_e32 v[16:17], v[16:17], v[18:19]
	v_mul_f64_e32 v[18:19], v[32:33], v[16:17]
	s_delay_alu instid0(VALU_DEP_1) | instskip(NEXT) | instid1(VALU_DEP_1)
	v_fma_f64 v[12:13], -v[12:13], v[18:19], v[32:33]
	v_div_fmas_f64 v[12:13], v[12:13], v[16:17], v[18:19]
	s_delay_alu instid0(VALU_DEP_1) | instskip(NEXT) | instid1(VALU_DEP_1)
	v_div_fixup_f64 v[10:11], v[12:13], v[10:11], -v[14:15]
	v_fma_f64 v[12:13], v[10:11], v[10:11], 1.0
	s_delay_alu instid0(VALU_DEP_1) | instskip(SKIP_1) | instid1(VALU_DEP_1)
	v_cmp_gt_f64_e32 vcc_lo, 0x10000000, v[12:13]
	v_cndmask_b32_e64 v4, 0, 0x100, vcc_lo
	v_ldexp_f64 v[12:13], v[12:13], v4
	v_cndmask_b32_e64 v4, 0, 0xffffff80, vcc_lo
	s_delay_alu instid0(VALU_DEP_2) | instskip(SKIP_1) | instid1(TRANS32_DEP_1)
	v_rsq_f64_e32 v[14:15], v[12:13]
	v_cmp_class_f64_e64 vcc_lo, v[12:13], 0x260
	v_mul_f64_e32 v[16:17], v[12:13], v[14:15]
	v_mul_f64_e32 v[14:15], 0.5, v[14:15]
	s_delay_alu instid0(VALU_DEP_1) | instskip(NEXT) | instid1(VALU_DEP_1)
	v_fma_f64 v[18:19], -v[14:15], v[16:17], 0.5
	v_fmac_f64_e32 v[16:17], v[16:17], v[18:19]
	v_fmac_f64_e32 v[14:15], v[14:15], v[18:19]
	s_delay_alu instid0(VALU_DEP_2) | instskip(NEXT) | instid1(VALU_DEP_1)
	v_fma_f64 v[18:19], -v[16:17], v[16:17], v[12:13]
	v_fmac_f64_e32 v[16:17], v[18:19], v[14:15]
	s_delay_alu instid0(VALU_DEP_1) | instskip(NEXT) | instid1(VALU_DEP_1)
	v_fma_f64 v[18:19], -v[16:17], v[16:17], v[12:13]
	v_fmac_f64_e32 v[16:17], v[18:19], v[14:15]
	s_delay_alu instid0(VALU_DEP_1) | instskip(NEXT) | instid1(VALU_DEP_1)
	v_ldexp_f64 v[14:15], v[16:17], v4
	v_dual_cndmask_b32 v13, v15, v13 :: v_dual_cndmask_b32 v12, v14, v12
	s_delay_alu instid0(VALU_DEP_1) | instskip(NEXT) | instid1(VALU_DEP_1)
	v_div_scale_f64 v[14:15], null, v[12:13], v[12:13], 1.0
	v_rcp_f64_e32 v[16:17], v[14:15]
	v_nop
	s_delay_alu instid0(TRANS32_DEP_1) | instskip(NEXT) | instid1(VALU_DEP_1)
	v_fma_f64 v[18:19], -v[14:15], v[16:17], 1.0
	v_fmac_f64_e32 v[16:17], v[16:17], v[18:19]
	s_delay_alu instid0(VALU_DEP_1) | instskip(NEXT) | instid1(VALU_DEP_1)
	v_fma_f64 v[18:19], -v[14:15], v[16:17], 1.0
	v_fmac_f64_e32 v[16:17], v[16:17], v[18:19]
	v_div_scale_f64 v[18:19], vcc_lo, 1.0, v[12:13], 1.0
	s_delay_alu instid0(VALU_DEP_1) | instskip(NEXT) | instid1(VALU_DEP_1)
	v_mul_f64_e32 v[32:33], v[18:19], v[16:17]
	v_fma_f64 v[14:15], -v[14:15], v[32:33], v[18:19]
	s_delay_alu instid0(VALU_DEP_1) | instskip(NEXT) | instid1(VALU_DEP_1)
	v_div_fmas_f64 v[14:15], v[14:15], v[16:17], v[32:33]
	v_div_fixup_f64 v[16:17], v[14:15], v[12:13], 1.0
	s_delay_alu instid0(VALU_DEP_1)
	v_mul_f64_e32 v[12:13], v[10:11], v[16:17]
	s_branch .LBB54_28
.LBB54_45:                              ;   in Loop: Header=BB54_23 Depth=3
	s_or_b32 exec_lo, exec_lo, s57
	s_wait_dscnt 0x0
	s_barrier_signal -1
	s_barrier_wait -1
	s_and_saveexec_b32 s3, s0
	s_cbranch_execz .LBB54_58
; %bb.46:                               ;   in Loop: Header=BB54_23 Depth=3
	v_dual_mov_b32 v18, v25 :: v_dual_mov_b32 v19, v24
	v_mov_b32_e32 v30, v21
	s_mov_b32 s57, 0
	s_branch .LBB54_48
.LBB54_47:                              ;   in Loop: Header=BB54_48 Depth=4
	s_or_b32 exec_lo, exec_lo, s58
	v_dual_add_nc_u32 v30, s43, v30 :: v_dual_add_nc_u32 v19, s52, v19
	v_add_nc_u32_e32 v18, s52, v18
	s_delay_alu instid0(VALU_DEP_2) | instskip(SKIP_1) | instid1(SALU_CYCLE_1)
	v_cmp_le_u32_e32 vcc_lo, s20, v30
	s_or_b32 s57, vcc_lo, s57
	s_and_not1_b32 exec_lo, exec_lo, s57
	s_cbranch_execz .LBB54_58
.LBB54_48:                              ;   Parent Loop BB54_3 Depth=1
                                        ;     Parent Loop BB54_8 Depth=2
                                        ;       Parent Loop BB54_23 Depth=3
                                        ; =>      This Loop Header: Depth=4
                                        ;           Child Loop BB54_51 Depth 5
	s_and_saveexec_b32 s58, s1
	s_cbranch_execz .LBB54_47
; %bb.49:                               ;   in Loop: Header=BB54_48 Depth=4
	v_dual_add_nc_u32 v6, s20, v30 :: v_dual_add_nc_u32 v4, v30, v27
	v_dual_mov_b32 v9, v5 :: v_dual_add_nc_u32 v8, s55, v30
	v_mul_lo_u32 v31, v30, s28
	s_delay_alu instid0(VALU_DEP_3) | instskip(NEXT) | instid1(VALU_DEP_4)
	v_mul_lo_u32 v32, v6, s28
	v_lshlrev_b64_e32 v[6:7], 3, v[4:5]
	s_delay_alu instid0(VALU_DEP_4)
	v_cmp_gt_u32_e64 s2, s21, v8
	v_lshlrev_b64_e32 v[8:9], 3, v[8:9]
	v_dual_mov_b32 v33, v23 :: v_dual_mov_b32 v4, v29
	s_mov_b32 s59, 0
	s_mov_b32 s60, 0
	s_branch .LBB54_51
.LBB54_50:                              ;   in Loop: Header=BB54_51 Depth=5
	s_wait_xcnt 0x0
	s_or_b32 exec_lo, exec_lo, s61
	s_add_co_i32 s60, s60, s27
	v_add_nc_u32_e32 v4, s27, v4
	v_dual_add_nc_u32 v10, s60, v20 :: v_dual_add_nc_u32 v33, s53, v33
	s_delay_alu instid0(VALU_DEP_1) | instskip(SKIP_1) | instid1(SALU_CYCLE_1)
	v_cmp_le_u32_e32 vcc_lo, s20, v10
	s_or_b32 s59, vcc_lo, s59
	s_and_not1_b32 exec_lo, exec_lo, s59
	s_cbranch_execz .LBB54_47
.LBB54_51:                              ;   Parent Loop BB54_3 Depth=1
                                        ;     Parent Loop BB54_8 Depth=2
                                        ;       Parent Loop BB54_23 Depth=3
                                        ;         Parent Loop BB54_48 Depth=4
                                        ; =>        This Inner Loop Header: Depth=5
	s_delay_alu instid0(VALU_DEP_1) | instskip(SKIP_2) | instid1(VALU_DEP_2)
	v_mul_u64_e32 v[10:11], s[18:19], v[4:5]
	s_mov_b32 s61, exec_lo
	v_add_nc_u32_e32 v14, s60, v28
	v_mul_lo_u32 v10, s20, v11
	v_not_b32_e32 v11, v11
	v_add_nc_u32_e32 v12, s60, v20
	s_delay_alu instid0(VALU_DEP_2) | instskip(NEXT) | instid1(VALU_DEP_4)
	v_mul_lo_u32 v11, s20, v11
	v_sub_nc_u32_e32 v10, s56, v10
	s_delay_alu instid0(VALU_DEP_1) | instskip(NEXT) | instid1(VALU_DEP_3)
	v_add_nc_u32_e32 v10, v12, v10
	v_add3_u32 v11, s56, v11, v12
	s_delay_alu instid0(VALU_DEP_2) | instskip(NEXT) | instid1(VALU_DEP_2)
	v_cmp_le_u32_e32 vcc_lo, s20, v10
	v_cndmask_b32_e32 v10, v10, v11, vcc_lo
	s_delay_alu instid0(VALU_DEP_1) | instskip(SKIP_1) | instid1(VALU_DEP_2)
	v_subrev_nc_u32_e32 v11, s20, v10
	v_cmp_le_u32_e32 vcc_lo, s20, v10
	v_cndmask_b32_e32 v15, v10, v11, vcc_lo
	s_delay_alu instid0(VALU_DEP_1) | instskip(NEXT) | instid1(VALU_DEP_1)
	v_add_nc_u32_e32 v16, s55, v15
	v_max_u32_e32 v10, v14, v16
	s_delay_alu instid0(VALU_DEP_1)
	v_cmpx_gt_u32_e64 s21, v10
	s_cbranch_execz .LBB54_50
; %bb.52:                               ;   in Loop: Header=BB54_51 Depth=5
	v_add_nc_u32_e32 v12, s44, v33
	s_and_not1_b32 vcc_lo, exec_lo, s24
	ds_load_b64 v[10:11], v33
	ds_load_b64 v[12:13], v12
	s_cbranch_vccnz .LBB54_56
; %bb.53:                               ;   in Loop: Header=BB54_51 Depth=5
	v_add_nc_u32_e32 v15, s20, v15
	v_add_nc_u32_e32 v42, s60, v19
	s_delay_alu instid0(VALU_DEP_2)
	v_add_nc_u32_e32 v17, v15, v31
	s_clause 0x1
	flat_load_b64 v[34:35], v17, s[36:37] scale_offset
	flat_load_b64 v[36:37], v42, s[36:37] scale_offset
	s_wait_loadcnt_dscnt 0x101
	v_mul_f64_e32 v[38:39], v[12:13], v[34:35]
	s_wait_loadcnt_dscnt 0x0
	v_mul_f64_e32 v[40:41], v[12:13], v[36:37]
	s_delay_alu instid0(VALU_DEP_2) | instskip(NEXT) | instid1(VALU_DEP_2)
	v_fmac_f64_e32 v[38:39], v[10:11], v[36:37]
	v_fma_f64 v[34:35], v[10:11], v[34:35], -v[40:41]
	s_clause 0x1
	flat_store_b64 v42, v[38:39], s[36:37] scale_offset
	flat_store_b64 v17, v[34:35], s[36:37] scale_offset
	s_wait_xcnt 0x0
	s_and_saveexec_b32 s62, s2
	s_cbranch_execz .LBB54_55
; %bb.54:                               ;   in Loop: Header=BB54_51 Depth=5
	v_dual_add_nc_u32 v15, v15, v32 :: v_dual_add_nc_u32 v17, s60, v18
	s_clause 0x1
	flat_load_b64 v[34:35], v15, s[36:37] scale_offset
	flat_load_b64 v[36:37], v17, s[36:37] scale_offset
	s_wait_loadcnt_dscnt 0x101
	v_mul_f64_e32 v[38:39], v[12:13], v[34:35]
	s_wait_loadcnt_dscnt 0x0
	v_mul_f64_e32 v[40:41], v[12:13], v[36:37]
	s_delay_alu instid0(VALU_DEP_2) | instskip(NEXT) | instid1(VALU_DEP_2)
	v_fmac_f64_e32 v[38:39], v[10:11], v[36:37]
	v_fma_f64 v[34:35], v[10:11], v[34:35], -v[40:41]
	s_clause 0x1
	flat_store_b64 v17, v[38:39], s[36:37] scale_offset
	flat_store_b64 v15, v[34:35], s[36:37] scale_offset
.LBB54_55:                              ;   in Loop: Header=BB54_51 Depth=5
	s_wait_xcnt 0x0
	s_or_b32 exec_lo, exec_lo, s62
.LBB54_56:                              ;   in Loop: Header=BB54_51 Depth=5
	v_dual_mov_b32 v17, v5 :: v_dual_mov_b32 v15, v5
	s_delay_alu instid0(VALU_DEP_1) | instskip(NEXT) | instid1(VALU_DEP_2)
	v_mul_u64_e32 v[16:17], s[6:7], v[16:17]
	v_mul_u64_e32 v[14:15], s[6:7], v[14:15]
	s_delay_alu instid0(VALU_DEP_2) | instskip(NEXT) | instid1(VALU_DEP_2)
	v_lshl_add_u64 v[16:17], v[16:17], 3, s[30:31]
	v_lshl_add_u64 v[14:15], v[14:15], 3, s[30:31]
	s_delay_alu instid0(VALU_DEP_2) | instskip(NEXT) | instid1(VALU_DEP_2)
	v_add_nc_u64_e32 v[34:35], v[16:17], v[6:7]
	v_add_nc_u64_e32 v[36:37], v[14:15], v[6:7]
	s_clause 0x1
	global_load_b64 v[38:39], v[34:35], off
	global_load_b64 v[40:41], v[36:37], off
	s_wait_loadcnt_dscnt 0x100
	v_mul_f64_e32 v[42:43], v[12:13], v[38:39]
	s_wait_loadcnt 0x0
	v_mul_f64_e32 v[44:45], v[12:13], v[40:41]
	s_delay_alu instid0(VALU_DEP_2) | instskip(NEXT) | instid1(VALU_DEP_2)
	v_fmac_f64_e32 v[42:43], v[10:11], v[40:41]
	v_fma_f64 v[38:39], v[10:11], v[38:39], -v[44:45]
	s_clause 0x1
	global_store_b64 v[36:37], v[42:43], off
	global_store_b64 v[34:35], v[38:39], off
	s_wait_xcnt 0x0
	s_and_b32 exec_lo, exec_lo, s2
	s_cbranch_execz .LBB54_50
; %bb.57:                               ;   in Loop: Header=BB54_51 Depth=5
	v_add_nc_u64_e32 v[16:17], v[16:17], v[8:9]
	v_add_nc_u64_e32 v[14:15], v[14:15], v[8:9]
	s_clause 0x1
	global_load_b64 v[34:35], v[16:17], off
	global_load_b64 v[36:37], v[14:15], off
	s_wait_loadcnt 0x1
	v_mul_f64_e32 v[38:39], v[12:13], v[34:35]
	s_wait_loadcnt 0x0
	v_mul_f64_e32 v[12:13], v[12:13], v[36:37]
	s_delay_alu instid0(VALU_DEP_2) | instskip(NEXT) | instid1(VALU_DEP_2)
	v_fmac_f64_e32 v[38:39], v[10:11], v[36:37]
	v_fma_f64 v[10:11], v[10:11], v[34:35], -v[12:13]
	s_clause 0x1
	global_store_b64 v[14:15], v[38:39], off
	global_store_b64 v[16:17], v[10:11], off
	s_branch .LBB54_50
.LBB54_58:                              ;   in Loop: Header=BB54_23 Depth=3
	s_or_b32 exec_lo, exec_lo, s3
	s_wait_storecnt 0x0
	s_barrier_signal -1
	s_barrier_wait -1
	s_and_saveexec_b32 s3, s0
	s_cbranch_execz .LBB54_67
; %bb.59:                               ;   in Loop: Header=BB54_23 Depth=3
	v_mov_b32_e32 v18, v21
	s_mov_b32 s57, 0
	s_branch .LBB54_61
.LBB54_60:                              ;   in Loop: Header=BB54_61 Depth=4
	s_or_b32 exec_lo, exec_lo, s58
	v_add_nc_u32_e32 v18, s43, v18
	s_delay_alu instid0(VALU_DEP_1) | instskip(SKIP_1) | instid1(SALU_CYCLE_1)
	v_cmp_le_u32_e32 vcc_lo, s20, v18
	s_or_b32 s57, vcc_lo, s57
	s_and_not1_b32 exec_lo, exec_lo, s57
	s_cbranch_execz .LBB54_67
.LBB54_61:                              ;   Parent Loop BB54_3 Depth=1
                                        ;     Parent Loop BB54_8 Depth=2
                                        ;       Parent Loop BB54_23 Depth=3
                                        ; =>      This Loop Header: Depth=4
                                        ;           Child Loop BB54_64 Depth 5
	s_and_saveexec_b32 s58, s1
	s_cbranch_execz .LBB54_60
; %bb.62:                               ;   in Loop: Header=BB54_61 Depth=4
	v_dual_add_nc_u32 v6, s55, v18 :: v_dual_add_nc_u32 v4, v18, v27
	v_dual_mov_b32 v7, v5 :: v_dual_mov_b32 v19, v23
	s_mov_b32 s59, 0
	s_delay_alu instid0(VALU_DEP_2) | instskip(NEXT) | instid1(VALU_DEP_3)
	v_cmp_gt_u32_e32 vcc_lo, s21, v6
	v_mul_u64_e32 v[8:9], s[6:7], v[4:5]
	s_delay_alu instid0(VALU_DEP_3) | instskip(SKIP_1) | instid1(VALU_DEP_2)
	v_mul_u64_e32 v[10:11], s[6:7], v[6:7]
	s_mov_b32 s60, 0
	v_lshl_add_u64 v[6:7], v[8:9], 3, s[30:31]
	s_delay_alu instid0(VALU_DEP_2)
	v_lshl_add_u64 v[8:9], v[10:11], 3, s[30:31]
	v_mov_b32_e32 v10, v29
	s_branch .LBB54_64
.LBB54_63:                              ;   in Loop: Header=BB54_64 Depth=5
	s_wait_xcnt 0x0
	s_or_b32 exec_lo, exec_lo, s61
	s_add_co_i32 s60, s60, s27
	s_delay_alu instid0(SALU_CYCLE_1) | instskip(SKIP_1) | instid1(VALU_DEP_2)
	v_dual_add_nc_u32 v19, s53, v19 :: v_dual_add_nc_u32 v4, s60, v20
	v_add_nc_u32_e32 v10, s27, v10
	v_cmp_le_u32_e64 s2, s20, v4
	s_or_b32 s59, s2, s59
	s_delay_alu instid0(SALU_CYCLE_1)
	s_and_not1_b32 exec_lo, exec_lo, s59
	s_cbranch_execz .LBB54_60
.LBB54_64:                              ;   Parent Loop BB54_3 Depth=1
                                        ;     Parent Loop BB54_8 Depth=2
                                        ;       Parent Loop BB54_23 Depth=3
                                        ;         Parent Loop BB54_61 Depth=4
                                        ; =>        This Inner Loop Header: Depth=5
	v_mov_b32_e32 v11, v5
	s_mov_b32 s61, exec_lo
	s_delay_alu instid0(VALU_DEP_1) | instskip(SKIP_1) | instid1(VALU_DEP_2)
	v_mul_u64_e32 v[12:13], s[18:19], v[10:11]
	v_add_nc_u32_e32 v12, s60, v20
	v_mul_lo_u32 v4, s20, v13
	v_not_b32_e32 v11, v13
	s_delay_alu instid0(VALU_DEP_1) | instskip(NEXT) | instid1(VALU_DEP_3)
	v_mul_lo_u32 v11, s20, v11
	v_sub_nc_u32_e32 v4, s56, v4
	s_delay_alu instid0(VALU_DEP_1) | instskip(NEXT) | instid1(VALU_DEP_3)
	v_add_nc_u32_e32 v4, v12, v4
	v_add3_u32 v11, s56, v11, v12
	s_delay_alu instid0(VALU_DEP_2) | instskip(NEXT) | instid1(VALU_DEP_1)
	v_cmp_le_u32_e64 s2, s20, v4
	v_cndmask_b32_e64 v4, v4, v11, s2
	s_delay_alu instid0(VALU_DEP_1) | instskip(SKIP_1) | instid1(VALU_DEP_1)
	v_subrev_nc_u32_e32 v11, s20, v4
	v_cmp_le_u32_e64 s2, s20, v4
	v_dual_cndmask_b32 v11, v4, v11, s2 :: v_dual_add_nc_u32 v4, s60, v28
	s_delay_alu instid0(VALU_DEP_1) | instskip(NEXT) | instid1(VALU_DEP_1)
	v_add_nc_u32_e32 v12, s55, v11
	v_max_u32_e32 v11, v4, v12
	s_delay_alu instid0(VALU_DEP_1)
	v_cmpx_gt_u32_e64 s21, v11
	s_cbranch_execz .LBB54_63
; %bb.65:                               ;   in Loop: Header=BB54_64 Depth=5
	v_dual_mov_b32 v13, v5 :: v_dual_add_nc_u32 v11, s44, v19
	v_lshl_add_u64 v[32:33], v[4:5], 3, v[6:7]
	s_delay_alu instid0(VALU_DEP_2)
	v_lshl_add_u64 v[30:31], v[12:13], 3, v[6:7]
	s_clause 0x1
	global_load_b64 v[34:35], v[30:31], off
	global_load_b64 v[36:37], v[32:33], off
	ds_load_b64 v[14:15], v11
	ds_load_b64 v[16:17], v19
	s_wait_loadcnt_dscnt 0x101
	v_mul_f64_e32 v[38:39], v[14:15], v[34:35]
	s_wait_loadcnt 0x0
	v_mul_f64_e32 v[40:41], v[14:15], v[36:37]
	s_wait_dscnt 0x0
	s_delay_alu instid0(VALU_DEP_2) | instskip(NEXT) | instid1(VALU_DEP_2)
	v_fmac_f64_e32 v[38:39], v[16:17], v[36:37]
	v_fma_f64 v[34:35], v[16:17], v[34:35], -v[40:41]
	s_clause 0x1
	global_store_b64 v[32:33], v[38:39], off
	global_store_b64 v[30:31], v[34:35], off
	s_wait_xcnt 0x0
	s_and_b32 exec_lo, exec_lo, vcc_lo
	s_cbranch_execz .LBB54_63
; %bb.66:                               ;   in Loop: Header=BB54_64 Depth=5
	v_lshl_add_u64 v[12:13], v[12:13], 3, v[8:9]
	v_lshl_add_u64 v[30:31], v[4:5], 3, v[8:9]
	s_clause 0x1
	global_load_b64 v[32:33], v[12:13], off
	global_load_b64 v[34:35], v[30:31], off
	s_wait_loadcnt 0x1
	v_mul_f64_e32 v[36:37], v[14:15], v[32:33]
	s_wait_loadcnt 0x0
	v_mul_f64_e32 v[14:15], v[14:15], v[34:35]
	s_delay_alu instid0(VALU_DEP_2) | instskip(NEXT) | instid1(VALU_DEP_2)
	v_fmac_f64_e32 v[36:37], v[16:17], v[34:35]
	v_fma_f64 v[14:15], v[16:17], v[32:33], -v[14:15]
	s_clause 0x1
	global_store_b64 v[30:31], v[36:37], off
	global_store_b64 v[12:13], v[14:15], off
	s_branch .LBB54_63
.LBB54_67:                              ;   in Loop: Header=BB54_23 Depth=3
	s_or_b32 exec_lo, exec_lo, s3
	s_wait_storecnt 0x0
	s_barrier_signal -1
	s_barrier_wait -1
	s_and_saveexec_b32 s3, s0
	s_cbranch_execz .LBB54_22
; %bb.68:                               ;   in Loop: Header=BB54_23 Depth=3
	v_mov_b32_e32 v8, v21
	s_mov_b32 s57, 0
	s_branch .LBB54_70
.LBB54_69:                              ;   in Loop: Header=BB54_70 Depth=4
	s_or_b32 exec_lo, exec_lo, s58
	v_add_nc_u32_e32 v8, s43, v8
	s_delay_alu instid0(VALU_DEP_1) | instskip(SKIP_1) | instid1(SALU_CYCLE_1)
	v_cmp_le_u32_e32 vcc_lo, s20, v8
	s_or_b32 s57, vcc_lo, s57
	s_and_not1_b32 exec_lo, exec_lo, s57
	s_cbranch_execz .LBB54_22
.LBB54_70:                              ;   Parent Loop BB54_3 Depth=1
                                        ;     Parent Loop BB54_8 Depth=2
                                        ;       Parent Loop BB54_23 Depth=3
                                        ; =>      This Loop Header: Depth=4
                                        ;           Child Loop BB54_73 Depth 5
	s_and_saveexec_b32 s58, s1
	s_cbranch_execz .LBB54_69
; %bb.71:                               ;   in Loop: Header=BB54_70 Depth=4
	v_dual_mov_b32 v4, v29 :: v_dual_mov_b32 v9, v20
	s_mov_b32 s59, 0
	v_cmp_eq_u32_e32 vcc_lo, 0, v8
	s_branch .LBB54_73
.LBB54_72:                              ;   in Loop: Header=BB54_73 Depth=5
	s_wait_xcnt 0x0
	s_or_b32 exec_lo, exec_lo, s2
	v_dual_add_nc_u32 v9, s27, v9 :: v_dual_add_nc_u32 v4, s27, v4
	s_delay_alu instid0(VALU_DEP_1) | instskip(SKIP_1) | instid1(SALU_CYCLE_1)
	v_cmp_le_u32_e64 s2, s20, v9
	s_or_b32 s59, s2, s59
	s_and_not1_b32 exec_lo, exec_lo, s59
	s_cbranch_execz .LBB54_69
.LBB54_73:                              ;   Parent Loop BB54_3 Depth=1
                                        ;     Parent Loop BB54_8 Depth=2
                                        ;       Parent Loop BB54_23 Depth=3
                                        ;         Parent Loop BB54_70 Depth=4
                                        ; =>        This Inner Loop Header: Depth=5
	s_delay_alu instid0(VALU_DEP_2) | instskip(SKIP_1) | instid1(VALU_DEP_2)
	v_mul_u64_e32 v[6:7], s[18:19], v[4:5]
	v_add_nc_u32_e32 v6, s56, v9
	v_not_b32_e32 v10, v7
	s_delay_alu instid0(VALU_DEP_2) | instskip(NEXT) | instid1(VALU_DEP_2)
	v_mad_u32 v7, s51, v7, v6
	v_mad_u32 v6, s20, v10, v6
	s_delay_alu instid0(VALU_DEP_2) | instskip(NEXT) | instid1(VALU_DEP_1)
	v_cmp_le_u32_e64 s2, s20, v7
	v_cndmask_b32_e64 v6, v7, v6, s2
	s_delay_alu instid0(VALU_DEP_1) | instskip(SKIP_1) | instid1(VALU_DEP_1)
	v_subrev_nc_u32_e32 v7, s20, v6
	v_cmp_le_u32_e64 s2, s20, v6
	v_cndmask_b32_e64 v6, v6, v7, s2
	s_delay_alu instid0(VALU_DEP_1) | instskip(NEXT) | instid1(VALU_DEP_1)
	v_add_nc_u32_e32 v6, s55, v6
	v_cmp_gt_u32_e64 s2, s21, v6
	s_and_b32 s60, vcc_lo, s2
	s_delay_alu instid0(SALU_CYCLE_1)
	s_and_saveexec_b32 s2, s60
	s_cbranch_execz .LBB54_72
; %bb.74:                               ;   in Loop: Header=BB54_73 Depth=5
	v_dual_mov_b32 v7, v5 :: v_dual_add_nc_u32 v10, v27, v9
	v_mov_b32_e32 v11, v5
	s_delay_alu instid0(VALU_DEP_2) | instskip(NEXT) | instid1(VALU_DEP_2)
	v_mul_u64_e32 v[12:13], s[6:7], v[6:7]
	v_mul_u64_e32 v[14:15], s[6:7], v[10:11]
	s_delay_alu instid0(VALU_DEP_2) | instskip(NEXT) | instid1(VALU_DEP_2)
	v_lshl_add_u64 v[12:13], v[12:13], 3, s[30:31]
	v_lshl_add_u64 v[14:15], v[14:15], 3, s[30:31]
	s_delay_alu instid0(VALU_DEP_2) | instskip(NEXT) | instid1(VALU_DEP_2)
	v_lshl_add_u64 v[10:11], v[10:11], 3, v[12:13]
	v_lshl_add_u64 v[6:7], v[6:7], 3, v[14:15]
	s_clause 0x1
	global_store_b64 v[10:11], v[2:3], off
	global_store_b64 v[6:7], v[2:3], off
	s_branch .LBB54_72
.LBB54_75:                              ;   in Loop: Header=BB54_8 Depth=2
	s_and_b32 s2, s24, s48
	s_delay_alu instid0(SALU_CYCLE_1)
	s_and_b32 vcc_lo, exec_lo, s2
	s_cbranch_vccz .LBB54_7
; %bb.76:                               ;   in Loop: Header=BB54_8 Depth=2
	s_mov_b32 s3, exec_lo
	s_wait_storecnt 0x0
	s_barrier_signal -1
	s_barrier_wait -1
	s_wait_xcnt 0x0
	v_cmpx_lt_u32_e64 v21, v26
	s_cbranch_execz .LBB54_6
; %bb.77:                               ;   in Loop: Header=BB54_8 Depth=2
	v_dual_mov_b32 v4, v22 :: v_dual_mov_b32 v6, v21
	s_mov_b32 s24, 0
	v_cmp_lt_u32_e32 vcc_lo, v20, v26
	s_branch .LBB54_79
.LBB54_78:                              ;   in Loop: Header=BB54_79 Depth=3
	s_or_b32 exec_lo, exec_lo, s55
	v_dual_add_nc_u32 v6, s43, v6 :: v_dual_add_nc_u32 v4, s52, v4
	s_delay_alu instid0(VALU_DEP_1) | instskip(SKIP_1) | instid1(SALU_CYCLE_1)
	v_cmp_ge_u32_e64 s2, v6, v26
	s_or_b32 s24, s2, s24
	s_and_not1_b32 exec_lo, exec_lo, s24
	s_cbranch_execz .LBB54_6
.LBB54_79:                              ;   Parent Loop BB54_3 Depth=1
                                        ;     Parent Loop BB54_8 Depth=2
                                        ; =>    This Loop Header: Depth=3
                                        ;         Child Loop BB54_81 Depth 4
	s_and_saveexec_b32 s55, vcc_lo
	s_cbranch_execz .LBB54_78
; %bb.80:                               ;   in Loop: Header=BB54_79 Depth=3
	v_mov_b32_e32 v7, v20
	s_mov_b32 s56, 0
.LBB54_81:                              ;   Parent Loop BB54_3 Depth=1
                                        ;     Parent Loop BB54_8 Depth=2
                                        ;       Parent Loop BB54_79 Depth=3
                                        ; =>      This Inner Loop Header: Depth=4
	s_delay_alu instid0(VALU_DEP_1)
	v_dual_add_nc_u32 v10, v4, v7 :: v_dual_add_nc_u32 v7, s27, v7
	flat_load_b64 v[8:9], v10, s[36:37] scale_offset
	v_cmp_ge_u32_e64 s2, v7, v26
	s_or_b32 s56, s2, s56
	s_wait_loadcnt_dscnt 0x0
	global_store_b64 v10, v[8:9], s[34:35] scale_offset
	s_wait_xcnt 0x0
	s_and_not1_b32 exec_lo, exec_lo, s56
	s_cbranch_execnz .LBB54_81
	s_branch .LBB54_78
.LBB54_82:
	s_endpgm
	.section	.rodata,"a",@progbits
	.p2align	6, 0x0
	.amdhsa_kernel _ZN9rocsolver6v33100L17syevj_offd_kernelIddPdEEviiT1_iilT0_PT_PiS7_S7_i
		.amdhsa_group_segment_fixed_size 0
		.amdhsa_private_segment_fixed_size 0
		.amdhsa_kernarg_size 336
		.amdhsa_user_sgpr_count 2
		.amdhsa_user_sgpr_dispatch_ptr 0
		.amdhsa_user_sgpr_queue_ptr 0
		.amdhsa_user_sgpr_kernarg_segment_ptr 1
		.amdhsa_user_sgpr_dispatch_id 0
		.amdhsa_user_sgpr_kernarg_preload_length 0
		.amdhsa_user_sgpr_kernarg_preload_offset 0
		.amdhsa_user_sgpr_private_segment_size 0
		.amdhsa_wavefront_size32 1
		.amdhsa_uses_dynamic_stack 0
		.amdhsa_enable_private_segment 0
		.amdhsa_system_sgpr_workgroup_id_x 1
		.amdhsa_system_sgpr_workgroup_id_y 0
		.amdhsa_system_sgpr_workgroup_id_z 1
		.amdhsa_system_sgpr_workgroup_info 0
		.amdhsa_system_vgpr_workitem_id 1
		.amdhsa_next_free_vgpr 46
		.amdhsa_next_free_sgpr 67
		.amdhsa_named_barrier_count 0
		.amdhsa_reserve_vcc 1
		.amdhsa_float_round_mode_32 0
		.amdhsa_float_round_mode_16_64 0
		.amdhsa_float_denorm_mode_32 3
		.amdhsa_float_denorm_mode_16_64 3
		.amdhsa_fp16_overflow 0
		.amdhsa_memory_ordered 1
		.amdhsa_forward_progress 1
		.amdhsa_inst_pref_size 40
		.amdhsa_round_robin_scheduling 0
		.amdhsa_exception_fp_ieee_invalid_op 0
		.amdhsa_exception_fp_denorm_src 0
		.amdhsa_exception_fp_ieee_div_zero 0
		.amdhsa_exception_fp_ieee_overflow 0
		.amdhsa_exception_fp_ieee_underflow 0
		.amdhsa_exception_fp_ieee_inexact 0
		.amdhsa_exception_int_div_zero 0
	.end_amdhsa_kernel
	.section	.text._ZN9rocsolver6v33100L17syevj_offd_kernelIddPdEEviiT1_iilT0_PT_PiS7_S7_i,"axG",@progbits,_ZN9rocsolver6v33100L17syevj_offd_kernelIddPdEEviiT1_iilT0_PT_PiS7_S7_i,comdat
.Lfunc_end54:
	.size	_ZN9rocsolver6v33100L17syevj_offd_kernelIddPdEEviiT1_iilT0_PT_PiS7_S7_i, .Lfunc_end54-_ZN9rocsolver6v33100L17syevj_offd_kernelIddPdEEviiT1_iilT0_PT_PiS7_S7_i
                                        ; -- End function
	.set _ZN9rocsolver6v33100L17syevj_offd_kernelIddPdEEviiT1_iilT0_PT_PiS7_S7_i.num_vgpr, 46
	.set _ZN9rocsolver6v33100L17syevj_offd_kernelIddPdEEviiT1_iilT0_PT_PiS7_S7_i.num_agpr, 0
	.set _ZN9rocsolver6v33100L17syevj_offd_kernelIddPdEEviiT1_iilT0_PT_PiS7_S7_i.numbered_sgpr, 67
	.set _ZN9rocsolver6v33100L17syevj_offd_kernelIddPdEEviiT1_iilT0_PT_PiS7_S7_i.num_named_barrier, 0
	.set _ZN9rocsolver6v33100L17syevj_offd_kernelIddPdEEviiT1_iilT0_PT_PiS7_S7_i.private_seg_size, 0
	.set _ZN9rocsolver6v33100L17syevj_offd_kernelIddPdEEviiT1_iilT0_PT_PiS7_S7_i.uses_vcc, 1
	.set _ZN9rocsolver6v33100L17syevj_offd_kernelIddPdEEviiT1_iilT0_PT_PiS7_S7_i.uses_flat_scratch, 1
	.set _ZN9rocsolver6v33100L17syevj_offd_kernelIddPdEEviiT1_iilT0_PT_PiS7_S7_i.has_dyn_sized_stack, 0
	.set _ZN9rocsolver6v33100L17syevj_offd_kernelIddPdEEviiT1_iilT0_PT_PiS7_S7_i.has_recursion, 0
	.set _ZN9rocsolver6v33100L17syevj_offd_kernelIddPdEEviiT1_iilT0_PT_PiS7_S7_i.has_indirect_call, 0
	.section	.AMDGPU.csdata,"",@progbits
; Kernel info:
; codeLenInByte = 5008
; TotalNumSgprs: 69
; NumVgprs: 46
; ScratchSize: 0
; MemoryBound: 0
; FloatMode: 240
; IeeeMode: 1
; LDSByteSize: 0 bytes/workgroup (compile time only)
; SGPRBlocks: 0
; VGPRBlocks: 2
; NumSGPRsForWavesPerEU: 69
; NumVGPRsForWavesPerEU: 46
; NamedBarCnt: 0
; Occupancy: 16
; WaveLimiterHint : 1
; COMPUTE_PGM_RSRC2:SCRATCH_EN: 0
; COMPUTE_PGM_RSRC2:USER_SGPR: 2
; COMPUTE_PGM_RSRC2:TRAP_HANDLER: 0
; COMPUTE_PGM_RSRC2:TGID_X_EN: 1
; COMPUTE_PGM_RSRC2:TGID_Y_EN: 0
; COMPUTE_PGM_RSRC2:TGID_Z_EN: 1
; COMPUTE_PGM_RSRC2:TIDIG_COMP_CNT: 1
	.section	.text._ZN9rocsolver6v33100L21syevj_offd_rotate_orgILb0EddPdEEvbiiT2_iilPT0_PiS6_S6_,"axG",@progbits,_ZN9rocsolver6v33100L21syevj_offd_rotate_orgILb0EddPdEEvbiiT2_iilPT0_PiS6_S6_,comdat
	.globl	_ZN9rocsolver6v33100L21syevj_offd_rotate_orgILb0EddPdEEvbiiT2_iilPT0_PiS6_S6_ ; -- Begin function _ZN9rocsolver6v33100L21syevj_offd_rotate_orgILb0EddPdEEvbiiT2_iilPT0_PiS6_S6_
	.p2align	8
	.type	_ZN9rocsolver6v33100L21syevj_offd_rotate_orgILb0EddPdEEvbiiT2_iilPT0_PiS6_S6_,@function
_ZN9rocsolver6v33100L21syevj_offd_rotate_orgILb0EddPdEEvbiiT2_iilPT0_PiS6_S6_: ; @_ZN9rocsolver6v33100L21syevj_offd_rotate_orgILb0EddPdEEvbiiT2_iilPT0_PiS6_S6_
; %bb.0:
	s_load_b64 s[4:5], s[0:1], 0x40
	s_bfe_u32 s2, ttmp6, 0x40014
	s_lshr_b32 s3, ttmp7, 16
	s_add_co_i32 s2, s2, 1
	s_bfe_u32 s6, ttmp6, 0x40008
	s_mul_i32 s2, s3, s2
	s_getreg_b32 s18, hwreg(HW_REG_IB_STS2, 6, 4)
	s_add_co_i32 s6, s6, s2
	s_cmp_eq_u32 s18, 0
	s_cselect_b32 s2, s3, s6
	s_wait_kmcnt 0x0
	s_load_b32 s3, s[4:5], s2 offset:0x4 scale_offset
	s_wait_kmcnt 0x0
	s_cmp_lg_u32 s3, 0
	s_mov_b32 s3, 0
	s_cbranch_scc0 .LBB55_2
.LBB55_1:
	s_endpgm
.LBB55_2:
	s_load_b256 s[4:11], s[0:1], 0x20
	s_bfe_u32 s12, ttmp6, 0x4000c
	s_and_b32 s13, ttmp6, 15
	s_add_co_i32 s12, s12, 1
	s_delay_alu instid0(SALU_CYCLE_1) | instskip(NEXT) | instid1(SALU_CYCLE_1)
	s_mul_i32 s12, ttmp9, s12
	s_add_co_i32 s13, s13, s12
	s_cmp_eq_u32 s18, 0
	s_cselect_b32 s16, ttmp9, s13
	s_delay_alu instid0(SALU_CYCLE_1) | instskip(NEXT) | instid1(SALU_CYCLE_1)
	s_ashr_i32 s17, s16, 31
	s_lshl_b64 s[12:13], s[16:17], 2
	s_wait_kmcnt 0x0
	s_add_nc_u64 s[20:21], s[8:9], s[12:13]
	s_add_nc_u64 s[10:11], s[10:11], s[12:13]
	s_load_b32 s8, s[20:21], 0x0
	s_load_b32 s9, s[10:11], 0x0
	s_load_b96 s[12:14], s[0:1], 0x0
	s_wait_kmcnt 0x0
	s_max_i32 s15, s8, s9
	s_delay_alu instid0(SALU_CYCLE_1)
	s_cmp_ge_i32 s15, s13
	s_cbranch_scc1 .LBB55_1
; %bb.3:
	s_bitcmp1_b32 s12, 0
	s_cselect_b32 s10, -1, 0
	s_bfe_u32 s11, ttmp6, 0x40010
	s_and_b32 s12, ttmp7, 0xffff
	s_add_co_i32 s11, s11, 1
	s_bfe_u32 s13, ttmp6, 0x40004
	s_mul_i32 s11, s12, s11
	s_xor_b32 s10, s10, -1
	s_add_co_i32 s13, s13, s11
	s_cmp_eq_u32 s18, 0
	s_cselect_b32 s13, s12, s13
	s_and_b32 vcc_lo, exec_lo, s10
	s_min_i32 s18, s8, s9
	s_cbranch_vccnz .LBB55_5
; %bb.4:
	s_lshr_b32 s8, s13, 1
	s_delay_alu instid0(SALU_CYCLE_1) | instskip(SKIP_3) | instid1(SALU_CYCLE_1)
	s_cmp_lg_u32 s8, s18
	s_cselect_b32 s9, -1, 0
	s_cmp_lg_u32 s8, s15
	s_cselect_b32 s8, -1, 0
	s_and_b32 s10, s9, s8
.LBB55_5:
	s_delay_alu instid0(SALU_CYCLE_1)
	s_and_not1_b32 vcc_lo, exec_lo, s10
	s_cbranch_vccnz .LBB55_1
; %bb.6:
	s_add_nc_u64 s[8:9], s[0:1], 0x48
	v_and_b32_e32 v4, 0x3ff, v0
	s_load_b32 s19, s[8:9], 0xc
	v_bfe_u32 v5, v0, 10, 10
	s_wait_kmcnt 0x0
	s_bfe_u32 s12, s19, 0xf0001
	s_delay_alu instid0(SALU_CYCLE_1) | instskip(SKIP_3) | instid1(SALU_CYCLE_1)
	s_mul_i32 s8, s18, s12
	v_cmp_gt_u32_e32 vcc_lo, s12, v4
	v_mov_b32_e32 v1, s8
	s_mul_i32 s17, s15, s12
	s_sub_co_i32 s8, s17, s12
	s_delay_alu instid0(VALU_DEP_1) | instid1(SALU_CYCLE_1)
	v_cndmask_b32_e32 v1, s8, v1, vcc_lo
	s_lshr_b32 s8, s19, 16
	s_delay_alu instid0(SALU_CYCLE_1) | instskip(SKIP_1) | instid1(VALU_DEP_1)
	s_mul_i32 s13, s13, s8
	s_mov_b32 s8, exec_lo
	v_dual_add_nc_u32 v2, v1, v4 :: v_dual_add_nc_u32 v3, s13, v5
	s_delay_alu instid0(VALU_DEP_1) | instskip(NEXT) | instid1(VALU_DEP_1)
	v_max_i32_e32 v0, v2, v3
	v_cmpx_gt_i32_e64 s14, v0
	s_cbranch_execz .LBB55_1
; %bb.7:
	s_clause 0x1
	s_load_b32 s20, s[0:1], 0x48
	s_load_b128 s[8:11], s[0:1], 0x10
	s_wait_xcnt 0x0
	s_mul_u64 s[0:1], s[4:5], s[2:3]
	v_mov_b64_e32 v[0:1], 0
	s_lshl_b64 s[0:1], s[0:1], 3
	s_lshl_b32 s4, s12, 1
	s_wait_kmcnt 0x0
	s_mul_i32 s2, s20, s2
	s_ashr_i32 s3, s10, 31
	s_add_co_i32 s5, s2, s16
	s_mov_b32 s2, s10
	s_mul_i32 s5, s5, s12
	s_add_nc_u64 s[0:1], s[8:9], s[0:1]
	s_lshl_b64 s[2:3], s[2:3], 3
	s_mul_i32 s5, s5, s12
	s_add_nc_u64 s[0:1], s[0:1], s[2:3]
	s_lshl_b32 s2, s5, 2
	s_and_b32 s5, 0xffff, s19
	s_ashr_i32 s3, s2, 31
	s_delay_alu instid0(SALU_CYCLE_1)
	s_lshl_b64 s[2:3], s[2:3], 3
	s_cmp_lt_u32 s5, 2
	s_add_nc_u64 s[2:3], s[6:7], s[2:3]
	s_cbranch_scc1 .LBB55_10
; %bb.8:
	s_mul_i32 s5, s11, s18
	v_mov_b64_e32 v[0:1], 0
	s_mul_i32 s5, s5, s12
	v_mov_b32_e32 v7, v4
	v_add3_u32 v6, s13, s5, v5
	s_mov_b32 s5, s12
.LBB55_9:                               ; =>This Inner Loop Header: Depth=1
	global_load_b64 v[8:9], v7, s[2:3] scale_offset
	global_load_b64 v[10:11], v6, s[0:1] scale_offset
	s_wait_xcnt 0x0
	v_dual_add_nc_u32 v6, s11, v6 :: v_dual_add_nc_u32 v7, s4, v7
	s_add_co_i32 s5, s5, -1
	s_delay_alu instid0(SALU_CYCLE_1)
	s_cmp_eq_u32 s5, 0
	s_wait_loadcnt 0x0
	v_fmac_f64_e32 v[0:1], v[8:9], v[10:11]
	s_cbranch_scc0 .LBB55_9
.LBB55_10:
	s_sub_co_i32 s5, s14, s17
	s_delay_alu instid0(SALU_CYCLE_1) | instskip(NEXT) | instid1(SALU_CYCLE_1)
	s_min_i32 s5, s5, s12
	s_cmp_lt_i32 s5, 1
	s_cbranch_scc1 .LBB55_13
; %bb.11:
	s_mul_i32 s6, s11, s15
	s_delay_alu instid0(SALU_CYCLE_1)
	s_mul_i32 s6, s6, s12
	s_mul_i32 s12, s12, s12
	v_add3_u32 v5, s13, s6, v5
	v_lshl_add_u32 v4, s12, 1, v4
.LBB55_12:                              ; =>This Inner Loop Header: Depth=1
	global_load_b64 v[6:7], v4, s[2:3] scale_offset
	global_load_b64 v[8:9], v5, s[0:1] scale_offset
	s_wait_xcnt 0x0
	v_dual_add_nc_u32 v5, s11, v5 :: v_dual_add_nc_u32 v4, s4, v4
	s_add_co_i32 s5, s5, -1
	s_delay_alu instid0(SALU_CYCLE_1)
	s_cmp_lg_u32 s5, 0
	s_wait_loadcnt 0x0
	v_fmac_f64_e32 v[0:1], v[6:7], v[8:9]
	s_cbranch_scc1 .LBB55_12
.LBB55_13:
	v_mad_u32 v2, v2, s11, v3
	s_barrier_signal -1
	s_barrier_wait -1
	global_store_b64 v2, v[0:1], s[0:1] scale_offset
	s_endpgm
	.section	.rodata,"a",@progbits
	.p2align	6, 0x0
	.amdhsa_kernel _ZN9rocsolver6v33100L21syevj_offd_rotate_orgILb0EddPdEEvbiiT2_iilPT0_PiS6_S6_
		.amdhsa_group_segment_fixed_size 0
		.amdhsa_private_segment_fixed_size 0
		.amdhsa_kernarg_size 328
		.amdhsa_user_sgpr_count 2
		.amdhsa_user_sgpr_dispatch_ptr 0
		.amdhsa_user_sgpr_queue_ptr 0
		.amdhsa_user_sgpr_kernarg_segment_ptr 1
		.amdhsa_user_sgpr_dispatch_id 0
		.amdhsa_user_sgpr_kernarg_preload_length 0
		.amdhsa_user_sgpr_kernarg_preload_offset 0
		.amdhsa_user_sgpr_private_segment_size 0
		.amdhsa_wavefront_size32 1
		.amdhsa_uses_dynamic_stack 0
		.amdhsa_enable_private_segment 0
		.amdhsa_system_sgpr_workgroup_id_x 1
		.amdhsa_system_sgpr_workgroup_id_y 1
		.amdhsa_system_sgpr_workgroup_id_z 1
		.amdhsa_system_sgpr_workgroup_info 0
		.amdhsa_system_vgpr_workitem_id 1
		.amdhsa_next_free_vgpr 12
		.amdhsa_next_free_sgpr 22
		.amdhsa_named_barrier_count 0
		.amdhsa_reserve_vcc 1
		.amdhsa_float_round_mode_32 0
		.amdhsa_float_round_mode_16_64 0
		.amdhsa_float_denorm_mode_32 3
		.amdhsa_float_denorm_mode_16_64 3
		.amdhsa_fp16_overflow 0
		.amdhsa_memory_ordered 1
		.amdhsa_forward_progress 1
		.amdhsa_inst_pref_size 7
		.amdhsa_round_robin_scheduling 0
		.amdhsa_exception_fp_ieee_invalid_op 0
		.amdhsa_exception_fp_denorm_src 0
		.amdhsa_exception_fp_ieee_div_zero 0
		.amdhsa_exception_fp_ieee_overflow 0
		.amdhsa_exception_fp_ieee_underflow 0
		.amdhsa_exception_fp_ieee_inexact 0
		.amdhsa_exception_int_div_zero 0
	.end_amdhsa_kernel
	.section	.text._ZN9rocsolver6v33100L21syevj_offd_rotate_orgILb0EddPdEEvbiiT2_iilPT0_PiS6_S6_,"axG",@progbits,_ZN9rocsolver6v33100L21syevj_offd_rotate_orgILb0EddPdEEvbiiT2_iilPT0_PiS6_S6_,comdat
.Lfunc_end55:
	.size	_ZN9rocsolver6v33100L21syevj_offd_rotate_orgILb0EddPdEEvbiiT2_iilPT0_PiS6_S6_, .Lfunc_end55-_ZN9rocsolver6v33100L21syevj_offd_rotate_orgILb0EddPdEEvbiiT2_iilPT0_PiS6_S6_
                                        ; -- End function
	.set _ZN9rocsolver6v33100L21syevj_offd_rotate_orgILb0EddPdEEvbiiT2_iilPT0_PiS6_S6_.num_vgpr, 12
	.set _ZN9rocsolver6v33100L21syevj_offd_rotate_orgILb0EddPdEEvbiiT2_iilPT0_PiS6_S6_.num_agpr, 0
	.set _ZN9rocsolver6v33100L21syevj_offd_rotate_orgILb0EddPdEEvbiiT2_iilPT0_PiS6_S6_.numbered_sgpr, 22
	.set _ZN9rocsolver6v33100L21syevj_offd_rotate_orgILb0EddPdEEvbiiT2_iilPT0_PiS6_S6_.num_named_barrier, 0
	.set _ZN9rocsolver6v33100L21syevj_offd_rotate_orgILb0EddPdEEvbiiT2_iilPT0_PiS6_S6_.private_seg_size, 0
	.set _ZN9rocsolver6v33100L21syevj_offd_rotate_orgILb0EddPdEEvbiiT2_iilPT0_PiS6_S6_.uses_vcc, 1
	.set _ZN9rocsolver6v33100L21syevj_offd_rotate_orgILb0EddPdEEvbiiT2_iilPT0_PiS6_S6_.uses_flat_scratch, 0
	.set _ZN9rocsolver6v33100L21syevj_offd_rotate_orgILb0EddPdEEvbiiT2_iilPT0_PiS6_S6_.has_dyn_sized_stack, 0
	.set _ZN9rocsolver6v33100L21syevj_offd_rotate_orgILb0EddPdEEvbiiT2_iilPT0_PiS6_S6_.has_recursion, 0
	.set _ZN9rocsolver6v33100L21syevj_offd_rotate_orgILb0EddPdEEvbiiT2_iilPT0_PiS6_S6_.has_indirect_call, 0
	.section	.AMDGPU.csdata,"",@progbits
; Kernel info:
; codeLenInByte = 784
; TotalNumSgprs: 24
; NumVgprs: 12
; ScratchSize: 0
; MemoryBound: 0
; FloatMode: 240
; IeeeMode: 1
; LDSByteSize: 0 bytes/workgroup (compile time only)
; SGPRBlocks: 0
; VGPRBlocks: 0
; NumSGPRsForWavesPerEU: 24
; NumVGPRsForWavesPerEU: 12
; NamedBarCnt: 0
; Occupancy: 16
; WaveLimiterHint : 0
; COMPUTE_PGM_RSRC2:SCRATCH_EN: 0
; COMPUTE_PGM_RSRC2:USER_SGPR: 2
; COMPUTE_PGM_RSRC2:TRAP_HANDLER: 0
; COMPUTE_PGM_RSRC2:TGID_X_EN: 1
; COMPUTE_PGM_RSRC2:TGID_Y_EN: 1
; COMPUTE_PGM_RSRC2:TGID_Z_EN: 1
; COMPUTE_PGM_RSRC2:TIDIG_COMP_CNT: 1
	.section	.text._ZN9rocsolver6v33100L17syevj_offd_rotateILb0EddPdEEvbiiT2_iilPT0_PiS6_S6_i,"axG",@progbits,_ZN9rocsolver6v33100L17syevj_offd_rotateILb0EddPdEEvbiiT2_iilPT0_PiS6_S6_i,comdat
	.globl	_ZN9rocsolver6v33100L17syevj_offd_rotateILb0EddPdEEvbiiT2_iilPT0_PiS6_S6_i ; -- Begin function _ZN9rocsolver6v33100L17syevj_offd_rotateILb0EddPdEEvbiiT2_iilPT0_PiS6_S6_i
	.p2align	8
	.type	_ZN9rocsolver6v33100L17syevj_offd_rotateILb0EddPdEEvbiiT2_iilPT0_PiS6_S6_i,@function
_ZN9rocsolver6v33100L17syevj_offd_rotateILb0EddPdEEvbiiT2_iilPT0_PiS6_S6_i: ; @_ZN9rocsolver6v33100L17syevj_offd_rotateILb0EddPdEEvbiiT2_iilPT0_PiS6_S6_i
; %bb.0:
	s_clause 0x1
	s_load_b96 s[20:22], s[0:1], 0x0
	s_load_b32 s30, s[0:1], 0x48
	s_bfe_u32 s4, ttmp6, 0x40014
	s_lshr_b32 s3, ttmp7, 16
	s_add_co_i32 s4, s4, 1
	s_delay_alu instid0(SALU_CYCLE_1) | instskip(SKIP_3) | instid1(SALU_CYCLE_1)
	s_mul_i32 s6, s3, s4
	s_getreg_b32 s4, hwreg(HW_REG_IB_STS2, 6, 4)
	s_wait_kmcnt 0x0
	s_abs_i32 s5, s21
	s_cvt_f32_u32 s2, s5
	s_delay_alu instid0(SALU_CYCLE_3) | instskip(SKIP_1) | instid1(SALU_CYCLE_1)
	v_rcp_iflag_f32_e32 v1, s2
	s_bfe_u32 s2, ttmp6, 0x40008
	s_add_co_i32 s6, s2, s6
	s_cmp_eq_u32 s4, 0
	s_cselect_b32 s24, s3, s6
	v_nop
	s_delay_alu instid0(TRANS32_DEP_1)
	v_readfirstlane_b32 s2, v1
	s_cmp_ge_u32 s24, s30
	s_mov_b32 s3, 0
	s_cbranch_scc1 .LBB56_35
; %bb.1:
	s_mul_f32 s2, s2, 0x4f7ffffe
	s_add_co_i32 s6, s22, -1
	s_ashr_i32 s8, s21, 31
	s_mov_b32 s7, s3
	s_cvt_u32_f32 s9, s2
	s_sub_co_i32 s2, 0, s5
	s_ashr_i32 s10, s6, 31
	s_clause 0x1
	s_load_b128 s[12:15], s[0:1], 0x50
	s_load_b64 s[26:27], s[0:1], 0x40
	s_mul_i32 s2, s2, s9
	s_load_b128 s[16:19], s[0:1], 0x10
	s_mul_hi_u32 s11, s9, s2
	s_abs_i32 s2, s6
	s_add_co_i32 s6, s9, s11
	s_bitcmp1_b32 s20, 0
	s_mul_u64 s[6:7], s[2:3], s[6:7]
	s_cselect_b32 s6, -1, 0
	s_xor_b32 s8, s10, s8
	v_cndmask_b32_e64 v6, 0, 1, s6
	s_xor_b32 s20, s6, -1
	s_mul_i32 s6, s7, s5
	v_and_b32_e32 v7, 0x3ff, v0
	s_sub_co_i32 s2, s2, s6
	s_add_co_i32 s6, s7, 1
	s_sub_co_i32 s9, s2, s5
	s_cmp_ge_u32 s2, s5
	v_bfe_u32 v8, v0, 10, 10
	s_cselect_b32 s6, s6, s7
	s_cselect_b32 s2, s9, s2
	s_add_co_i32 s7, s6, 1
	s_cmp_ge_u32 s2, s5
	s_mov_b64 s[28:29], src_shared_base
	s_cselect_b32 s2, s7, s6
	s_bfe_u32 s5, ttmp6, 0x40010
	s_xor_b32 s2, s2, s8
	s_bfe_u32 s7, ttmp6, 0x4000c
	s_sub_co_i32 s31, s2, s8
	s_and_b32 s23, ttmp7, 0xffff
	s_add_co_i32 s34, s31, 1
	s_add_co_i32 s5, s5, 1
	s_lshr_b32 s2, s34, 31
	s_add_co_i32 s7, s7, 1
	s_add_co_i32 s2, s34, s2
	s_bfe_u32 s6, ttmp6, 0x40004
	s_and_b32 s2, s2, -2
	s_mul_i32 s5, s23, s5
	s_sub_co_i32 s2, s34, s2
	s_mul_i32 s7, ttmp9, s7
	s_add_co_i32 s2, s2, s34
	s_wait_kmcnt 0x0
	s_lshr_b32 s33, s15, 16
	s_lshr_b32 s8, s2, 31
	s_and_b32 s15, s15, 0xffff
	s_add_co_i32 s2, s2, s8
	s_add_co_i32 s25, s6, s5
	s_ashr_i32 s35, s2, 1
	s_and_b32 s2, ttmp6, 15
	v_mad_u32_u24 v9, v8, s15, v7
	s_add_co_i32 s2, s2, s7
	s_cmp_eq_u32 s4, 0
	s_load_b256 s[4:11], s[0:1], 0x20
	s_cselect_b32 s36, ttmp9, s2
	s_cselect_b32 s37, s23, s25
	s_lshl_b32 s38, s21, 1
	s_mov_b32 s40, s29
	s_wait_xcnt 0x0
	s_mul_i32 s0, s38, s21
	v_dual_lshlrev_b32 v0, 3, v9 :: v_dual_lshlrev_b32 v12, 3, v8
	s_lshl_b32 s1, s0, 3
	s_mul_i32 s0, s0, 3
	s_add_co_i32 s39, s1, 0
	s_cmp_lt_u32 s0, 0x2001
	s_mul_i32 s1, s21, s21
	s_cselect_b32 s41, -1, 0
	s_ashr_i32 s29, s18, 31
	s_lshl_b32 s42, s1, 2
	s_cmp_lt_u32 s36, s35
	s_mul_i32 s0, s31, s21
	s_cselect_b32 s43, -1, 0
	s_sub_co_i32 s44, s22, s0
	s_cmp_lt_u32 s37, s34
	s_mov_b32 s28, s18
	s_cselect_b32 s46, -1, 0
	s_lshl_b32 s1, s1, 4
	v_cmp_gt_u32_e64 s0, s42, v9
	v_add3_u32 v10, 0, s1, v0
	v_lshl_add_u32 v11, v7, 3, 0
	v_mov_b32_e32 v1, 0
	s_mul_i32 s45, s33, s15
	s_ashr_i32 s23, s19, 31
	s_mov_b32 s22, s19
	s_lshl_b64 s[18:19], s[28:29], 3
	s_lshl_b32 s47, s45, 3
	s_add_nc_u64 s[16:17], s[16:17], s[18:19]
	s_lshl_b32 s48, s33, 3
	s_lshl_b32 s49, s15, 3
	s_mul_i32 s50, s37, s21
	s_mul_i32 s51, s13, s21
	s_branch .LBB56_3
.LBB56_2:                               ;   in Loop: Header=BB56_3 Depth=1
	s_add_co_i32 s24, s24, s14
	s_delay_alu instid0(SALU_CYCLE_1)
	s_cmp_ge_u32 s24, s30
	s_cbranch_scc1 .LBB56_35
.LBB56_3:                               ; =>This Loop Header: Depth=1
                                        ;     Child Loop BB56_7 Depth 2
                                        ;       Child Loop BB56_11 Depth 3
                                        ;       Child Loop BB56_17 Depth 3
                                        ;         Child Loop BB56_23 Depth 4
                                        ;           Child Loop BB56_25 Depth 5
                                        ;         Child Loop BB56_29 Depth 4
                                        ;           Child Loop BB56_32 Depth 5
                                        ;             Child Loop BB56_34 Depth 6
	s_load_b32 s1, s[26:27], s24 offset:0x4 scale_offset
	s_wait_kmcnt 0x0
	s_cmp_lg_u32 s1, 0
	s_cbranch_scc1 .LBB56_2
; %bb.4:                                ;   in Loop: Header=BB56_3 Depth=1
	s_and_not1_b32 vcc_lo, exec_lo, s43
	s_cbranch_vccnz .LBB56_2
; %bb.5:                                ;   in Loop: Header=BB56_3 Depth=1
	s_mov_b32 s25, s3
	s_mov_b32 s52, s36
	s_mul_u64 s[18:19], s[4:5], s[24:25]
	s_mul_i32 s25, s24, s35
	s_lshl_b64 s[18:19], s[18:19], 3
	s_delay_alu instid0(SALU_CYCLE_1)
	s_add_nc_u64 s[18:19], s[16:17], s[18:19]
	s_branch .LBB56_7
.LBB56_6:                               ;   in Loop: Header=BB56_7 Depth=2
	s_add_co_i32 s52, s52, s12
	s_delay_alu instid0(SALU_CYCLE_1)
	s_cmp_lt_u32 s52, s35
	s_cbranch_scc0 .LBB56_2
.LBB56_7:                               ;   Parent Loop BB56_3 Depth=1
                                        ; =>  This Loop Header: Depth=2
                                        ;       Child Loop BB56_11 Depth 3
                                        ;       Child Loop BB56_17 Depth 3
                                        ;         Child Loop BB56_23 Depth 4
                                        ;           Child Loop BB56_25 Depth 5
                                        ;         Child Loop BB56_29 Depth 4
                                        ;           Child Loop BB56_32 Depth 5
                                        ;             Child Loop BB56_34 Depth 6
	s_load_b32 s1, s[10:11], s52 offset:0x0 scale_offset
	s_load_b32 s54, s[8:9], s52 offset:0x0 scale_offset
	s_wait_kmcnt 0x0
	s_max_i32 s53, s54, s1
	s_delay_alu instid0(SALU_CYCLE_1)
	s_cmp_gt_i32 s53, s31
	s_cbranch_scc1 .LBB56_6
; %bb.8:                                ;   in Loop: Header=BB56_7 Depth=2
	s_add_co_i32 s2, s52, s25
	s_and_not1_b32 vcc_lo, exec_lo, s41
	s_mul_i32 s2, s42, s2
	s_delay_alu instid0(SALU_CYCLE_1) | instskip(NEXT) | instid1(SALU_CYCLE_1)
	s_lshl_b64 s[28:29], s[2:3], 3
	s_add_nc_u64 s[28:29], s[6:7], s[28:29]
	s_cbranch_vccnz .LBB56_13
; %bb.9:                                ;   in Loop: Header=BB56_7 Depth=2
	s_barrier_signal -1
	s_barrier_wait -1
	s_and_saveexec_b32 s2, s0
	s_cbranch_execz .LBB56_12
; %bb.10:                               ;   in Loop: Header=BB56_7 Depth=2
	v_dual_mov_b32 v0, v10 :: v_dual_mov_b32 v2, v9
	s_mov_b32 s55, 0
.LBB56_11:                              ;   Parent Loop BB56_3 Depth=1
                                        ;     Parent Loop BB56_7 Depth=2
                                        ; =>    This Inner Loop Header: Depth=3
	global_load_b64 v[4:5], v2, s[28:29] scale_offset
	s_wait_xcnt 0x0
	v_add_nc_u32_e32 v2, s45, v2
	s_wait_loadcnt 0x0
	ds_store_b64 v0, v[4:5]
	v_add_nc_u32_e32 v0, s47, v0
	v_cmp_le_u32_e32 vcc_lo, s42, v2
	s_or_b32 s55, vcc_lo, s55
	s_delay_alu instid0(SALU_CYCLE_1)
	s_and_not1_b32 exec_lo, exec_lo, s55
	s_cbranch_execnz .LBB56_11
.LBB56_12:                              ;   in Loop: Header=BB56_7 Depth=2
	s_or_b32 exec_lo, exec_lo, s2
	s_wait_dscnt 0x0
	s_barrier_signal -1
	s_barrier_wait -1
.LBB56_13:                              ;   in Loop: Header=BB56_7 Depth=2
	s_and_not1_b32 vcc_lo, exec_lo, s46
	s_cbranch_vccnz .LBB56_6
; %bb.14:                               ;   in Loop: Header=BB56_7 Depth=2
	s_min_i32 s54, s1, s54
	s_mul_i32 s2, s53, s21
	s_cmp_eq_u32 s54, s31
	s_mul_i32 s59, s54, s21
	s_cselect_b32 s55, s44, s21
	s_cmp_eq_u32 s53, s31
	s_mov_b32 s60, s50
	s_cselect_b32 s1, s44, s21
	s_mov_b32 s61, s37
	s_add_co_i32 s56, s55, s1
	s_and_b32 s1, s41, exec_lo
	s_cselect_b32 s29, s40, s29
	s_cselect_b32 s28, s39, s28
	s_sub_co_i32 s57, s2, s55
	v_cmp_gt_u32_e64 s1, s56, v8
	s_cmp_gt_i32 s56, 0
	s_cselect_b32 s58, -1, 0
	s_branch .LBB56_17
.LBB56_15:                              ;   in Loop: Header=BB56_17 Depth=3
	s_or_b32 exec_lo, exec_lo, s63
	s_wait_storecnt 0x0
	s_barrier_signal -1
	s_barrier_wait -1
.LBB56_16:                              ;   in Loop: Header=BB56_17 Depth=3
	s_add_co_i32 s61, s61, s13
	s_add_co_i32 s60, s60, s51
	s_cmp_lt_u32 s61, s34
	s_cbranch_scc0 .LBB56_6
.LBB56_17:                              ;   Parent Loop BB56_3 Depth=1
                                        ;     Parent Loop BB56_7 Depth=2
                                        ; =>    This Loop Header: Depth=3
                                        ;         Child Loop BB56_23 Depth 4
                                        ;           Child Loop BB56_25 Depth 5
                                        ;         Child Loop BB56_29 Depth 4
                                        ;           Child Loop BB56_32 Depth 5
                                        ;             Child Loop BB56_34 Depth 6
	v_cmp_ne_u32_e32 vcc_lo, 1, v6
	s_mov_b32 s2, s20
	s_cbranch_vccz .LBB56_19
; %bb.18:                               ;   in Loop: Header=BB56_17 Depth=3
	s_and_not1_b32 vcc_lo, exec_lo, s2
	s_cbranch_vccnz .LBB56_16
	s_branch .LBB56_20
.LBB56_19:                              ;   in Loop: Header=BB56_17 Depth=3
	s_cmp_lg_u32 s61, s54
	s_cselect_b32 s2, -1, 0
	s_cmp_lg_u32 s61, s53
	s_cselect_b32 s62, -1, 0
	s_delay_alu instid0(SALU_CYCLE_1) | instskip(NEXT) | instid1(SALU_CYCLE_1)
	s_and_b32 s2, s2, s62
	s_and_not1_b32 vcc_lo, exec_lo, s2
	s_cbranch_vccnz .LBB56_16
.LBB56_20:                              ;   in Loop: Header=BB56_17 Depth=3
	s_cmp_eq_u32 s61, s31
	s_cselect_b32 s62, s44, s21
	s_barrier_signal -1
	s_barrier_wait -1
	s_and_saveexec_b32 s63, s1
	s_cbranch_execz .LBB56_26
; %bb.21:                               ;   in Loop: Header=BB56_17 Depth=3
	v_mad_u32 v4, v12, s62, v11
	v_mov_b32_e32 v5, v8
	s_mul_i32 s64, s48, s62
	s_mov_b32 s65, 0
	v_cmp_gt_u32_e32 vcc_lo, s62, v7
	s_branch .LBB56_23
.LBB56_22:                              ;   in Loop: Header=BB56_23 Depth=4
	s_or_b32 exec_lo, exec_lo, s66
	s_delay_alu instid0(VALU_DEP_3) | instskip(NEXT) | instid1(VALU_DEP_1)
	v_dual_add_nc_u32 v5, s33, v5 :: v_dual_add_nc_u32 v4, s64, v4
	v_cmp_le_u32_e64 s2, s56, v5
	s_or_b32 s65, s2, s65
	s_delay_alu instid0(SALU_CYCLE_1)
	s_and_not1_b32 exec_lo, exec_lo, s65
	s_cbranch_execz .LBB56_26
.LBB56_23:                              ;   Parent Loop BB56_3 Depth=1
                                        ;     Parent Loop BB56_7 Depth=2
                                        ;       Parent Loop BB56_17 Depth=3
                                        ; =>      This Loop Header: Depth=4
                                        ;           Child Loop BB56_25 Depth 5
	s_and_saveexec_b32 s66, vcc_lo
	s_cbranch_execz .LBB56_22
; %bb.24:                               ;   in Loop: Header=BB56_23 Depth=4
	s_delay_alu instid0(VALU_DEP_3) | instskip(SKIP_3) | instid1(VALU_DEP_1)
	v_dual_mov_b32 v0, s59 :: v_dual_mov_b32 v13, v4
	v_cmp_gt_u32_e64 s2, s55, v5
	s_mov_b32 s67, 0
	v_dual_mov_b32 v14, v7 :: v_dual_cndmask_b32 v0, s57, v0, s2
	v_add_nc_u32_e32 v0, v5, v0
	s_delay_alu instid0(VALU_DEP_1) | instskip(NEXT) | instid1(VALU_DEP_1)
	v_mul_u64_e32 v[2:3], s[22:23], v[0:1]
	v_lshl_add_u64 v[2:3], v[2:3], 3, s[18:19]
.LBB56_25:                              ;   Parent Loop BB56_3 Depth=1
                                        ;     Parent Loop BB56_7 Depth=2
                                        ;       Parent Loop BB56_17 Depth=3
                                        ;         Parent Loop BB56_23 Depth=4
                                        ; =>        This Inner Loop Header: Depth=5
	s_delay_alu instid0(VALU_DEP_4) | instskip(NEXT) | instid1(VALU_DEP_1)
	v_dual_add_nc_u32 v0, s60, v14 :: v_dual_add_nc_u32 v14, s15, v14
	v_lshl_add_u64 v[16:17], v[0:1], 3, v[2:3]
	s_delay_alu instid0(VALU_DEP_2)
	v_cmp_le_u32_e64 s2, s62, v14
	global_load_b64 v[16:17], v[16:17], off
	s_or_b32 s67, s2, s67
	s_wait_loadcnt 0x0
	ds_store_b64 v13, v[16:17]
	v_add_nc_u32_e32 v13, s49, v13
	s_wait_xcnt 0x0
	s_and_not1_b32 exec_lo, exec_lo, s67
	s_cbranch_execnz .LBB56_25
	s_branch .LBB56_22
.LBB56_26:                              ;   in Loop: Header=BB56_17 Depth=3
	s_or_b32 exec_lo, exec_lo, s63
	s_wait_dscnt 0x0
	s_barrier_signal -1
	s_barrier_wait -1
	s_and_saveexec_b32 s63, s1
	s_cbranch_execz .LBB56_15
; %bb.27:                               ;   in Loop: Header=BB56_17 Depth=3
	v_cmp_gt_u32_e64 s2, s62, v7
	v_mov_b32_e32 v13, v8
	s_mul_i32 s64, s61, s21
	s_lshl_b32 s65, s62, 3
	s_mov_b32 s66, 0
	s_branch .LBB56_29
.LBB56_28:                              ;   in Loop: Header=BB56_29 Depth=4
	s_or_b32 exec_lo, exec_lo, s67
	v_add_nc_u32_e32 v13, s33, v13
	s_delay_alu instid0(VALU_DEP_1) | instskip(SKIP_1) | instid1(SALU_CYCLE_1)
	v_cmp_le_u32_e32 vcc_lo, s56, v13
	s_or_b32 s66, vcc_lo, s66
	s_and_not1_b32 exec_lo, exec_lo, s66
	s_cbranch_execz .LBB56_15
.LBB56_29:                              ;   Parent Loop BB56_3 Depth=1
                                        ;     Parent Loop BB56_7 Depth=2
                                        ;       Parent Loop BB56_17 Depth=3
                                        ; =>      This Loop Header: Depth=4
                                        ;           Child Loop BB56_32 Depth 5
                                        ;             Child Loop BB56_34 Depth 6
	s_and_saveexec_b32 s67, s2
	s_cbranch_execz .LBB56_28
; %bb.30:                               ;   in Loop: Header=BB56_29 Depth=4
	v_dual_mov_b32 v0, s59 :: v_dual_mov_b32 v14, v11
	v_cmp_gt_u32_e32 vcc_lo, s55, v13
	s_mov_b32 s68, 0
	s_delay_alu instid0(VALU_DEP_2) | instskip(NEXT) | instid1(VALU_DEP_1)
	v_dual_mov_b32 v15, v7 :: v_dual_cndmask_b32 v0, s57, v0
	v_add_nc_u32_e32 v0, v13, v0
	s_delay_alu instid0(VALU_DEP_1) | instskip(NEXT) | instid1(VALU_DEP_1)
	v_mul_u64_e32 v[2:3], s[22:23], v[0:1]
	v_lshl_add_u64 v[2:3], v[2:3], 3, s[18:19]
	s_branch .LBB56_32
.LBB56_31:                              ;   in Loop: Header=BB56_32 Depth=5
	v_dual_add_nc_u32 v0, s64, v15 :: v_dual_add_nc_u32 v15, s15, v15
	v_add_nc_u32_e32 v14, s49, v14
	s_delay_alu instid0(VALU_DEP_2) | instskip(NEXT) | instid1(VALU_DEP_3)
	v_lshl_add_u64 v[16:17], v[0:1], 3, v[2:3]
	v_cmp_le_u32_e32 vcc_lo, s62, v15
	global_store_b64 v[16:17], v[4:5], off
	s_or_b32 s68, vcc_lo, s68
	s_wait_xcnt 0x0
	s_and_not1_b32 exec_lo, exec_lo, s68
	s_cbranch_execz .LBB56_28
.LBB56_32:                              ;   Parent Loop BB56_3 Depth=1
                                        ;     Parent Loop BB56_7 Depth=2
                                        ;       Parent Loop BB56_17 Depth=3
                                        ;         Parent Loop BB56_29 Depth=4
                                        ; =>        This Loop Header: Depth=5
                                        ;             Child Loop BB56_34 Depth 6
	v_mov_b64_e32 v[4:5], 0
	s_and_not1_b32 vcc_lo, exec_lo, s58
	s_cbranch_vccnz .LBB56_31
; %bb.33:                               ;   in Loop: Header=BB56_32 Depth=5
	v_dual_mov_b32 v0, v13 :: v_dual_mov_b32 v16, v14
	s_mov_b32 s69, s56
.LBB56_34:                              ;   Parent Loop BB56_3 Depth=1
                                        ;     Parent Loop BB56_7 Depth=2
                                        ;       Parent Loop BB56_17 Depth=3
                                        ;         Parent Loop BB56_29 Depth=4
                                        ;           Parent Loop BB56_32 Depth=5
                                        ; =>          This Inner Loop Header: Depth=6
	flat_load_b64 v[18:19], v0, s[28:29] scale_offset
	ds_load_b64 v[20:21], v16
	v_add_nc_u32_e32 v16, s65, v16
	s_wait_xcnt 0x0
	v_add_nc_u32_e32 v0, s38, v0
	s_add_co_i32 s69, s69, -1
	s_delay_alu instid0(SALU_CYCLE_1)
	s_cmp_eq_u32 s69, 0
	s_wait_loadcnt_dscnt 0x0
	v_fmac_f64_e32 v[4:5], v[20:21], v[18:19]
	s_cbranch_scc0 .LBB56_34
	s_branch .LBB56_31
.LBB56_35:
	s_endpgm
	.section	.rodata,"a",@progbits
	.p2align	6, 0x0
	.amdhsa_kernel _ZN9rocsolver6v33100L17syevj_offd_rotateILb0EddPdEEvbiiT2_iilPT0_PiS6_S6_i
		.amdhsa_group_segment_fixed_size 0
		.amdhsa_private_segment_fixed_size 0
		.amdhsa_kernarg_size 336
		.amdhsa_user_sgpr_count 2
		.amdhsa_user_sgpr_dispatch_ptr 0
		.amdhsa_user_sgpr_queue_ptr 0
		.amdhsa_user_sgpr_kernarg_segment_ptr 1
		.amdhsa_user_sgpr_dispatch_id 0
		.amdhsa_user_sgpr_kernarg_preload_length 0
		.amdhsa_user_sgpr_kernarg_preload_offset 0
		.amdhsa_user_sgpr_private_segment_size 0
		.amdhsa_wavefront_size32 1
		.amdhsa_uses_dynamic_stack 0
		.amdhsa_enable_private_segment 0
		.amdhsa_system_sgpr_workgroup_id_x 1
		.amdhsa_system_sgpr_workgroup_id_y 1
		.amdhsa_system_sgpr_workgroup_id_z 1
		.amdhsa_system_sgpr_workgroup_info 0
		.amdhsa_system_vgpr_workitem_id 1
		.amdhsa_next_free_vgpr 22
		.amdhsa_next_free_sgpr 70
		.amdhsa_named_barrier_count 0
		.amdhsa_reserve_vcc 1
		.amdhsa_float_round_mode_32 0
		.amdhsa_float_round_mode_16_64 0
		.amdhsa_float_denorm_mode_32 3
		.amdhsa_float_denorm_mode_16_64 3
		.amdhsa_fp16_overflow 0
		.amdhsa_memory_ordered 1
		.amdhsa_forward_progress 1
		.amdhsa_inst_pref_size 13
		.amdhsa_round_robin_scheduling 0
		.amdhsa_exception_fp_ieee_invalid_op 0
		.amdhsa_exception_fp_denorm_src 0
		.amdhsa_exception_fp_ieee_div_zero 0
		.amdhsa_exception_fp_ieee_overflow 0
		.amdhsa_exception_fp_ieee_underflow 0
		.amdhsa_exception_fp_ieee_inexact 0
		.amdhsa_exception_int_div_zero 0
	.end_amdhsa_kernel
	.section	.text._ZN9rocsolver6v33100L17syevj_offd_rotateILb0EddPdEEvbiiT2_iilPT0_PiS6_S6_i,"axG",@progbits,_ZN9rocsolver6v33100L17syevj_offd_rotateILb0EddPdEEvbiiT2_iilPT0_PiS6_S6_i,comdat
.Lfunc_end56:
	.size	_ZN9rocsolver6v33100L17syevj_offd_rotateILb0EddPdEEvbiiT2_iilPT0_PiS6_S6_i, .Lfunc_end56-_ZN9rocsolver6v33100L17syevj_offd_rotateILb0EddPdEEvbiiT2_iilPT0_PiS6_S6_i
                                        ; -- End function
	.set _ZN9rocsolver6v33100L17syevj_offd_rotateILb0EddPdEEvbiiT2_iilPT0_PiS6_S6_i.num_vgpr, 22
	.set _ZN9rocsolver6v33100L17syevj_offd_rotateILb0EddPdEEvbiiT2_iilPT0_PiS6_S6_i.num_agpr, 0
	.set _ZN9rocsolver6v33100L17syevj_offd_rotateILb0EddPdEEvbiiT2_iilPT0_PiS6_S6_i.numbered_sgpr, 70
	.set _ZN9rocsolver6v33100L17syevj_offd_rotateILb0EddPdEEvbiiT2_iilPT0_PiS6_S6_i.num_named_barrier, 0
	.set _ZN9rocsolver6v33100L17syevj_offd_rotateILb0EddPdEEvbiiT2_iilPT0_PiS6_S6_i.private_seg_size, 0
	.set _ZN9rocsolver6v33100L17syevj_offd_rotateILb0EddPdEEvbiiT2_iilPT0_PiS6_S6_i.uses_vcc, 1
	.set _ZN9rocsolver6v33100L17syevj_offd_rotateILb0EddPdEEvbiiT2_iilPT0_PiS6_S6_i.uses_flat_scratch, 0
	.set _ZN9rocsolver6v33100L17syevj_offd_rotateILb0EddPdEEvbiiT2_iilPT0_PiS6_S6_i.has_dyn_sized_stack, 0
	.set _ZN9rocsolver6v33100L17syevj_offd_rotateILb0EddPdEEvbiiT2_iilPT0_PiS6_S6_i.has_recursion, 0
	.set _ZN9rocsolver6v33100L17syevj_offd_rotateILb0EddPdEEvbiiT2_iilPT0_PiS6_S6_i.has_indirect_call, 0
	.section	.AMDGPU.csdata,"",@progbits
; Kernel info:
; codeLenInByte = 1564
; TotalNumSgprs: 72
; NumVgprs: 22
; ScratchSize: 0
; MemoryBound: 0
; FloatMode: 240
; IeeeMode: 1
; LDSByteSize: 0 bytes/workgroup (compile time only)
; SGPRBlocks: 0
; VGPRBlocks: 1
; NumSGPRsForWavesPerEU: 72
; NumVGPRsForWavesPerEU: 22
; NamedBarCnt: 0
; Occupancy: 16
; WaveLimiterHint : 1
; COMPUTE_PGM_RSRC2:SCRATCH_EN: 0
; COMPUTE_PGM_RSRC2:USER_SGPR: 2
; COMPUTE_PGM_RSRC2:TRAP_HANDLER: 0
; COMPUTE_PGM_RSRC2:TGID_X_EN: 1
; COMPUTE_PGM_RSRC2:TGID_Y_EN: 1
; COMPUTE_PGM_RSRC2:TGID_Z_EN: 1
; COMPUTE_PGM_RSRC2:TIDIG_COMP_CNT: 1
	.section	.text._ZN9rocsolver6v33100L21syevj_offd_rotate_orgILb1EddPdEEvbiiT2_iilPT0_PiS6_S6_,"axG",@progbits,_ZN9rocsolver6v33100L21syevj_offd_rotate_orgILb1EddPdEEvbiiT2_iilPT0_PiS6_S6_,comdat
	.globl	_ZN9rocsolver6v33100L21syevj_offd_rotate_orgILb1EddPdEEvbiiT2_iilPT0_PiS6_S6_ ; -- Begin function _ZN9rocsolver6v33100L21syevj_offd_rotate_orgILb1EddPdEEvbiiT2_iilPT0_PiS6_S6_
	.p2align	8
	.type	_ZN9rocsolver6v33100L21syevj_offd_rotate_orgILb1EddPdEEvbiiT2_iilPT0_PiS6_S6_,@function
_ZN9rocsolver6v33100L21syevj_offd_rotate_orgILb1EddPdEEvbiiT2_iilPT0_PiS6_S6_: ; @_ZN9rocsolver6v33100L21syevj_offd_rotate_orgILb1EddPdEEvbiiT2_iilPT0_PiS6_S6_
; %bb.0:
	s_load_b64 s[4:5], s[0:1], 0x40
	s_bfe_u32 s2, ttmp6, 0x40014
	s_lshr_b32 s3, ttmp7, 16
	s_add_co_i32 s2, s2, 1
	s_bfe_u32 s6, ttmp6, 0x40008
	s_mul_i32 s2, s3, s2
	s_getreg_b32 s15, hwreg(HW_REG_IB_STS2, 6, 4)
	s_add_co_i32 s6, s6, s2
	s_cmp_eq_u32 s15, 0
	s_cselect_b32 s2, s3, s6
	s_wait_kmcnt 0x0
	s_load_b32 s3, s[4:5], s2 offset:0x4 scale_offset
	s_wait_kmcnt 0x0
	s_cmp_lg_u32 s3, 0
	s_mov_b32 s3, 0
	s_cbranch_scc0 .LBB57_2
.LBB57_1:
	s_endpgm
.LBB57_2:
	s_load_b256 s[4:11], s[0:1], 0x20
	s_bfe_u32 s12, ttmp6, 0x4000c
	s_and_b32 s13, ttmp6, 15
	s_add_co_i32 s12, s12, 1
	s_delay_alu instid0(SALU_CYCLE_1) | instskip(NEXT) | instid1(SALU_CYCLE_1)
	s_mul_i32 s12, ttmp9, s12
	s_add_co_i32 s13, s13, s12
	s_cmp_eq_u32 s15, 0
	s_cselect_b32 s16, ttmp9, s13
	s_delay_alu instid0(SALU_CYCLE_1) | instskip(NEXT) | instid1(SALU_CYCLE_1)
	s_ashr_i32 s17, s16, 31
	s_lshl_b64 s[12:13], s[16:17], 2
	s_wait_kmcnt 0x0
	s_add_nc_u64 s[8:9], s[8:9], s[12:13]
	s_add_nc_u64 s[18:19], s[10:11], s[12:13]
	s_load_b32 s10, s[8:9], 0x0
	s_load_b32 s11, s[18:19], 0x0
	s_load_b96 s[12:14], s[0:1], 0x0
	s_wait_kmcnt 0x0
	s_max_i32 s8, s10, s11
	s_delay_alu instid0(SALU_CYCLE_1)
	s_cmp_ge_i32 s8, s13
	s_cbranch_scc1 .LBB57_1
; %bb.3:
	s_bitcmp1_b32 s12, 0
	s_cselect_b32 s9, -1, 0
	s_bfe_u32 s12, ttmp6, 0x40010
	s_and_b32 s13, ttmp7, 0xffff
	s_add_co_i32 s12, s12, 1
	s_bfe_u32 s17, ttmp6, 0x40004
	s_mul_i32 s18, s13, s12
	s_xor_b32 s12, s9, -1
	s_add_co_i32 s17, s17, s18
	s_cmp_eq_u32 s15, 0
	s_cselect_b32 s9, s13, s17
	s_and_b32 vcc_lo, exec_lo, s12
	s_min_i32 s15, s10, s11
	s_cbranch_vccnz .LBB57_5
; %bb.4:
	s_lshr_b32 s10, s9, 1
	s_delay_alu instid0(SALU_CYCLE_1) | instskip(SKIP_3) | instid1(SALU_CYCLE_1)
	s_cmp_lg_u32 s10, s15
	s_cselect_b32 s11, -1, 0
	s_cmp_lg_u32 s10, s8
	s_cselect_b32 s10, -1, 0
	s_and_b32 s12, s11, s10
.LBB57_5:
	s_delay_alu instid0(SALU_CYCLE_1)
	s_and_not1_b32 vcc_lo, exec_lo, s12
	s_cbranch_vccnz .LBB57_1
; %bb.6:
	s_add_nc_u64 s[10:11], s[0:1], 0x48
	v_and_b32_e32 v3, 0x3ff, v0
	s_load_b32 s17, s[10:11], 0xc
	v_bfe_u32 v0, v0, 10, 10
	s_wait_kmcnt 0x0
	s_bfe_u32 s12, s17, 0xf0001
	s_delay_alu instid0(SALU_CYCLE_1)
	s_mul_i32 s15, s15, s12
	v_cmp_gt_u32_e32 vcc_lo, s12, v3
	v_mov_b32_e32 v1, s15
	s_mul_i32 s13, s8, s12
	s_lshr_b32 s8, s17, 16
	s_sub_co_i32 s10, s13, s12
	v_mad_u32 v0, s9, s8, v0
	v_cndmask_b32_e32 v1, s10, v1, vcc_lo
	s_mov_b32 s8, exec_lo
	s_delay_alu instid0(VALU_DEP_1) | instskip(NEXT) | instid1(VALU_DEP_1)
	v_add_nc_u32_e32 v2, v1, v3
	v_max_i32_e32 v1, v2, v0
	s_delay_alu instid0(VALU_DEP_1)
	v_cmpx_gt_i32_e64 s14, v1
	s_cbranch_execz .LBB57_1
; %bb.7:
	s_clause 0x1
	s_load_b32 s18, s[0:1], 0x48
	s_load_b128 s[8:11], s[0:1], 0x10
	s_wait_xcnt 0x0
	s_mul_u64 s[0:1], s[4:5], s[2:3]
	s_lshl_b32 s4, s12, 1
	s_lshl_b64 s[0:1], s[0:1], 3
	s_wait_kmcnt 0x0
	s_mul_i32 s2, s18, s2
	v_mul_lo_u32 v5, v0, s11
	s_add_co_i32 s5, s2, s16
	s_ashr_i32 s3, s10, 31
	s_mul_i32 s5, s5, s12
	s_mov_b32 s2, s10
	s_mul_i32 s5, s5, s12
	s_add_nc_u64 s[0:1], s[8:9], s[0:1]
	s_lshl_b32 s8, s5, 2
	s_lshl_b64 s[2:3], s[2:3], 3
	s_ashr_i32 s9, s8, 31
	s_add_nc_u64 s[0:1], s[0:1], s[2:3]
	s_and_b32 s5, 0xffff, s17
	s_lshl_b64 s[2:3], s[8:9], 3
	s_cmp_gt_u32 s5, 1
	s_add_nc_u64 s[2:3], s[6:7], s[2:3]
	s_cbranch_scc0 .LBB57_11
; %bb.8:
	v_mul_lo_u32 v4, v0, s11
	v_mov_b64_e32 v[0:1], 0
	s_mov_b32 s5, s12
	s_delay_alu instid0(VALU_DEP_2)
	v_dual_mov_b32 v7, v3 :: v_dual_add_nc_u32 v6, s15, v4
.LBB57_9:                               ; =>This Inner Loop Header: Depth=1
	global_load_b64 v[8:9], v7, s[2:3] scale_offset
	global_load_b64 v[10:11], v6, s[0:1] scale_offset
	s_wait_xcnt 0x0
	v_dual_add_nc_u32 v7, s4, v7 :: v_dual_add_nc_u32 v6, 1, v6
	s_add_co_i32 s5, s5, -1
	s_delay_alu instid0(SALU_CYCLE_1)
	s_cmp_eq_u32 s5, 0
	s_wait_loadcnt 0x0
	v_fmac_f64_e32 v[0:1], v[8:9], v[10:11]
	s_cbranch_scc0 .LBB57_9
; %bb.10:
	s_mov_b32 s5, 0
	s_branch .LBB57_12
.LBB57_11:
	s_mov_b32 s5, -1
                                        ; implicit-def: $vgpr0_vgpr1
                                        ; implicit-def: $vgpr4
.LBB57_12:
	s_delay_alu instid0(SALU_CYCLE_1)
	s_and_b32 vcc_lo, exec_lo, s5
	s_cbranch_vccz .LBB57_14
; %bb.13:
	v_mov_b64_e32 v[0:1], 0
	v_mov_b32_e32 v4, v5
.LBB57_14:
	s_sub_co_i32 s5, s14, s13
	s_delay_alu instid0(SALU_CYCLE_1) | instskip(NEXT) | instid1(SALU_CYCLE_1)
	s_min_i32 s5, s5, s12
	s_cmp_lt_i32 s5, 1
	s_cbranch_scc1 .LBB57_17
; %bb.15:
	s_mul_i32 s12, s12, s12
	v_add_nc_u32_e32 v5, s13, v4
	v_lshl_add_u32 v3, s12, 1, v3
.LBB57_16:                              ; =>This Inner Loop Header: Depth=1
	global_load_b64 v[6:7], v3, s[2:3] scale_offset
	global_load_b64 v[8:9], v5, s[0:1] scale_offset
	s_wait_xcnt 0x0
	v_dual_add_nc_u32 v3, s4, v3 :: v_dual_add_nc_u32 v5, 1, v5
	s_add_co_i32 s5, s5, -1
	s_delay_alu instid0(SALU_CYCLE_1)
	s_cmp_lg_u32 s5, 0
	s_wait_loadcnt 0x0
	v_fmac_f64_e32 v[0:1], v[6:7], v[8:9]
	s_cbranch_scc1 .LBB57_16
.LBB57_17:
	v_add_nc_u32_e32 v2, v2, v4
	s_barrier_signal -1
	s_barrier_wait -1
	global_store_b64 v2, v[0:1], s[0:1] scale_offset
	s_endpgm
	.section	.rodata,"a",@progbits
	.p2align	6, 0x0
	.amdhsa_kernel _ZN9rocsolver6v33100L21syevj_offd_rotate_orgILb1EddPdEEvbiiT2_iilPT0_PiS6_S6_
		.amdhsa_group_segment_fixed_size 0
		.amdhsa_private_segment_fixed_size 0
		.amdhsa_kernarg_size 328
		.amdhsa_user_sgpr_count 2
		.amdhsa_user_sgpr_dispatch_ptr 0
		.amdhsa_user_sgpr_queue_ptr 0
		.amdhsa_user_sgpr_kernarg_segment_ptr 1
		.amdhsa_user_sgpr_dispatch_id 0
		.amdhsa_user_sgpr_kernarg_preload_length 0
		.amdhsa_user_sgpr_kernarg_preload_offset 0
		.amdhsa_user_sgpr_private_segment_size 0
		.amdhsa_wavefront_size32 1
		.amdhsa_uses_dynamic_stack 0
		.amdhsa_enable_private_segment 0
		.amdhsa_system_sgpr_workgroup_id_x 1
		.amdhsa_system_sgpr_workgroup_id_y 1
		.amdhsa_system_sgpr_workgroup_id_z 1
		.amdhsa_system_sgpr_workgroup_info 0
		.amdhsa_system_vgpr_workitem_id 1
		.amdhsa_next_free_vgpr 12
		.amdhsa_next_free_sgpr 20
		.amdhsa_named_barrier_count 0
		.amdhsa_reserve_vcc 1
		.amdhsa_float_round_mode_32 0
		.amdhsa_float_round_mode_16_64 0
		.amdhsa_float_denorm_mode_32 3
		.amdhsa_float_denorm_mode_16_64 3
		.amdhsa_fp16_overflow 0
		.amdhsa_memory_ordered 1
		.amdhsa_forward_progress 1
		.amdhsa_inst_pref_size 7
		.amdhsa_round_robin_scheduling 0
		.amdhsa_exception_fp_ieee_invalid_op 0
		.amdhsa_exception_fp_denorm_src 0
		.amdhsa_exception_fp_ieee_div_zero 0
		.amdhsa_exception_fp_ieee_overflow 0
		.amdhsa_exception_fp_ieee_underflow 0
		.amdhsa_exception_fp_ieee_inexact 0
		.amdhsa_exception_int_div_zero 0
	.end_amdhsa_kernel
	.section	.text._ZN9rocsolver6v33100L21syevj_offd_rotate_orgILb1EddPdEEvbiiT2_iilPT0_PiS6_S6_,"axG",@progbits,_ZN9rocsolver6v33100L21syevj_offd_rotate_orgILb1EddPdEEvbiiT2_iilPT0_PiS6_S6_,comdat
.Lfunc_end57:
	.size	_ZN9rocsolver6v33100L21syevj_offd_rotate_orgILb1EddPdEEvbiiT2_iilPT0_PiS6_S6_, .Lfunc_end57-_ZN9rocsolver6v33100L21syevj_offd_rotate_orgILb1EddPdEEvbiiT2_iilPT0_PiS6_S6_
                                        ; -- End function
	.set _ZN9rocsolver6v33100L21syevj_offd_rotate_orgILb1EddPdEEvbiiT2_iilPT0_PiS6_S6_.num_vgpr, 12
	.set _ZN9rocsolver6v33100L21syevj_offd_rotate_orgILb1EddPdEEvbiiT2_iilPT0_PiS6_S6_.num_agpr, 0
	.set _ZN9rocsolver6v33100L21syevj_offd_rotate_orgILb1EddPdEEvbiiT2_iilPT0_PiS6_S6_.numbered_sgpr, 20
	.set _ZN9rocsolver6v33100L21syevj_offd_rotate_orgILb1EddPdEEvbiiT2_iilPT0_PiS6_S6_.num_named_barrier, 0
	.set _ZN9rocsolver6v33100L21syevj_offd_rotate_orgILb1EddPdEEvbiiT2_iilPT0_PiS6_S6_.private_seg_size, 0
	.set _ZN9rocsolver6v33100L21syevj_offd_rotate_orgILb1EddPdEEvbiiT2_iilPT0_PiS6_S6_.uses_vcc, 1
	.set _ZN9rocsolver6v33100L21syevj_offd_rotate_orgILb1EddPdEEvbiiT2_iilPT0_PiS6_S6_.uses_flat_scratch, 0
	.set _ZN9rocsolver6v33100L21syevj_offd_rotate_orgILb1EddPdEEvbiiT2_iilPT0_PiS6_S6_.has_dyn_sized_stack, 0
	.set _ZN9rocsolver6v33100L21syevj_offd_rotate_orgILb1EddPdEEvbiiT2_iilPT0_PiS6_S6_.has_recursion, 0
	.set _ZN9rocsolver6v33100L21syevj_offd_rotate_orgILb1EddPdEEvbiiT2_iilPT0_PiS6_S6_.has_indirect_call, 0
	.section	.AMDGPU.csdata,"",@progbits
; Kernel info:
; codeLenInByte = 788
; TotalNumSgprs: 22
; NumVgprs: 12
; ScratchSize: 0
; MemoryBound: 0
; FloatMode: 240
; IeeeMode: 1
; LDSByteSize: 0 bytes/workgroup (compile time only)
; SGPRBlocks: 0
; VGPRBlocks: 0
; NumSGPRsForWavesPerEU: 22
; NumVGPRsForWavesPerEU: 12
; NamedBarCnt: 0
; Occupancy: 16
; WaveLimiterHint : 0
; COMPUTE_PGM_RSRC2:SCRATCH_EN: 0
; COMPUTE_PGM_RSRC2:USER_SGPR: 2
; COMPUTE_PGM_RSRC2:TRAP_HANDLER: 0
; COMPUTE_PGM_RSRC2:TGID_X_EN: 1
; COMPUTE_PGM_RSRC2:TGID_Y_EN: 1
; COMPUTE_PGM_RSRC2:TGID_Z_EN: 1
; COMPUTE_PGM_RSRC2:TIDIG_COMP_CNT: 1
	.section	.text._ZN9rocsolver6v33100L17syevj_offd_rotateILb1EddPdEEvbiiT2_iilPT0_PiS6_S6_i,"axG",@progbits,_ZN9rocsolver6v33100L17syevj_offd_rotateILb1EddPdEEvbiiT2_iilPT0_PiS6_S6_i,comdat
	.globl	_ZN9rocsolver6v33100L17syevj_offd_rotateILb1EddPdEEvbiiT2_iilPT0_PiS6_S6_i ; -- Begin function _ZN9rocsolver6v33100L17syevj_offd_rotateILb1EddPdEEvbiiT2_iilPT0_PiS6_S6_i
	.p2align	8
	.type	_ZN9rocsolver6v33100L17syevj_offd_rotateILb1EddPdEEvbiiT2_iilPT0_PiS6_S6_i,@function
_ZN9rocsolver6v33100L17syevj_offd_rotateILb1EddPdEEvbiiT2_iilPT0_PiS6_S6_i: ; @_ZN9rocsolver6v33100L17syevj_offd_rotateILb1EddPdEEvbiiT2_iilPT0_PiS6_S6_i
; %bb.0:
	s_clause 0x1
	s_load_b96 s[20:22], s[0:1], 0x0
	s_load_b32 s30, s[0:1], 0x48
	s_bfe_u32 s4, ttmp6, 0x40014
	s_lshr_b32 s3, ttmp7, 16
	s_add_co_i32 s4, s4, 1
	s_delay_alu instid0(SALU_CYCLE_1) | instskip(SKIP_3) | instid1(SALU_CYCLE_1)
	s_mul_i32 s6, s3, s4
	s_getreg_b32 s4, hwreg(HW_REG_IB_STS2, 6, 4)
	s_wait_kmcnt 0x0
	s_abs_i32 s5, s21
	s_cvt_f32_u32 s2, s5
	s_delay_alu instid0(SALU_CYCLE_3) | instskip(SKIP_1) | instid1(SALU_CYCLE_1)
	v_rcp_iflag_f32_e32 v1, s2
	s_bfe_u32 s2, ttmp6, 0x40008
	s_add_co_i32 s6, s2, s6
	s_cmp_eq_u32 s4, 0
	s_cselect_b32 s24, s3, s6
	v_nop
	s_delay_alu instid0(TRANS32_DEP_1)
	v_readfirstlane_b32 s2, v1
	s_cmp_ge_u32 s24, s30
	s_mov_b32 s3, 0
	s_cbranch_scc1 .LBB58_35
; %bb.1:
	s_mul_f32 s2, s2, 0x4f7ffffe
	s_add_co_i32 s6, s22, -1
	s_ashr_i32 s8, s21, 31
	s_mov_b32 s7, s3
	s_cvt_u32_f32 s9, s2
	s_sub_co_i32 s2, 0, s5
	s_ashr_i32 s10, s6, 31
	s_clause 0x1
	s_load_b128 s[12:15], s[0:1], 0x50
	s_load_b64 s[26:27], s[0:1], 0x40
	s_mul_i32 s2, s2, s9
	s_load_b128 s[16:19], s[0:1], 0x10
	s_mul_hi_u32 s11, s9, s2
	s_abs_i32 s2, s6
	s_add_co_i32 s6, s9, s11
	s_bitcmp1_b32 s20, 0
	s_mul_u64 s[6:7], s[2:3], s[6:7]
	s_cselect_b32 s6, -1, 0
	s_xor_b32 s8, s10, s8
	v_cndmask_b32_e64 v6, 0, 1, s6
	s_xor_b32 s20, s6, -1
	s_mul_i32 s6, s7, s5
	v_and_b32_e32 v7, 0x3ff, v0
	s_sub_co_i32 s2, s2, s6
	s_add_co_i32 s6, s7, 1
	s_sub_co_i32 s9, s2, s5
	s_cmp_ge_u32 s2, s5
	v_bfe_u32 v8, v0, 10, 10
	s_cselect_b32 s6, s6, s7
	s_cselect_b32 s2, s9, s2
	s_add_co_i32 s7, s6, 1
	s_cmp_ge_u32 s2, s5
	s_mov_b64 s[28:29], src_shared_base
	s_cselect_b32 s2, s7, s6
	s_bfe_u32 s5, ttmp6, 0x40010
	s_xor_b32 s2, s2, s8
	s_bfe_u32 s7, ttmp6, 0x4000c
	s_sub_co_i32 s31, s2, s8
	s_and_b32 s23, ttmp7, 0xffff
	s_add_co_i32 s34, s31, 1
	s_add_co_i32 s5, s5, 1
	s_lshr_b32 s2, s34, 31
	s_add_co_i32 s7, s7, 1
	s_add_co_i32 s2, s34, s2
	s_bfe_u32 s6, ttmp6, 0x40004
	s_and_b32 s2, s2, -2
	s_mul_i32 s5, s23, s5
	s_sub_co_i32 s2, s34, s2
	s_mul_i32 s7, ttmp9, s7
	s_add_co_i32 s2, s2, s34
	s_wait_kmcnt 0x0
	s_lshr_b32 s33, s15, 16
	s_lshr_b32 s8, s2, 31
	s_and_b32 s15, s15, 0xffff
	s_add_co_i32 s2, s2, s8
	s_add_co_i32 s25, s6, s5
	s_ashr_i32 s35, s2, 1
	s_and_b32 s2, ttmp6, 15
	v_mad_u32_u24 v9, v8, s15, v7
	s_add_co_i32 s2, s2, s7
	s_cmp_eq_u32 s4, 0
	s_load_b256 s[4:11], s[0:1], 0x20
	s_cselect_b32 s36, ttmp9, s2
	s_cselect_b32 s37, s23, s25
	s_lshl_b32 s38, s21, 1
	s_mov_b32 s40, s29
	s_wait_xcnt 0x0
	s_mul_i32 s0, s38, s21
	v_dual_lshlrev_b32 v0, 3, v9 :: v_dual_lshlrev_b32 v12, 3, v8
	s_lshl_b32 s1, s0, 3
	s_mul_i32 s0, s0, 3
	s_add_co_i32 s39, s1, 0
	s_cmp_lt_u32 s0, 0x2001
	s_mul_i32 s1, s21, s21
	s_cselect_b32 s41, -1, 0
	s_ashr_i32 s29, s18, 31
	s_lshl_b32 s42, s1, 2
	s_cmp_lt_u32 s36, s35
	s_mul_i32 s0, s31, s21
	s_cselect_b32 s43, -1, 0
	s_sub_co_i32 s44, s22, s0
	s_cmp_lt_u32 s37, s34
	s_mov_b32 s28, s18
	s_cselect_b32 s46, -1, 0
	s_lshl_b32 s1, s1, 4
	v_cmp_gt_u32_e64 s0, s42, v9
	v_add3_u32 v10, 0, s1, v0
	v_lshl_add_u32 v11, v7, 3, 0
	v_mov_b32_e32 v1, 0
	s_mul_i32 s45, s33, s15
	s_ashr_i32 s23, s19, 31
	s_mov_b32 s22, s19
	s_lshl_b64 s[18:19], s[28:29], 3
	s_lshl_b32 s47, s45, 3
	s_add_nc_u64 s[16:17], s[16:17], s[18:19]
	s_lshl_b32 s48, s33, 3
	s_lshl_b32 s49, s15, 3
	s_branch .LBB58_3
.LBB58_2:                               ;   in Loop: Header=BB58_3 Depth=1
	s_add_co_i32 s24, s24, s14
	s_delay_alu instid0(SALU_CYCLE_1)
	s_cmp_ge_u32 s24, s30
	s_cbranch_scc1 .LBB58_35
.LBB58_3:                               ; =>This Loop Header: Depth=1
                                        ;     Child Loop BB58_7 Depth 2
                                        ;       Child Loop BB58_11 Depth 3
                                        ;       Child Loop BB58_17 Depth 3
                                        ;         Child Loop BB58_23 Depth 4
                                        ;           Child Loop BB58_25 Depth 5
                                        ;         Child Loop BB58_29 Depth 4
                                        ;           Child Loop BB58_32 Depth 5
                                        ;             Child Loop BB58_34 Depth 6
	s_load_b32 s1, s[26:27], s24 offset:0x4 scale_offset
	s_wait_kmcnt 0x0
	s_cmp_lg_u32 s1, 0
	s_cbranch_scc1 .LBB58_2
; %bb.4:                                ;   in Loop: Header=BB58_3 Depth=1
	s_and_not1_b32 vcc_lo, exec_lo, s43
	s_cbranch_vccnz .LBB58_2
; %bb.5:                                ;   in Loop: Header=BB58_3 Depth=1
	s_mov_b32 s25, s3
	s_mov_b32 s50, s36
	s_mul_u64 s[18:19], s[4:5], s[24:25]
	s_mul_i32 s25, s24, s35
	s_lshl_b64 s[18:19], s[18:19], 3
	s_delay_alu instid0(SALU_CYCLE_1)
	s_add_nc_u64 s[18:19], s[16:17], s[18:19]
	s_branch .LBB58_7
.LBB58_6:                               ;   in Loop: Header=BB58_7 Depth=2
	s_add_co_i32 s50, s50, s12
	s_delay_alu instid0(SALU_CYCLE_1)
	s_cmp_lt_u32 s50, s35
	s_cbranch_scc0 .LBB58_2
.LBB58_7:                               ;   Parent Loop BB58_3 Depth=1
                                        ; =>  This Loop Header: Depth=2
                                        ;       Child Loop BB58_11 Depth 3
                                        ;       Child Loop BB58_17 Depth 3
                                        ;         Child Loop BB58_23 Depth 4
                                        ;           Child Loop BB58_25 Depth 5
                                        ;         Child Loop BB58_29 Depth 4
                                        ;           Child Loop BB58_32 Depth 5
                                        ;             Child Loop BB58_34 Depth 6
	s_load_b32 s1, s[10:11], s50 offset:0x0 scale_offset
	s_load_b32 s52, s[8:9], s50 offset:0x0 scale_offset
	s_wait_kmcnt 0x0
	s_max_i32 s51, s52, s1
	s_delay_alu instid0(SALU_CYCLE_1)
	s_cmp_gt_i32 s51, s31
	s_cbranch_scc1 .LBB58_6
; %bb.8:                                ;   in Loop: Header=BB58_7 Depth=2
	s_add_co_i32 s2, s50, s25
	s_and_not1_b32 vcc_lo, exec_lo, s41
	s_mul_i32 s2, s42, s2
	s_delay_alu instid0(SALU_CYCLE_1) | instskip(NEXT) | instid1(SALU_CYCLE_1)
	s_lshl_b64 s[28:29], s[2:3], 3
	s_add_nc_u64 s[28:29], s[6:7], s[28:29]
	s_cbranch_vccnz .LBB58_13
; %bb.9:                                ;   in Loop: Header=BB58_7 Depth=2
	s_barrier_signal -1
	s_barrier_wait -1
	s_and_saveexec_b32 s2, s0
	s_cbranch_execz .LBB58_12
; %bb.10:                               ;   in Loop: Header=BB58_7 Depth=2
	v_dual_mov_b32 v0, v10 :: v_dual_mov_b32 v2, v9
	s_mov_b32 s53, 0
.LBB58_11:                              ;   Parent Loop BB58_3 Depth=1
                                        ;     Parent Loop BB58_7 Depth=2
                                        ; =>    This Inner Loop Header: Depth=3
	global_load_b64 v[4:5], v2, s[28:29] scale_offset
	s_wait_xcnt 0x0
	v_add_nc_u32_e32 v2, s45, v2
	s_wait_loadcnt 0x0
	ds_store_b64 v0, v[4:5]
	v_add_nc_u32_e32 v0, s47, v0
	v_cmp_le_u32_e32 vcc_lo, s42, v2
	s_or_b32 s53, vcc_lo, s53
	s_delay_alu instid0(SALU_CYCLE_1)
	s_and_not1_b32 exec_lo, exec_lo, s53
	s_cbranch_execnz .LBB58_11
.LBB58_12:                              ;   in Loop: Header=BB58_7 Depth=2
	s_or_b32 exec_lo, exec_lo, s2
	s_wait_dscnt 0x0
	s_barrier_signal -1
	s_barrier_wait -1
.LBB58_13:                              ;   in Loop: Header=BB58_7 Depth=2
	s_and_not1_b32 vcc_lo, exec_lo, s46
	s_cbranch_vccnz .LBB58_6
; %bb.14:                               ;   in Loop: Header=BB58_7 Depth=2
	s_min_i32 s52, s1, s52
	s_mul_i32 s2, s51, s21
	s_cmp_eq_u32 s52, s31
	s_mul_i32 s57, s52, s21
	s_cselect_b32 s53, s44, s21
	s_cmp_eq_u32 s51, s31
	s_mov_b32 s59, s37
	s_cselect_b32 s1, s44, s21
	s_delay_alu instid0(SALU_CYCLE_1)
	s_add_co_i32 s54, s53, s1
	s_and_b32 s1, s41, exec_lo
	v_mul_lo_u32 v0, v12, s54
	s_cselect_b32 s29, s40, s29
	s_cselect_b32 s28, s39, s28
	v_cmp_gt_u32_e64 s1, s54, v7
	s_sub_co_i32 s55, s2, s53
	s_cmp_gt_i32 s54, 0
	s_mul_i32 s58, s48, s54
	s_cselect_b32 s56, -1, 0
	v_dual_add_nc_u32 v13, v11, v0 :: v_dual_add_nc_u32 v14, 0, v0
	s_branch .LBB58_17
.LBB58_15:                              ;   in Loop: Header=BB58_17 Depth=3
	s_or_b32 exec_lo, exec_lo, s2
	s_wait_storecnt 0x0
	s_barrier_signal -1
	s_barrier_wait -1
.LBB58_16:                              ;   in Loop: Header=BB58_17 Depth=3
	s_add_co_i32 s59, s59, s13
	s_delay_alu instid0(SALU_CYCLE_1)
	s_cmp_lt_u32 s59, s34
	s_cbranch_scc0 .LBB58_6
.LBB58_17:                              ;   Parent Loop BB58_3 Depth=1
                                        ;     Parent Loop BB58_7 Depth=2
                                        ; =>    This Loop Header: Depth=3
                                        ;         Child Loop BB58_23 Depth 4
                                        ;           Child Loop BB58_25 Depth 5
                                        ;         Child Loop BB58_29 Depth 4
                                        ;           Child Loop BB58_32 Depth 5
                                        ;             Child Loop BB58_34 Depth 6
	v_cmp_ne_u32_e32 vcc_lo, 1, v6
	s_mov_b32 s2, s20
	s_cbranch_vccz .LBB58_19
; %bb.18:                               ;   in Loop: Header=BB58_17 Depth=3
	s_and_not1_b32 vcc_lo, exec_lo, s2
	s_cbranch_vccnz .LBB58_16
	s_branch .LBB58_20
.LBB58_19:                              ;   in Loop: Header=BB58_17 Depth=3
	s_cmp_lg_u32 s59, s52
	s_cselect_b32 s2, -1, 0
	s_cmp_lg_u32 s59, s51
	s_cselect_b32 s60, -1, 0
	s_delay_alu instid0(SALU_CYCLE_1) | instskip(NEXT) | instid1(SALU_CYCLE_1)
	s_and_b32 s2, s2, s60
	s_and_not1_b32 vcc_lo, exec_lo, s2
	s_cbranch_vccnz .LBB58_16
.LBB58_20:                              ;   in Loop: Header=BB58_17 Depth=3
	s_cmp_eq_u32 s59, s31
	s_mul_i32 s61, s59, s21
	s_cselect_b32 s60, s44, s21
	s_delay_alu instid0(SALU_CYCLE_1)
	v_cmp_gt_u32_e32 vcc_lo, s60, v8
	s_barrier_signal -1
	s_barrier_wait -1
	s_and_saveexec_b32 s62, vcc_lo
	s_cbranch_execz .LBB58_26
; %bb.21:                               ;   in Loop: Header=BB58_17 Depth=3
	v_dual_mov_b32 v4, v13 :: v_dual_mov_b32 v5, v8
	s_mov_b32 s63, 0
	s_branch .LBB58_23
.LBB58_22:                              ;   in Loop: Header=BB58_23 Depth=4
	s_or_b32 exec_lo, exec_lo, s64
	v_dual_add_nc_u32 v5, s33, v5 :: v_dual_add_nc_u32 v4, s58, v4
	s_delay_alu instid0(VALU_DEP_1) | instskip(SKIP_1) | instid1(SALU_CYCLE_1)
	v_cmp_le_u32_e64 s2, s60, v5
	s_or_b32 s63, s2, s63
	s_and_not1_b32 exec_lo, exec_lo, s63
	s_cbranch_execz .LBB58_26
.LBB58_23:                              ;   Parent Loop BB58_3 Depth=1
                                        ;     Parent Loop BB58_7 Depth=2
                                        ;       Parent Loop BB58_17 Depth=3
                                        ; =>      This Loop Header: Depth=4
                                        ;           Child Loop BB58_25 Depth 5
	s_and_saveexec_b32 s64, s1
	s_cbranch_execz .LBB58_22
; %bb.24:                               ;   in Loop: Header=BB58_23 Depth=4
	v_dual_mov_b32 v15, v4 :: v_dual_add_nc_u32 v0, s61, v5
	v_mov_b32_e32 v16, v7
	s_mov_b32 s65, 0
	s_delay_alu instid0(VALU_DEP_2) | instskip(NEXT) | instid1(VALU_DEP_1)
	v_mul_u64_e32 v[2:3], s[22:23], v[0:1]
	v_lshl_add_u64 v[2:3], v[2:3], 3, s[18:19]
.LBB58_25:                              ;   Parent Loop BB58_3 Depth=1
                                        ;     Parent Loop BB58_7 Depth=2
                                        ;       Parent Loop BB58_17 Depth=3
                                        ;         Parent Loop BB58_23 Depth=4
                                        ; =>        This Inner Loop Header: Depth=5
	v_mov_b32_e32 v0, s57
	v_cmp_gt_u32_e64 s2, s53, v16
	s_delay_alu instid0(VALU_DEP_1) | instskip(NEXT) | instid1(VALU_DEP_1)
	v_cndmask_b32_e64 v0, s55, v0, s2
	v_dual_add_nc_u32 v0, v0, v16 :: v_dual_add_nc_u32 v16, s15, v16
	s_delay_alu instid0(VALU_DEP_1) | instskip(NEXT) | instid1(VALU_DEP_2)
	v_lshl_add_u64 v[18:19], v[0:1], 3, v[2:3]
	v_cmp_le_u32_e64 s2, s54, v16
	global_load_b64 v[18:19], v[18:19], off
	s_or_b32 s65, s2, s65
	s_wait_loadcnt 0x0
	ds_store_b64 v15, v[18:19]
	v_add_nc_u32_e32 v15, s49, v15
	s_wait_xcnt 0x0
	s_and_not1_b32 exec_lo, exec_lo, s65
	s_cbranch_execnz .LBB58_25
	s_branch .LBB58_22
.LBB58_26:                              ;   in Loop: Header=BB58_17 Depth=3
	s_or_b32 exec_lo, exec_lo, s62
	s_wait_dscnt 0x0
	s_barrier_signal -1
	s_barrier_wait -1
	s_and_saveexec_b32 s2, vcc_lo
	s_cbranch_execz .LBB58_15
; %bb.27:                               ;   in Loop: Header=BB58_17 Depth=3
	v_dual_mov_b32 v15, v14 :: v_dual_mov_b32 v16, v8
	s_mov_b32 s62, 0
	s_branch .LBB58_29
.LBB58_28:                              ;   in Loop: Header=BB58_29 Depth=4
	s_or_b32 exec_lo, exec_lo, s63
	v_dual_add_nc_u32 v16, s33, v16 :: v_dual_add_nc_u32 v15, s58, v15
	s_delay_alu instid0(VALU_DEP_1) | instskip(SKIP_1) | instid1(SALU_CYCLE_1)
	v_cmp_le_u32_e32 vcc_lo, s60, v16
	s_or_b32 s62, vcc_lo, s62
	s_and_not1_b32 exec_lo, exec_lo, s62
	s_cbranch_execz .LBB58_15
.LBB58_29:                              ;   Parent Loop BB58_3 Depth=1
                                        ;     Parent Loop BB58_7 Depth=2
                                        ;       Parent Loop BB58_17 Depth=3
                                        ; =>      This Loop Header: Depth=4
                                        ;           Child Loop BB58_32 Depth 5
                                        ;             Child Loop BB58_34 Depth 6
	s_and_saveexec_b32 s63, s1
	s_cbranch_execz .LBB58_28
; %bb.30:                               ;   in Loop: Header=BB58_29 Depth=4
	v_dual_mov_b32 v17, v7 :: v_dual_add_nc_u32 v0, s61, v16
	s_mov_b32 s64, 0
	s_delay_alu instid0(VALU_DEP_1) | instskip(NEXT) | instid1(VALU_DEP_1)
	v_mul_u64_e32 v[2:3], s[22:23], v[0:1]
	v_lshl_add_u64 v[2:3], v[2:3], 3, s[18:19]
	s_branch .LBB58_32
.LBB58_31:                              ;   in Loop: Header=BB58_32 Depth=5
	v_mov_b32_e32 v0, s57
	v_cmp_gt_u32_e32 vcc_lo, s53, v17
	s_delay_alu instid0(VALU_DEP_2) | instskip(NEXT) | instid1(VALU_DEP_1)
	v_cndmask_b32_e32 v0, s55, v0, vcc_lo
	v_dual_add_nc_u32 v0, v17, v0 :: v_dual_add_nc_u32 v17, s15, v17
	s_delay_alu instid0(VALU_DEP_1) | instskip(NEXT) | instid1(VALU_DEP_2)
	v_lshl_add_u64 v[18:19], v[0:1], 3, v[2:3]
	v_cmp_le_u32_e32 vcc_lo, s54, v17
	global_store_b64 v[18:19], v[4:5], off
	s_or_b32 s64, vcc_lo, s64
	s_wait_xcnt 0x0
	s_and_not1_b32 exec_lo, exec_lo, s64
	s_cbranch_execz .LBB58_28
.LBB58_32:                              ;   Parent Loop BB58_3 Depth=1
                                        ;     Parent Loop BB58_7 Depth=2
                                        ;       Parent Loop BB58_17 Depth=3
                                        ;         Parent Loop BB58_29 Depth=4
                                        ; =>        This Loop Header: Depth=5
                                        ;             Child Loop BB58_34 Depth 6
	v_mov_b64_e32 v[4:5], 0
	s_and_not1_b32 vcc_lo, exec_lo, s56
	s_cbranch_vccnz .LBB58_31
; %bb.33:                               ;   in Loop: Header=BB58_32 Depth=5
	v_dual_mov_b32 v0, v17 :: v_dual_mov_b32 v18, v15
	s_mov_b32 s65, s54
.LBB58_34:                              ;   Parent Loop BB58_3 Depth=1
                                        ;     Parent Loop BB58_7 Depth=2
                                        ;       Parent Loop BB58_17 Depth=3
                                        ;         Parent Loop BB58_29 Depth=4
                                        ;           Parent Loop BB58_32 Depth=5
                                        ; =>          This Inner Loop Header: Depth=6
	flat_load_b64 v[20:21], v0, s[28:29] scale_offset
	ds_load_b64 v[22:23], v18
	s_wait_xcnt 0x0
	v_dual_add_nc_u32 v18, 8, v18 :: v_dual_add_nc_u32 v0, s38, v0
	s_add_co_i32 s65, s65, -1
	s_delay_alu instid0(SALU_CYCLE_1)
	s_cmp_eq_u32 s65, 0
	s_wait_loadcnt_dscnt 0x0
	v_fmac_f64_e32 v[4:5], v[20:21], v[22:23]
	s_cbranch_scc0 .LBB58_34
	s_branch .LBB58_31
.LBB58_35:
	s_endpgm
	.section	.rodata,"a",@progbits
	.p2align	6, 0x0
	.amdhsa_kernel _ZN9rocsolver6v33100L17syevj_offd_rotateILb1EddPdEEvbiiT2_iilPT0_PiS6_S6_i
		.amdhsa_group_segment_fixed_size 0
		.amdhsa_private_segment_fixed_size 0
		.amdhsa_kernarg_size 336
		.amdhsa_user_sgpr_count 2
		.amdhsa_user_sgpr_dispatch_ptr 0
		.amdhsa_user_sgpr_queue_ptr 0
		.amdhsa_user_sgpr_kernarg_segment_ptr 1
		.amdhsa_user_sgpr_dispatch_id 0
		.amdhsa_user_sgpr_kernarg_preload_length 0
		.amdhsa_user_sgpr_kernarg_preload_offset 0
		.amdhsa_user_sgpr_private_segment_size 0
		.amdhsa_wavefront_size32 1
		.amdhsa_uses_dynamic_stack 0
		.amdhsa_enable_private_segment 0
		.amdhsa_system_sgpr_workgroup_id_x 1
		.amdhsa_system_sgpr_workgroup_id_y 1
		.amdhsa_system_sgpr_workgroup_id_z 1
		.amdhsa_system_sgpr_workgroup_info 0
		.amdhsa_system_vgpr_workitem_id 1
		.amdhsa_next_free_vgpr 24
		.amdhsa_next_free_sgpr 66
		.amdhsa_named_barrier_count 0
		.amdhsa_reserve_vcc 1
		.amdhsa_float_round_mode_32 0
		.amdhsa_float_round_mode_16_64 0
		.amdhsa_float_denorm_mode_32 3
		.amdhsa_float_denorm_mode_16_64 3
		.amdhsa_fp16_overflow 0
		.amdhsa_memory_ordered 1
		.amdhsa_forward_progress 1
		.amdhsa_inst_pref_size 13
		.amdhsa_round_robin_scheduling 0
		.amdhsa_exception_fp_ieee_invalid_op 0
		.amdhsa_exception_fp_denorm_src 0
		.amdhsa_exception_fp_ieee_div_zero 0
		.amdhsa_exception_fp_ieee_overflow 0
		.amdhsa_exception_fp_ieee_underflow 0
		.amdhsa_exception_fp_ieee_inexact 0
		.amdhsa_exception_int_div_zero 0
	.end_amdhsa_kernel
	.section	.text._ZN9rocsolver6v33100L17syevj_offd_rotateILb1EddPdEEvbiiT2_iilPT0_PiS6_S6_i,"axG",@progbits,_ZN9rocsolver6v33100L17syevj_offd_rotateILb1EddPdEEvbiiT2_iilPT0_PiS6_S6_i,comdat
.Lfunc_end58:
	.size	_ZN9rocsolver6v33100L17syevj_offd_rotateILb1EddPdEEvbiiT2_iilPT0_PiS6_S6_i, .Lfunc_end58-_ZN9rocsolver6v33100L17syevj_offd_rotateILb1EddPdEEvbiiT2_iilPT0_PiS6_S6_i
                                        ; -- End function
	.set _ZN9rocsolver6v33100L17syevj_offd_rotateILb1EddPdEEvbiiT2_iilPT0_PiS6_S6_i.num_vgpr, 24
	.set _ZN9rocsolver6v33100L17syevj_offd_rotateILb1EddPdEEvbiiT2_iilPT0_PiS6_S6_i.num_agpr, 0
	.set _ZN9rocsolver6v33100L17syevj_offd_rotateILb1EddPdEEvbiiT2_iilPT0_PiS6_S6_i.numbered_sgpr, 66
	.set _ZN9rocsolver6v33100L17syevj_offd_rotateILb1EddPdEEvbiiT2_iilPT0_PiS6_S6_i.num_named_barrier, 0
	.set _ZN9rocsolver6v33100L17syevj_offd_rotateILb1EddPdEEvbiiT2_iilPT0_PiS6_S6_i.private_seg_size, 0
	.set _ZN9rocsolver6v33100L17syevj_offd_rotateILb1EddPdEEvbiiT2_iilPT0_PiS6_S6_i.uses_vcc, 1
	.set _ZN9rocsolver6v33100L17syevj_offd_rotateILb1EddPdEEvbiiT2_iilPT0_PiS6_S6_i.uses_flat_scratch, 0
	.set _ZN9rocsolver6v33100L17syevj_offd_rotateILb1EddPdEEvbiiT2_iilPT0_PiS6_S6_i.has_dyn_sized_stack, 0
	.set _ZN9rocsolver6v33100L17syevj_offd_rotateILb1EddPdEEvbiiT2_iilPT0_PiS6_S6_i.has_recursion, 0
	.set _ZN9rocsolver6v33100L17syevj_offd_rotateILb1EddPdEEvbiiT2_iilPT0_PiS6_S6_i.has_indirect_call, 0
	.section	.AMDGPU.csdata,"",@progbits
; Kernel info:
; codeLenInByte = 1560
; TotalNumSgprs: 68
; NumVgprs: 24
; ScratchSize: 0
; MemoryBound: 0
; FloatMode: 240
; IeeeMode: 1
; LDSByteSize: 0 bytes/workgroup (compile time only)
; SGPRBlocks: 0
; VGPRBlocks: 1
; NumSGPRsForWavesPerEU: 68
; NumVGPRsForWavesPerEU: 24
; NamedBarCnt: 0
; Occupancy: 16
; WaveLimiterHint : 1
; COMPUTE_PGM_RSRC2:SCRATCH_EN: 0
; COMPUTE_PGM_RSRC2:USER_SGPR: 2
; COMPUTE_PGM_RSRC2:TRAP_HANDLER: 0
; COMPUTE_PGM_RSRC2:TGID_X_EN: 1
; COMPUTE_PGM_RSRC2:TGID_Y_EN: 1
; COMPUTE_PGM_RSRC2:TGID_Z_EN: 1
; COMPUTE_PGM_RSRC2:TIDIG_COMP_CNT: 1
	.section	.text._ZN9rocsolver6v33100L17syevj_cycle_pairsIdEEviPiS2_,"axG",@progbits,_ZN9rocsolver6v33100L17syevj_cycle_pairsIdEEviPiS2_,comdat
	.globl	_ZN9rocsolver6v33100L17syevj_cycle_pairsIdEEviPiS2_ ; -- Begin function _ZN9rocsolver6v33100L17syevj_cycle_pairsIdEEviPiS2_
	.p2align	8
	.type	_ZN9rocsolver6v33100L17syevj_cycle_pairsIdEEviPiS2_,@function
_ZN9rocsolver6v33100L17syevj_cycle_pairsIdEEviPiS2_: ; @_ZN9rocsolver6v33100L17syevj_cycle_pairsIdEEviPiS2_
; %bb.0:
	s_clause 0x2
	s_load_b32 s8, s[0:1], 0x0
	s_load_b128 s[4:7], s[0:1], 0x8
	s_load_b32 s2, s[0:1], 0x24
	s_mov_b32 s3, -1
	s_wait_xcnt 0x0
	s_mov_b32 s1, exec_lo
	s_wait_kmcnt 0x0
	s_add_co_i32 s0, s8, -1
	v_cmpx_eq_u32_e32 0, v0
	s_cbranch_execz .LBB59_6
; %bb.1:
	s_lshl_b32 s9, s0, 1
	s_bfe_i32 s11, s0, 0x1001e
	s_or_b32 s10, s9, 1
	s_delay_alu instid0(SALU_CYCLE_1) | instskip(NEXT) | instid1(SALU_CYCLE_1)
	s_add_co_i32 s12, s10, s11
	s_xor_b32 s11, s12, s11
	s_delay_alu instid0(SALU_CYCLE_1) | instskip(SKIP_1) | instid1(SALU_CYCLE_2)
	s_cvt_f32_u32 s12, s11
	s_sub_co_i32 s14, 0, s11
	v_rcp_iflag_f32_e32 v1, s12
	s_load_b32 s12, s[6:7], 0x0
	v_nop
	s_delay_alu instid0(TRANS32_DEP_1) | instskip(SKIP_1) | instid1(SALU_CYCLE_3)
	v_readfirstlane_b32 s13, v1
	s_mul_f32 s13, s13, 0x4f7ffffe
	s_cvt_u32_f32 s13, s13
	s_delay_alu instid0(SALU_CYCLE_3)
	s_mul_i32 s14, s14, s13
	s_wait_kmcnt 0x0
	s_add_co_i32 s12, s12, -1
	s_mul_hi_u32 s14, s13, s14
	s_abs_i32 s15, s12
	s_add_co_i32 s13, s13, s14
	s_ashr_i32 s12, s12, 31
	s_mul_hi_u32 s13, s15, s13
	s_delay_alu instid0(SALU_CYCLE_1) | instskip(NEXT) | instid1(SALU_CYCLE_1)
	s_mul_i32 s13, s13, s11
	s_sub_co_i32 s13, s15, s13
	s_delay_alu instid0(SALU_CYCLE_1) | instskip(SKIP_2) | instid1(SALU_CYCLE_1)
	s_sub_co_i32 s14, s13, s11
	s_cmp_ge_u32 s13, s11
	s_cselect_b32 s13, s14, s13
	s_sub_co_i32 s14, s13, s11
	s_cmp_ge_u32 s13, s11
	s_cselect_b32 s11, s14, s13
	s_delay_alu instid0(SALU_CYCLE_1) | instskip(NEXT) | instid1(SALU_CYCLE_1)
	s_xor_b32 s11, s11, s12
	s_sub_co_i32 s11, s11, s12
                                        ; implicit-def: $sgpr12
	s_delay_alu instid0(SALU_CYCLE_1)
	s_bitcmp0_b32 s11, 0
	s_cbranch_scc1 .LBB59_3
; %bb.2:
	s_add_co_i32 s3, s11, 3
	s_delay_alu instid0(SALU_CYCLE_1)
	s_cmp_gt_i32 s3, s9
	s_cselect_b32 s12, s10, s3
	s_mov_b32 s3, 0
.LBB59_3:
	s_delay_alu instid0(SALU_CYCLE_1)
	s_and_not1_b32 vcc_lo, exec_lo, s3
	s_cbranch_vccnz .LBB59_5
; %bb.4:
	s_add_co_i32 s3, s11, -1
	s_cmp_gt_i32 s11, 1
	s_cselect_b32 s12, s3, 2
.LBB59_5:
	s_delay_alu instid0(SALU_CYCLE_1)
	v_dual_mov_b32 v1, 0 :: v_dual_mov_b32 v2, s12
	global_store_b32 v1, v2, s[6:7]
.LBB59_6:
	s_wait_xcnt 0x0
	s_or_b32 exec_lo, exec_lo, s1
	v_add_nc_u32_e32 v8, 1, v0
	s_mov_b32 s1, exec_lo
	s_delay_alu instid0(VALU_DEP_1)
	v_cmpx_gt_i32_e64 s8, v8
	s_cbranch_execz .LBB59_17
; %bb.7:
	s_lshl_b32 s9, s0, 1
	v_lshlrev_b32_e32 v0, 2, v0
	s_or_b32 s10, s9, 1
	s_and_b32 s11, 0xffff, s2
	s_cvt_f32_u32 s0, s10
	s_sub_co_i32 s2, 0, s10
	s_mov_b32 s1, 0
	s_delay_alu instid0(SALU_CYCLE_1) | instskip(SKIP_1) | instid1(TRANS32_DEP_1)
	v_rcp_iflag_f32_e32 v1, s0
	v_nop
	v_readfirstlane_b32 s0, v1
	v_mov_b32_e32 v1, 0
	s_mul_f32 s0, s0, 0x4f7ffffe
	s_delay_alu instid0(VALU_DEP_1) | instskip(NEXT) | instid1(SALU_CYCLE_2)
	v_add_nc_u64_e32 v[2:3], 4, v[0:1]
	s_cvt_u32_f32 s0, s0
	s_delay_alu instid0(SALU_CYCLE_3)
	s_mul_i32 s3, s2, s0
	s_lshl_b32 s2, s11, 2
	s_mul_hi_u32 s12, s0, s3
	s_mov_b32 s3, s1
	s_add_co_i32 s0, s0, s12
	s_mov_b32 s12, s1
	s_branch .LBB59_9
.LBB59_8:                               ;   in Loop: Header=BB59_9 Depth=1
	s_or_b32 exec_lo, exec_lo, s13
	v_add_nc_u32_e32 v8, s11, v8
	v_add_nc_u64_e32 v[2:3], s[2:3], v[2:3]
	global_store_b32 v[4:5], v0, off
	v_cmp_le_i32_e32 vcc_lo, s8, v8
	s_or_b32 s12, vcc_lo, s12
	s_wait_xcnt 0x0
	s_and_not1_b32 exec_lo, exec_lo, s12
	s_cbranch_execz .LBB59_17
.LBB59_9:                               ; =>This Inner Loop Header: Depth=1
	v_add_nc_u64_e32 v[6:7], s[4:5], v[2:3]
	global_load_b32 v0, v[6:7], off
	s_wait_loadcnt 0x0
	v_add_nc_u32_e32 v9, -1, v0
	s_delay_alu instid0(VALU_DEP_1) | instskip(NEXT) | instid1(VALU_DEP_1)
	v_sub_nc_u32_e32 v0, 0, v9
	v_max_i32_e32 v0, v9, v0
	s_delay_alu instid0(VALU_DEP_1) | instskip(NEXT) | instid1(VALU_DEP_1)
	v_mul_u64_e32 v[4:5], s[0:1], v[0:1]
	v_mul_lo_u32 v4, v5, s10
	s_delay_alu instid0(VALU_DEP_1) | instskip(NEXT) | instid1(VALU_DEP_1)
	v_dual_ashrrev_i32 v5, 31, v9 :: v_dual_sub_nc_u32 v0, v0, v4
	v_subrev_nc_u32_e32 v4, s10, v0
	v_cmp_le_u32_e32 vcc_lo, s10, v0
	s_delay_alu instid0(VALU_DEP_2) | instskip(NEXT) | instid1(VALU_DEP_1)
	v_cndmask_b32_e32 v0, v0, v4, vcc_lo
	v_subrev_nc_u32_e32 v4, s10, v0
	v_cmp_le_u32_e32 vcc_lo, s10, v0
	s_delay_alu instid0(VALU_DEP_2) | instskip(NEXT) | instid1(VALU_DEP_1)
	v_cndmask_b32_e32 v0, v0, v4, vcc_lo
	v_xor_b32_e32 v0, v0, v5
	s_delay_alu instid0(VALU_DEP_1) | instskip(NEXT) | instid1(VALU_DEP_1)
	v_sub_nc_u32_e32 v4, v0, v5
	v_and_b32_e32 v0, 1, v4
	s_delay_alu instid0(VALU_DEP_1) | instskip(SKIP_2) | instid1(SALU_CYCLE_1)
	v_cmp_eq_u32_e32 vcc_lo, 1, v0
                                        ; implicit-def: $vgpr0
	s_wait_xcnt 0x0
	s_and_saveexec_b32 s13, vcc_lo
	s_xor_b32 s13, exec_lo, s13
; %bb.10:                               ;   in Loop: Header=BB59_9 Depth=1
	v_add_nc_u32_e32 v0, 3, v4
                                        ; implicit-def: $vgpr4
	s_delay_alu instid0(VALU_DEP_1)
	v_cmp_lt_i32_e32 vcc_lo, s9, v0
	v_cndmask_b32_e64 v0, v0, s10, vcc_lo
; %bb.11:                               ;   in Loop: Header=BB59_9 Depth=1
	s_and_not1_saveexec_b32 s13, s13
; %bb.12:                               ;   in Loop: Header=BB59_9 Depth=1
	v_add_nc_u32_e32 v0, -1, v4
	v_cmp_lt_i32_e32 vcc_lo, 1, v4
	s_delay_alu instid0(VALU_DEP_2)
	v_cndmask_b32_e32 v0, 2, v0, vcc_lo
; %bb.13:                               ;   in Loop: Header=BB59_9 Depth=1
	s_or_b32 exec_lo, exec_lo, s13
	v_add_nc_u64_e32 v[4:5], s[6:7], v[2:3]
	global_store_b32 v[6:7], v0, off
	global_load_b32 v0, v[4:5], off
	s_wait_loadcnt 0x0
	v_add_nc_u32_e32 v9, -1, v0
	s_delay_alu instid0(VALU_DEP_1) | instskip(NEXT) | instid1(VALU_DEP_1)
	v_sub_nc_u32_e32 v0, 0, v9
	v_max_i32_e32 v0, v9, v0
	s_delay_alu instid0(VALU_DEP_1) | instskip(NEXT) | instid1(VALU_DEP_1)
	v_mul_u64_e32 v[6:7], s[0:1], v[0:1]
	v_mul_lo_u32 v6, v7, s10
	s_delay_alu instid0(VALU_DEP_1) | instskip(NEXT) | instid1(VALU_DEP_1)
	v_dual_sub_nc_u32 v0, v0, v6 :: v_dual_ashrrev_i32 v7, 31, v9
	v_subrev_nc_u32_e32 v6, s10, v0
	v_cmp_le_u32_e32 vcc_lo, s10, v0
	s_delay_alu instid0(VALU_DEP_2) | instskip(NEXT) | instid1(VALU_DEP_1)
	v_cndmask_b32_e32 v0, v0, v6, vcc_lo
	v_subrev_nc_u32_e32 v6, s10, v0
	v_cmp_le_u32_e32 vcc_lo, s10, v0
	s_delay_alu instid0(VALU_DEP_2) | instskip(NEXT) | instid1(VALU_DEP_1)
	v_cndmask_b32_e32 v0, v0, v6, vcc_lo
	v_xor_b32_e32 v0, v0, v7
	s_delay_alu instid0(VALU_DEP_1) | instskip(NEXT) | instid1(VALU_DEP_1)
	v_sub_nc_u32_e32 v6, v0, v7
	v_and_b32_e32 v0, 1, v6
	s_delay_alu instid0(VALU_DEP_1) | instskip(SKIP_2) | instid1(SALU_CYCLE_1)
	v_cmp_eq_u32_e32 vcc_lo, 1, v0
                                        ; implicit-def: $vgpr0
	s_wait_xcnt 0x0
	s_and_saveexec_b32 s13, vcc_lo
	s_xor_b32 s13, exec_lo, s13
; %bb.14:                               ;   in Loop: Header=BB59_9 Depth=1
	v_add_nc_u32_e32 v0, 3, v6
                                        ; implicit-def: $vgpr6
	s_delay_alu instid0(VALU_DEP_1)
	v_cmp_lt_i32_e32 vcc_lo, s9, v0
	v_cndmask_b32_e64 v0, v0, s10, vcc_lo
; %bb.15:                               ;   in Loop: Header=BB59_9 Depth=1
	s_and_not1_saveexec_b32 s13, s13
	s_cbranch_execz .LBB59_8
; %bb.16:                               ;   in Loop: Header=BB59_9 Depth=1
	v_add_nc_u32_e32 v0, -1, v6
	v_cmp_lt_i32_e32 vcc_lo, 1, v6
	s_delay_alu instid0(VALU_DEP_2)
	v_cndmask_b32_e32 v0, 2, v0, vcc_lo
	s_branch .LBB59_8
.LBB59_17:
	s_endpgm
	.section	.rodata,"a",@progbits
	.p2align	6, 0x0
	.amdhsa_kernel _ZN9rocsolver6v33100L17syevj_cycle_pairsIdEEviPiS2_
		.amdhsa_group_segment_fixed_size 0
		.amdhsa_private_segment_fixed_size 0
		.amdhsa_kernarg_size 280
		.amdhsa_user_sgpr_count 2
		.amdhsa_user_sgpr_dispatch_ptr 0
		.amdhsa_user_sgpr_queue_ptr 0
		.amdhsa_user_sgpr_kernarg_segment_ptr 1
		.amdhsa_user_sgpr_dispatch_id 0
		.amdhsa_user_sgpr_kernarg_preload_length 0
		.amdhsa_user_sgpr_kernarg_preload_offset 0
		.amdhsa_user_sgpr_private_segment_size 0
		.amdhsa_wavefront_size32 1
		.amdhsa_uses_dynamic_stack 0
		.amdhsa_enable_private_segment 0
		.amdhsa_system_sgpr_workgroup_id_x 1
		.amdhsa_system_sgpr_workgroup_id_y 0
		.amdhsa_system_sgpr_workgroup_id_z 0
		.amdhsa_system_sgpr_workgroup_info 0
		.amdhsa_system_vgpr_workitem_id 0
		.amdhsa_next_free_vgpr 10
		.amdhsa_next_free_sgpr 16
		.amdhsa_named_barrier_count 0
		.amdhsa_reserve_vcc 1
		.amdhsa_float_round_mode_32 0
		.amdhsa_float_round_mode_16_64 0
		.amdhsa_float_denorm_mode_32 3
		.amdhsa_float_denorm_mode_16_64 3
		.amdhsa_fp16_overflow 0
		.amdhsa_memory_ordered 1
		.amdhsa_forward_progress 1
		.amdhsa_inst_pref_size 7
		.amdhsa_round_robin_scheduling 0
		.amdhsa_exception_fp_ieee_invalid_op 0
		.amdhsa_exception_fp_denorm_src 0
		.amdhsa_exception_fp_ieee_div_zero 0
		.amdhsa_exception_fp_ieee_overflow 0
		.amdhsa_exception_fp_ieee_underflow 0
		.amdhsa_exception_fp_ieee_inexact 0
		.amdhsa_exception_int_div_zero 0
	.end_amdhsa_kernel
	.section	.text._ZN9rocsolver6v33100L17syevj_cycle_pairsIdEEviPiS2_,"axG",@progbits,_ZN9rocsolver6v33100L17syevj_cycle_pairsIdEEviPiS2_,comdat
.Lfunc_end59:
	.size	_ZN9rocsolver6v33100L17syevj_cycle_pairsIdEEviPiS2_, .Lfunc_end59-_ZN9rocsolver6v33100L17syevj_cycle_pairsIdEEviPiS2_
                                        ; -- End function
	.set _ZN9rocsolver6v33100L17syevj_cycle_pairsIdEEviPiS2_.num_vgpr, 10
	.set _ZN9rocsolver6v33100L17syevj_cycle_pairsIdEEviPiS2_.num_agpr, 0
	.set _ZN9rocsolver6v33100L17syevj_cycle_pairsIdEEviPiS2_.numbered_sgpr, 16
	.set _ZN9rocsolver6v33100L17syevj_cycle_pairsIdEEviPiS2_.num_named_barrier, 0
	.set _ZN9rocsolver6v33100L17syevj_cycle_pairsIdEEviPiS2_.private_seg_size, 0
	.set _ZN9rocsolver6v33100L17syevj_cycle_pairsIdEEviPiS2_.uses_vcc, 1
	.set _ZN9rocsolver6v33100L17syevj_cycle_pairsIdEEviPiS2_.uses_flat_scratch, 0
	.set _ZN9rocsolver6v33100L17syevj_cycle_pairsIdEEviPiS2_.has_dyn_sized_stack, 0
	.set _ZN9rocsolver6v33100L17syevj_cycle_pairsIdEEviPiS2_.has_recursion, 0
	.set _ZN9rocsolver6v33100L17syevj_cycle_pairsIdEEviPiS2_.has_indirect_call, 0
	.section	.AMDGPU.csdata,"",@progbits
; Kernel info:
; codeLenInByte = 860
; TotalNumSgprs: 18
; NumVgprs: 10
; ScratchSize: 0
; MemoryBound: 0
; FloatMode: 240
; IeeeMode: 1
; LDSByteSize: 0 bytes/workgroup (compile time only)
; SGPRBlocks: 0
; VGPRBlocks: 0
; NumSGPRsForWavesPerEU: 18
; NumVGPRsForWavesPerEU: 10
; NamedBarCnt: 0
; Occupancy: 16
; WaveLimiterHint : 0
; COMPUTE_PGM_RSRC2:SCRATCH_EN: 0
; COMPUTE_PGM_RSRC2:USER_SGPR: 2
; COMPUTE_PGM_RSRC2:TRAP_HANDLER: 0
; COMPUTE_PGM_RSRC2:TGID_X_EN: 1
; COMPUTE_PGM_RSRC2:TGID_Y_EN: 0
; COMPUTE_PGM_RSRC2:TGID_Z_EN: 0
; COMPUTE_PGM_RSRC2:TIDIG_COMP_CNT: 0
	.section	.text._ZN9rocsolver6v33100L15syevj_calc_normIddEEviiPT0_PT_S3_Pi,"axG",@progbits,_ZN9rocsolver6v33100L15syevj_calc_normIddEEviiPT0_PT_S3_Pi,comdat
	.globl	_ZN9rocsolver6v33100L15syevj_calc_normIddEEviiPT0_PT_S3_Pi ; -- Begin function _ZN9rocsolver6v33100L15syevj_calc_normIddEEviiPT0_PT_S3_Pi
	.p2align	8
	.type	_ZN9rocsolver6v33100L15syevj_calc_normIddEEviiPT0_PT_S3_Pi,@function
_ZN9rocsolver6v33100L15syevj_calc_normIddEEviiPT0_PT_S3_Pi: ; @_ZN9rocsolver6v33100L15syevj_calc_normIddEEviiPT0_PT_S3_Pi
; %bb.0:
	s_load_b256 s[4:11], s[0:1], 0x8
	s_bfe_u32 s2, ttmp6, 0x40010
	s_bfe_u32 s3, ttmp6, 0x40004
	s_add_co_i32 s2, s2, 1
	s_getreg_b32 s12, hwreg(HW_REG_IB_STS2, 6, 4)
	s_mul_i32 s2, ttmp7, s2
	s_delay_alu instid0(SALU_CYCLE_1) | instskip(SKIP_2) | instid1(SALU_CYCLE_1)
	s_add_co_i32 s3, s3, s2
	s_cmp_eq_u32 s12, 0
	s_cselect_b32 s14, ttmp7, s3
	s_ashr_i32 s15, s14, 31
	s_delay_alu instid0(SALU_CYCLE_1)
	s_lshl_b64 s[2:3], s[14:15], 2
	s_wait_kmcnt 0x0
	s_add_nc_u64 s[2:3], s[10:11], s[2:3]
	s_load_b32 s12, s[2:3], 0x4
	s_wait_kmcnt 0x0
	s_cmp_lg_u32 s12, 0
	s_cbranch_scc0 .LBB60_2
.LBB60_1:
	s_endpgm
.LBB60_2:
	s_clause 0x1
	s_load_b64 s[12:13], s[0:1], 0x0
	s_load_b32 s16, s[0:1], 0x34
	v_mov_b64_e32 v[2:3], 0
	s_mov_b32 s17, exec_lo
	s_wait_kmcnt 0x0
	s_and_b32 s16, s16, 0xffff
	v_cmpx_gt_i32_e64 s12, v0
	s_cbranch_execz .LBB60_10
; %bb.3:
	s_mul_i32 s0, s12, s14
	v_dual_mov_b32 v3, 0 :: v_dual_lshlrev_b32 v2, 3, v0
	s_mul_i32 s0, s0, s12
	v_mov_b32_e32 v1, v0
	s_ashr_i32 s1, s0, 31
	s_delay_alu instid0(SALU_CYCLE_1)
	s_lshl_b64 s[18:19], s[0:1], 3
	s_mov_b32 s1, 0
	s_add_nc_u64 s[6:7], s[6:7], s[18:19]
	s_ashr_i32 s19, s12, 31
	v_add_nc_u64_e32 v[4:5], s[6:7], v[2:3]
	v_mov_b64_e32 v[2:3], 0
	s_mov_b32 s18, s12
	s_lshl_b32 s0, s16, 3
	s_lshl_b64 s[6:7], s[18:19], 3
	s_mov_b32 s18, s1
	s_branch .LBB60_6
.LBB60_4:                               ;   in Loop: Header=BB60_6 Depth=1
	s_or_b32 exec_lo, exec_lo, s20
.LBB60_5:                               ;   in Loop: Header=BB60_6 Depth=1
	s_delay_alu instid0(SALU_CYCLE_1) | instskip(SKIP_2) | instid1(VALU_DEP_2)
	s_or_b32 exec_lo, exec_lo, s19
	v_add_nc_u32_e32 v1, s16, v1
	v_add_nc_u64_e32 v[4:5], s[0:1], v[4:5]
	v_cmp_le_i32_e32 vcc_lo, s12, v1
	s_or_b32 s18, vcc_lo, s18
	s_delay_alu instid0(SALU_CYCLE_1)
	s_and_not1_b32 exec_lo, exec_lo, s18
	s_cbranch_execz .LBB60_9
.LBB60_6:                               ; =>This Loop Header: Depth=1
                                        ;     Child Loop BB60_8 Depth 2
	s_mov_b32 s19, exec_lo
	v_cmpx_ne_u32_e32 0, v1
	s_cbranch_execz .LBB60_5
; %bb.7:                                ;   in Loop: Header=BB60_6 Depth=1
	v_mov_b64_e32 v[6:7], v[4:5]
	v_mov_b32_e32 v8, v1
	s_mov_b32 s20, 0
.LBB60_8:                               ;   Parent Loop BB60_6 Depth=1
                                        ; =>  This Inner Loop Header: Depth=2
	global_load_b64 v[10:11], v[6:7], off
	s_wait_xcnt 0x0
	v_add_nc_u64_e32 v[6:7], s[6:7], v[6:7]
	v_add_nc_u32_e32 v8, -1, v8
	s_delay_alu instid0(VALU_DEP_1) | instskip(SKIP_3) | instid1(VALU_DEP_1)
	v_cmp_eq_u32_e32 vcc_lo, 0, v8
	s_or_b32 s20, vcc_lo, s20
	s_wait_loadcnt 0x0
	v_mul_f64_e32 v[10:11], v[10:11], v[10:11]
	v_fmac_f64_e32 v[2:3], 2.0, v[10:11]
	s_and_not1_b32 exec_lo, exec_lo, s20
	s_cbranch_execnz .LBB60_8
	s_branch .LBB60_4
.LBB60_9:
	s_or_b32 exec_lo, exec_lo, s18
.LBB60_10:
	s_delay_alu instid0(SALU_CYCLE_1)
	s_or_b32 exec_lo, exec_lo, s17
	v_lshl_add_u32 v1, v0, 3, 0
	s_mov_b32 s0, exec_lo
	ds_store_b64 v1, v[2:3]
	s_wait_dscnt 0x0
	s_barrier_signal -1
	s_barrier_wait -1
	v_cmpx_eq_u32_e32 0, v0
	s_cbranch_execz .LBB60_1
; %bb.11:
	s_min_i32 s0, s12, s16
	s_delay_alu instid0(SALU_CYCLE_1)
	s_cmp_lt_i32 s0, 2
	s_cbranch_scc1 .LBB60_20
; %bb.12:
	s_add_co_i32 s1, s0, -2
	s_add_co_i32 s0, s0, -1
	s_cmp_lt_u32 s1, 7
	s_cbranch_scc1 .LBB60_16
; %bb.13:
	s_mov_b32 s6, 0
	s_add_co_i32 s1, 0, 8
	s_and_b32 s7, s0, -8
.LBB60_14:                              ; =>This Inner Loop Header: Depth=1
	v_mov_b32_e32 v12, s1
	s_mov_b32 s12, s6
	s_add_co_i32 s6, s6, 8
	s_add_co_i32 s1, s1, 64
	s_cmp_lg_u32 s7, s6
	ds_load_2addr_b64 v[4:7], v12 offset1:1
	ds_load_2addr_b64 v[8:11], v12 offset0:2 offset1:3
	s_wait_dscnt 0x1
	v_add_f64_e32 v[0:1], v[2:3], v[4:5]
	s_delay_alu instid0(VALU_DEP_1) | instskip(SKIP_1) | instid1(VALU_DEP_1)
	v_add_f64_e32 v[0:1], v[0:1], v[6:7]
	s_wait_dscnt 0x0
	v_add_f64_e32 v[0:1], v[0:1], v[8:9]
	s_delay_alu instid0(VALU_DEP_1) | instskip(SKIP_4) | instid1(VALU_DEP_1)
	v_add_f64_e32 v[8:9], v[0:1], v[10:11]
	ds_load_2addr_b64 v[0:3], v12 offset0:4 offset1:5
	ds_load_2addr_b64 v[4:7], v12 offset0:6 offset1:7
	s_wait_dscnt 0x1
	v_add_f64_e32 v[0:1], v[8:9], v[0:1]
	v_add_f64_e32 v[0:1], v[0:1], v[2:3]
	s_wait_dscnt 0x0
	s_delay_alu instid0(VALU_DEP_1) | instskip(NEXT) | instid1(VALU_DEP_1)
	v_add_f64_e32 v[0:1], v[0:1], v[4:5]
	v_add_f64_e32 v[2:3], v[0:1], v[6:7]
	s_cbranch_scc1 .LBB60_14
; %bb.15:
	s_add_co_i32 s1, s12, 9
	s_branch .LBB60_17
.LBB60_16:
	s_mov_b32 s1, 1
.LBB60_17:
	s_and_b32 s0, s0, 7
	s_delay_alu instid0(SALU_CYCLE_1)
	s_cmp_eq_u32 s0, 0
	s_cbranch_scc1 .LBB60_20
; %bb.18:
	s_lshl_b32 s1, s1, 3
	s_delay_alu instid0(SALU_CYCLE_1)
	s_add_co_i32 s1, s1, 0
.LBB60_19:                              ; =>This Inner Loop Header: Depth=1
	s_delay_alu instid0(SALU_CYCLE_1)
	v_mov_b32_e32 v0, s1
	s_add_co_i32 s0, s0, -1
	s_add_co_i32 s1, s1, 8
	s_cmp_lg_u32 s0, 0
	ds_load_b64 v[0:1], v0
	s_wait_dscnt 0x0
	v_add_f64_e32 v[2:3], v[2:3], v[0:1]
	s_cbranch_scc1 .LBB60_19
.LBB60_20:
	v_mov_b32_e32 v0, 0
	s_lshl_b64 s[0:1], s[14:15], 3
	s_delay_alu instid0(SALU_CYCLE_1)
	s_add_nc_u64 s[4:5], s[4:5], s[0:1]
	s_add_nc_u64 s[0:1], s[8:9], s[0:1]
	s_clause 0x1
	global_store_b64 v0, v[2:3], s[4:5]
	global_load_b64 v[4:5], v0, s[0:1]
	s_wait_loadcnt 0x0
	v_cmp_lt_f64_e32 vcc_lo, v[2:3], v[4:5]
	s_wait_xcnt 0x0
	s_and_b32 exec_lo, exec_lo, vcc_lo
	s_cbranch_execz .LBB60_1
; %bb.21:
	s_mov_b32 s0, exec_lo
	s_add_co_i32 s1, s13, 1
	v_mbcnt_lo_u32_b32 v1, s0, 0
	v_mov_b32_e32 v2, s1
	s_delay_alu instid0(VALU_DEP_2)
	v_cmp_eq_u32_e32 vcc_lo, 0, v1
	global_store_b32 v0, v2, s[2:3] offset:4
	s_and_b32 s1, exec_lo, vcc_lo
	s_wait_xcnt 0x0
	s_mov_b32 exec_lo, s1
	s_cbranch_execz .LBB60_1
; %bb.22:
	s_bcnt1_i32_b32 s0, s0
	s_delay_alu instid0(SALU_CYCLE_1)
	v_dual_mov_b32 v0, 0 :: v_dual_mov_b32 v1, s0
	global_atomic_add_u32 v0, v1, s[10:11] scope:SCOPE_DEV
	s_endpgm
	.section	.rodata,"a",@progbits
	.p2align	6, 0x0
	.amdhsa_kernel _ZN9rocsolver6v33100L15syevj_calc_normIddEEviiPT0_PT_S3_Pi
		.amdhsa_group_segment_fixed_size 0
		.amdhsa_private_segment_fixed_size 0
		.amdhsa_kernarg_size 296
		.amdhsa_user_sgpr_count 2
		.amdhsa_user_sgpr_dispatch_ptr 0
		.amdhsa_user_sgpr_queue_ptr 0
		.amdhsa_user_sgpr_kernarg_segment_ptr 1
		.amdhsa_user_sgpr_dispatch_id 0
		.amdhsa_user_sgpr_kernarg_preload_length 0
		.amdhsa_user_sgpr_kernarg_preload_offset 0
		.amdhsa_user_sgpr_private_segment_size 0
		.amdhsa_wavefront_size32 1
		.amdhsa_uses_dynamic_stack 0
		.amdhsa_enable_private_segment 0
		.amdhsa_system_sgpr_workgroup_id_x 1
		.amdhsa_system_sgpr_workgroup_id_y 1
		.amdhsa_system_sgpr_workgroup_id_z 0
		.amdhsa_system_sgpr_workgroup_info 0
		.amdhsa_system_vgpr_workitem_id 0
		.amdhsa_next_free_vgpr 13
		.amdhsa_next_free_sgpr 21
		.amdhsa_named_barrier_count 0
		.amdhsa_reserve_vcc 1
		.amdhsa_float_round_mode_32 0
		.amdhsa_float_round_mode_16_64 0
		.amdhsa_float_denorm_mode_32 3
		.amdhsa_float_denorm_mode_16_64 3
		.amdhsa_fp16_overflow 0
		.amdhsa_memory_ordered 1
		.amdhsa_forward_progress 1
		.amdhsa_inst_pref_size 7
		.amdhsa_round_robin_scheduling 0
		.amdhsa_exception_fp_ieee_invalid_op 0
		.amdhsa_exception_fp_denorm_src 0
		.amdhsa_exception_fp_ieee_div_zero 0
		.amdhsa_exception_fp_ieee_overflow 0
		.amdhsa_exception_fp_ieee_underflow 0
		.amdhsa_exception_fp_ieee_inexact 0
		.amdhsa_exception_int_div_zero 0
	.end_amdhsa_kernel
	.section	.text._ZN9rocsolver6v33100L15syevj_calc_normIddEEviiPT0_PT_S3_Pi,"axG",@progbits,_ZN9rocsolver6v33100L15syevj_calc_normIddEEviiPT0_PT_S3_Pi,comdat
.Lfunc_end60:
	.size	_ZN9rocsolver6v33100L15syevj_calc_normIddEEviiPT0_PT_S3_Pi, .Lfunc_end60-_ZN9rocsolver6v33100L15syevj_calc_normIddEEviiPT0_PT_S3_Pi
                                        ; -- End function
	.set _ZN9rocsolver6v33100L15syevj_calc_normIddEEviiPT0_PT_S3_Pi.num_vgpr, 13
	.set _ZN9rocsolver6v33100L15syevj_calc_normIddEEviiPT0_PT_S3_Pi.num_agpr, 0
	.set _ZN9rocsolver6v33100L15syevj_calc_normIddEEviiPT0_PT_S3_Pi.numbered_sgpr, 21
	.set _ZN9rocsolver6v33100L15syevj_calc_normIddEEviiPT0_PT_S3_Pi.num_named_barrier, 0
	.set _ZN9rocsolver6v33100L15syevj_calc_normIddEEviiPT0_PT_S3_Pi.private_seg_size, 0
	.set _ZN9rocsolver6v33100L15syevj_calc_normIddEEviiPT0_PT_S3_Pi.uses_vcc, 1
	.set _ZN9rocsolver6v33100L15syevj_calc_normIddEEviiPT0_PT_S3_Pi.uses_flat_scratch, 0
	.set _ZN9rocsolver6v33100L15syevj_calc_normIddEEviiPT0_PT_S3_Pi.has_dyn_sized_stack, 0
	.set _ZN9rocsolver6v33100L15syevj_calc_normIddEEviiPT0_PT_S3_Pi.has_recursion, 0
	.set _ZN9rocsolver6v33100L15syevj_calc_normIddEEviiPT0_PT_S3_Pi.has_indirect_call, 0
	.section	.AMDGPU.csdata,"",@progbits
; Kernel info:
; codeLenInByte = 792
; TotalNumSgprs: 23
; NumVgprs: 13
; ScratchSize: 0
; MemoryBound: 0
; FloatMode: 240
; IeeeMode: 1
; LDSByteSize: 0 bytes/workgroup (compile time only)
; SGPRBlocks: 0
; VGPRBlocks: 0
; NumSGPRsForWavesPerEU: 23
; NumVGPRsForWavesPerEU: 13
; NamedBarCnt: 0
; Occupancy: 16
; WaveLimiterHint : 0
; COMPUTE_PGM_RSRC2:SCRATCH_EN: 0
; COMPUTE_PGM_RSRC2:USER_SGPR: 2
; COMPUTE_PGM_RSRC2:TRAP_HANDLER: 0
; COMPUTE_PGM_RSRC2:TGID_X_EN: 1
; COMPUTE_PGM_RSRC2:TGID_Y_EN: 1
; COMPUTE_PGM_RSRC2:TGID_Z_EN: 0
; COMPUTE_PGM_RSRC2:TIDIG_COMP_CNT: 0
	.section	.text._ZN9rocsolver6v33100L14syevj_finalizeIddPdEEv14rocblas_esort_14rocblas_evect_iT1_iilPT0_iPiS7_lS8_PT_S8_,"axG",@progbits,_ZN9rocsolver6v33100L14syevj_finalizeIddPdEEv14rocblas_esort_14rocblas_evect_iT1_iilPT0_iPiS7_lS8_PT_S8_,comdat
	.globl	_ZN9rocsolver6v33100L14syevj_finalizeIddPdEEv14rocblas_esort_14rocblas_evect_iT1_iilPT0_iPiS7_lS8_PT_S8_ ; -- Begin function _ZN9rocsolver6v33100L14syevj_finalizeIddPdEEv14rocblas_esort_14rocblas_evect_iT1_iilPT0_iPiS7_lS8_PT_S8_
	.p2align	8
	.type	_ZN9rocsolver6v33100L14syevj_finalizeIddPdEEv14rocblas_esort_14rocblas_evect_iT1_iilPT0_iPiS7_lS8_PT_S8_,@function
_ZN9rocsolver6v33100L14syevj_finalizeIddPdEEv14rocblas_esort_14rocblas_evect_iT1_iilPT0_iPiS7_lS8_PT_S8_: ; @_ZN9rocsolver6v33100L14syevj_finalizeIddPdEEv14rocblas_esort_14rocblas_evect_iT1_iilPT0_iPiS7_lS8_PT_S8_
; %bb.0:
	s_clause 0x2
	s_load_b128 s[12:15], s[0:1], 0x20
	s_load_b256 s[4:11], s[0:1], 0x38
	s_load_b128 s[16:19], s[0:1], 0x58
	s_bfe_u32 s2, ttmp6, 0x40010
	s_bfe_u32 s3, ttmp6, 0x40004
	s_add_co_i32 s2, s2, 1
	s_getreg_b32 s20, hwreg(HW_REG_IB_STS2, 6, 4)
	s_mul_i32 s2, ttmp7, s2
	s_delay_alu instid0(SALU_CYCLE_1) | instskip(SKIP_3) | instid1(SALU_CYCLE_1)
	s_add_co_i32 s3, s3, s2
	s_cmp_eq_u32 s20, 0
	v_cmp_eq_u32_e64 s2, 0, v0
	s_cselect_b32 s24, ttmp7, s3
	s_ashr_i32 s25, s24, 31
	s_and_saveexec_b32 s3, s2
	s_cbranch_execz .LBB61_2
; %bb.1:
	s_lshl_b64 s[20:21], s[24:25], 3
	s_lshl_b64 s[22:23], s[24:25], 2
	s_wait_kmcnt 0x0
	s_add_nc_u64 s[14:15], s[14:15], s[20:21]
	s_add_nc_u64 s[18:19], s[18:19], s[22:23]
	s_load_b64 s[20:21], s[14:15], 0x0
	s_add_nc_u64 s[4:5], s[4:5], s[22:23]
	s_add_nc_u64 s[10:11], s[10:11], s[22:23]
	v_mov_b32_e32 v1, 0
	s_wait_kmcnt 0x0
	v_cmp_gt_f64_e64 s26, 0x10000000, s[20:21]
	s_and_b32 s26, s26, exec_lo
	s_cselect_b32 s26, 0x100, 0
	s_delay_alu instid0(SALU_CYCLE_1) | instskip(SKIP_1) | instid1(VALU_DEP_1)
	v_ldexp_f64 v[2:3], s[20:21], s26
	s_cselect_b32 s20, 0xffffff80, 0
	v_rsq_f64_e32 v[4:5], v[2:3]
	v_cmp_class_f64_e64 vcc_lo, v[2:3], 0x260
	s_delay_alu instid0(TRANS32_DEP_1) | instskip(SKIP_1) | instid1(VALU_DEP_1)
	v_mul_f64_e32 v[6:7], v[2:3], v[4:5]
	v_mul_f64_e32 v[4:5], 0.5, v[4:5]
	v_fma_f64 v[8:9], -v[4:5], v[6:7], 0.5
	s_delay_alu instid0(VALU_DEP_1) | instskip(SKIP_1) | instid1(VALU_DEP_2)
	v_fmac_f64_e32 v[6:7], v[6:7], v[8:9]
	v_fmac_f64_e32 v[4:5], v[4:5], v[8:9]
	v_fma_f64 v[8:9], -v[6:7], v[6:7], v[2:3]
	s_delay_alu instid0(VALU_DEP_1) | instskip(NEXT) | instid1(VALU_DEP_1)
	v_fmac_f64_e32 v[6:7], v[8:9], v[4:5]
	v_fma_f64 v[8:9], -v[6:7], v[6:7], v[2:3]
	s_delay_alu instid0(VALU_DEP_1) | instskip(NEXT) | instid1(VALU_DEP_1)
	v_fmac_f64_e32 v[6:7], v[8:9], v[4:5]
	v_ldexp_f64 v[4:5], v[6:7], s20
	s_load_b32 s20, s[18:19], 0x4
	s_load_b32 s21, s[0:1], 0x30
	s_wait_kmcnt 0x0
	s_add_co_i32 s18, s20, -1
	s_cmp_lt_i32 s20, 1
	s_cselect_b32 s19, -1, 0
	s_delay_alu instid0(SALU_CYCLE_1) | instskip(SKIP_2) | instid1(VALU_DEP_2)
	v_cndmask_b32_e64 v6, 0, 1, s19
	s_and_b32 s19, s19, exec_lo
	s_cselect_b32 s18, s21, s18
	v_dual_cndmask_b32 v3, v5, v3 :: v_dual_cndmask_b32 v2, v4, v2
	v_mov_b32_e32 v4, s18
	s_clause 0x2
	global_store_b64 v1, v[2:3], s[14:15]
	global_store_b32 v1, v4, s[4:5]
	global_store_b32 v1, v6, s[10:11]
.LBB61_2:
	s_wait_xcnt 0x0
	s_or_b32 exec_lo, exec_lo, s3
	s_load_b96 s[20:22], s[0:1], 0x0
	s_wait_kmcnt 0x0
	s_mul_u64 s[4:5], s[8:9], s[24:25]
	s_delay_alu instid0(SALU_CYCLE_1) | instskip(NEXT) | instid1(SALU_CYCLE_1)
	s_lshl_b64 s[4:5], s[4:5], 3
	s_add_nc_u64 s[8:9], s[6:7], s[4:5]
	v_cmp_gt_i32_e64 s3, s22, v0
	s_and_saveexec_b32 s6, s3
	s_cbranch_execz .LBB61_5
; %bb.3:
	s_load_b32 s7, s[0:1], 0x74
	v_mad_u32 v1, v0, s22, v0
	s_mul_i32 s4, s22, s24
	v_mov_b32_e32 v2, v0
	s_mul_i32 s4, s4, s22
	s_add_co_i32 s10, s22, 1
	s_ashr_i32 s5, s4, 31
	s_mov_b32 s11, 0
	s_lshl_b64 s[4:5], s[4:5], 3
	s_delay_alu instid0(SALU_CYCLE_1) | instskip(SKIP_2) | instid1(SALU_CYCLE_1)
	s_add_nc_u64 s[4:5], s[16:17], s[4:5]
	s_wait_kmcnt 0x0
	s_and_b32 s7, s7, 0xffff
	s_mul_i32 s10, s10, s7
.LBB61_4:                               ; =>This Inner Loop Header: Depth=1
	global_load_b64 v[4:5], v1, s[4:5] scale_offset
	s_wait_xcnt 0x0
	v_add_nc_u32_e32 v1, s10, v1
	s_wait_loadcnt 0x0
	global_store_b64 v2, v[4:5], s[8:9] scale_offset
	s_wait_xcnt 0x0
	v_add_nc_u32_e32 v2, s7, v2
	s_delay_alu instid0(VALU_DEP_1) | instskip(SKIP_1) | instid1(SALU_CYCLE_1)
	v_cmp_le_i32_e32 vcc_lo, s22, v2
	s_or_b32 s11, vcc_lo, s11
	s_and_not1_b32 exec_lo, exec_lo, s11
	s_cbranch_execnz .LBB61_4
.LBB61_5:
	s_or_b32 exec_lo, exec_lo, s6
	v_cmp_eq_u32_e32 vcc_lo, 0, v0
	s_cmp_lg_u32 s21, 0xd5
	s_mov_b32 s11, 0
	s_cselect_b32 s18, -1, 0
	s_wait_storecnt 0x0
	s_or_b32 s4, vcc_lo, s18
	s_cmp_lg_u32 s20, 0xfb
	s_barrier_signal -1
	s_cselect_b32 s5, -1, 0
	s_barrier_wait -1
	s_and_b32 s4, s5, s4
	s_cmp_gt_i32 s22, 1
	s_cselect_b32 s5, -1, 0
	s_delay_alu instid0(SALU_CYCLE_1) | instskip(NEXT) | instid1(SALU_CYCLE_1)
	s_and_b32 s4, s5, s4
	s_and_saveexec_b32 s5, s4
	s_cbranch_execz .LBB61_18
; %bb.6:
	s_load_b128 s[4:7], s[0:1], 0x10
	s_mul_u64 s[14:15], s[12:13], s[24:25]
	v_mov_b32_e32 v1, 0
	s_lshl_b64 s[14:15], s[14:15], 3
	s_wait_xcnt 0x0
	s_add_nc_u64 s[0:1], s[0:1], 0x68
	s_add_co_i32 s19, s22, -2
	s_add_nc_u64 s[12:13], s[8:9], 8
	s_mov_b32 s20, 0
	s_wait_kmcnt 0x0
	s_ashr_i32 s17, s6, 31
	s_mov_b32 s16, s6
	s_add_nc_u64 s[4:5], s[4:5], s[14:15]
	s_lshl_b64 s[14:15], s[16:17], 3
	s_mov_b32 s6, 0
	s_add_nc_u64 s[4:5], s[4:5], s[14:15]
	s_branch .LBB61_9
.LBB61_7:                               ;   in Loop: Header=BB61_9 Depth=1
	s_or_b32 exec_lo, exec_lo, s14
	s_wait_storecnt 0x0
	s_barrier_signal -1
	s_barrier_wait -1
.LBB61_8:                               ;   in Loop: Header=BB61_9 Depth=1
	s_add_co_i32 s6, s6, s7
	s_cmp_lg_u32 s10, s19
	s_add_nc_u64 s[12:13], s[12:13], 8
	s_cbranch_scc0 .LBB61_18
.LBB61_9:                               ; =>This Loop Header: Depth=1
                                        ;     Child Loop BB61_10 Depth 2
                                        ;     Child Loop BB61_17 Depth 2
	v_mov_b32_e32 v2, s20
	s_mov_b32 s10, s20
	s_add_co_i32 s20, s20, 1
	s_lshl_b64 s[14:15], s[10:11], 3
	s_mov_b64 s[16:17], s[12:13]
	global_load_b64 v[2:3], v2, s[8:9] scale_offset
	s_add_nc_u64 s[14:15], s[8:9], s[14:15]
	s_mov_b32 s23, s20
	s_mov_b32 s21, s10
.LBB61_10:                              ;   Parent Loop BB61_9 Depth=1
                                        ; =>  This Inner Loop Header: Depth=2
	global_load_b64 v[4:5], v1, s[16:17]
	s_wait_xcnt 0x0
	s_add_nc_u64 s[16:17], s[16:17], 8
	s_wait_loadcnt 0x0
	v_cmp_lt_f64_e32 vcc_lo, v[4:5], v[2:3]
	v_dual_cndmask_b32 v3, v3, v5 :: v_dual_cndmask_b32 v2, v2, v4
	s_and_b32 s24, vcc_lo, exec_lo
	s_cselect_b32 s21, s23, s21
	s_add_co_i32 s23, s23, 1
	s_delay_alu instid0(SALU_CYCLE_1)
	s_cmp_lg_u32 s22, s23
	s_cbranch_scc1 .LBB61_10
; %bb.11:                               ;   in Loop: Header=BB61_9 Depth=1
	s_cmp_eq_u32 s21, s10
	s_barrier_signal -1
	s_barrier_wait -1
	s_cbranch_scc1 .LBB61_8
; %bb.12:                               ;   in Loop: Header=BB61_9 Depth=1
	s_and_saveexec_b32 s16, s2
	s_cbranch_execz .LBB61_14
; %bb.13:                               ;   in Loop: Header=BB61_9 Depth=1
	global_load_b64 v[4:5], v1, s[14:15]
	v_mov_b32_e32 v6, s21
	s_wait_loadcnt 0x0
	s_clause 0x1
	global_store_b64 v6, v[4:5], s[8:9] scale_offset
	global_store_b64 v1, v[2:3], s[14:15]
.LBB61_14:                              ;   in Loop: Header=BB61_9 Depth=1
	s_wait_xcnt 0x0
	s_or_b32 exec_lo, exec_lo, s16
	s_delay_alu instid0(SALU_CYCLE_1)
	s_and_not1_b32 vcc_lo, exec_lo, s18
	s_cbranch_vccnz .LBB61_8
; %bb.15:                               ;   in Loop: Header=BB61_9 Depth=1
	s_and_saveexec_b32 s14, s3
	s_cbranch_execz .LBB61_7
; %bb.16:                               ;   in Loop: Header=BB61_9 Depth=1
	s_load_b32 s16, s[0:1], 0xc
	v_mov_b32_e32 v2, v0
	s_mul_i32 s15, s21, s7
	s_mov_b32 s17, 0
	s_wait_kmcnt 0x0
	s_and_b32 s16, s16, 0xffff
.LBB61_17:                              ;   Parent Loop BB61_9 Depth=1
                                        ; =>  This Inner Loop Header: Depth=2
	v_dual_add_nc_u32 v3, s6, v2 :: v_dual_add_nc_u32 v8, s15, v2
	v_add_nc_u32_e32 v2, s16, v2
	s_clause 0x1
	global_load_b64 v[4:5], v3, s[4:5] scale_offset
	global_load_b64 v[6:7], v8, s[4:5] scale_offset
	s_wait_loadcnt 0x1
	global_store_b64 v8, v[4:5], s[4:5] scale_offset
	s_wait_loadcnt 0x0
	global_store_b64 v3, v[6:7], s[4:5] scale_offset
	v_cmp_le_i32_e32 vcc_lo, s22, v2
	s_or_b32 s17, vcc_lo, s17
	s_wait_xcnt 0x0
	s_and_not1_b32 exec_lo, exec_lo, s17
	s_cbranch_execnz .LBB61_17
	s_branch .LBB61_7
.LBB61_18:
	s_endpgm
	.section	.rodata,"a",@progbits
	.p2align	6, 0x0
	.amdhsa_kernel _ZN9rocsolver6v33100L14syevj_finalizeIddPdEEv14rocblas_esort_14rocblas_evect_iT1_iilPT0_iPiS7_lS8_PT_S8_
		.amdhsa_group_segment_fixed_size 0
		.amdhsa_private_segment_fixed_size 0
		.amdhsa_kernarg_size 360
		.amdhsa_user_sgpr_count 2
		.amdhsa_user_sgpr_dispatch_ptr 0
		.amdhsa_user_sgpr_queue_ptr 0
		.amdhsa_user_sgpr_kernarg_segment_ptr 1
		.amdhsa_user_sgpr_dispatch_id 0
		.amdhsa_user_sgpr_kernarg_preload_length 0
		.amdhsa_user_sgpr_kernarg_preload_offset 0
		.amdhsa_user_sgpr_private_segment_size 0
		.amdhsa_wavefront_size32 1
		.amdhsa_uses_dynamic_stack 0
		.amdhsa_enable_private_segment 0
		.amdhsa_system_sgpr_workgroup_id_x 1
		.amdhsa_system_sgpr_workgroup_id_y 1
		.amdhsa_system_sgpr_workgroup_id_z 0
		.amdhsa_system_sgpr_workgroup_info 0
		.amdhsa_system_vgpr_workitem_id 0
		.amdhsa_next_free_vgpr 10
		.amdhsa_next_free_sgpr 27
		.amdhsa_named_barrier_count 0
		.amdhsa_reserve_vcc 1
		.amdhsa_float_round_mode_32 0
		.amdhsa_float_round_mode_16_64 0
		.amdhsa_float_denorm_mode_32 3
		.amdhsa_float_denorm_mode_16_64 3
		.amdhsa_fp16_overflow 0
		.amdhsa_memory_ordered 1
		.amdhsa_forward_progress 1
		.amdhsa_inst_pref_size 9
		.amdhsa_round_robin_scheduling 0
		.amdhsa_exception_fp_ieee_invalid_op 0
		.amdhsa_exception_fp_denorm_src 0
		.amdhsa_exception_fp_ieee_div_zero 0
		.amdhsa_exception_fp_ieee_overflow 0
		.amdhsa_exception_fp_ieee_underflow 0
		.amdhsa_exception_fp_ieee_inexact 0
		.amdhsa_exception_int_div_zero 0
	.end_amdhsa_kernel
	.section	.text._ZN9rocsolver6v33100L14syevj_finalizeIddPdEEv14rocblas_esort_14rocblas_evect_iT1_iilPT0_iPiS7_lS8_PT_S8_,"axG",@progbits,_ZN9rocsolver6v33100L14syevj_finalizeIddPdEEv14rocblas_esort_14rocblas_evect_iT1_iilPT0_iPiS7_lS8_PT_S8_,comdat
.Lfunc_end61:
	.size	_ZN9rocsolver6v33100L14syevj_finalizeIddPdEEv14rocblas_esort_14rocblas_evect_iT1_iilPT0_iPiS7_lS8_PT_S8_, .Lfunc_end61-_ZN9rocsolver6v33100L14syevj_finalizeIddPdEEv14rocblas_esort_14rocblas_evect_iT1_iilPT0_iPiS7_lS8_PT_S8_
                                        ; -- End function
	.set _ZN9rocsolver6v33100L14syevj_finalizeIddPdEEv14rocblas_esort_14rocblas_evect_iT1_iilPT0_iPiS7_lS8_PT_S8_.num_vgpr, 10
	.set _ZN9rocsolver6v33100L14syevj_finalizeIddPdEEv14rocblas_esort_14rocblas_evect_iT1_iilPT0_iPiS7_lS8_PT_S8_.num_agpr, 0
	.set _ZN9rocsolver6v33100L14syevj_finalizeIddPdEEv14rocblas_esort_14rocblas_evect_iT1_iilPT0_iPiS7_lS8_PT_S8_.numbered_sgpr, 27
	.set _ZN9rocsolver6v33100L14syevj_finalizeIddPdEEv14rocblas_esort_14rocblas_evect_iT1_iilPT0_iPiS7_lS8_PT_S8_.num_named_barrier, 0
	.set _ZN9rocsolver6v33100L14syevj_finalizeIddPdEEv14rocblas_esort_14rocblas_evect_iT1_iilPT0_iPiS7_lS8_PT_S8_.private_seg_size, 0
	.set _ZN9rocsolver6v33100L14syevj_finalizeIddPdEEv14rocblas_esort_14rocblas_evect_iT1_iilPT0_iPiS7_lS8_PT_S8_.uses_vcc, 1
	.set _ZN9rocsolver6v33100L14syevj_finalizeIddPdEEv14rocblas_esort_14rocblas_evect_iT1_iilPT0_iPiS7_lS8_PT_S8_.uses_flat_scratch, 0
	.set _ZN9rocsolver6v33100L14syevj_finalizeIddPdEEv14rocblas_esort_14rocblas_evect_iT1_iilPT0_iPiS7_lS8_PT_S8_.has_dyn_sized_stack, 0
	.set _ZN9rocsolver6v33100L14syevj_finalizeIddPdEEv14rocblas_esort_14rocblas_evect_iT1_iilPT0_iPiS7_lS8_PT_S8_.has_recursion, 0
	.set _ZN9rocsolver6v33100L14syevj_finalizeIddPdEEv14rocblas_esort_14rocblas_evect_iT1_iilPT0_iPiS7_lS8_PT_S8_.has_indirect_call, 0
	.section	.AMDGPU.csdata,"",@progbits
; Kernel info:
; codeLenInByte = 1084
; TotalNumSgprs: 29
; NumVgprs: 10
; ScratchSize: 0
; MemoryBound: 0
; FloatMode: 240
; IeeeMode: 1
; LDSByteSize: 0 bytes/workgroup (compile time only)
; SGPRBlocks: 0
; VGPRBlocks: 0
; NumSGPRsForWavesPerEU: 29
; NumVGPRsForWavesPerEU: 10
; NamedBarCnt: 0
; Occupancy: 16
; WaveLimiterHint : 0
; COMPUTE_PGM_RSRC2:SCRATCH_EN: 0
; COMPUTE_PGM_RSRC2:USER_SGPR: 2
; COMPUTE_PGM_RSRC2:TRAP_HANDLER: 0
; COMPUTE_PGM_RSRC2:TGID_X_EN: 1
; COMPUTE_PGM_RSRC2:TGID_Y_EN: 1
; COMPUTE_PGM_RSRC2:TGID_Z_EN: 0
; COMPUTE_PGM_RSRC2:TIDIG_COMP_CNT: 0
	.section	.text._ZN9rocsolver6v33100L18geqr2_kernel_smallILi256EdidPdEEvT1_S3_T3_lS3_lPT2_lPT0_l,"axG",@progbits,_ZN9rocsolver6v33100L18geqr2_kernel_smallILi256EdidPdEEvT1_S3_T3_lS3_lPT2_lPT0_l,comdat
	.globl	_ZN9rocsolver6v33100L18geqr2_kernel_smallILi256EdidPdEEvT1_S3_T3_lS3_lPT2_lPT0_l ; -- Begin function _ZN9rocsolver6v33100L18geqr2_kernel_smallILi256EdidPdEEvT1_S3_T3_lS3_lPT2_lPT0_l
	.p2align	8
	.type	_ZN9rocsolver6v33100L18geqr2_kernel_smallILi256EdidPdEEvT1_S3_T3_lS3_lPT2_lPT0_l,@function
_ZN9rocsolver6v33100L18geqr2_kernel_smallILi256EdidPdEEvT1_S3_T3_lS3_lPT2_lPT0_l: ; @_ZN9rocsolver6v33100L18geqr2_kernel_smallILi256EdidPdEEvT1_S3_T3_lS3_lPT2_lPT0_l
; %bb.0:
	s_clause 0x4
	s_load_b256 s[4:11], s[0:1], 0x20
	s_load_b64 s[16:17], s[0:1], 0x0
	s_load_b128 s[12:15], s[0:1], 0x8
	s_load_b32 s20, s[0:1], 0x18
	s_load_b64 s[2:3], s[0:1], 0x40
	s_bfe_u32 s19, ttmp6, 0x40014
	s_lshr_b32 s18, ttmp7, 16
	s_add_co_i32 s19, s19, 1
	s_wait_xcnt 0x0
	s_bfe_u32 s0, ttmp6, 0x40008
	s_mul_i32 s19, s18, s19
	s_getreg_b32 s1, hwreg(HW_REG_IB_STS2, 6, 4)
	s_add_co_i32 s0, s0, s19
	s_cmp_eq_u32 s1, 0
	v_and_b32_e32 v1, 0x7f, v0
	s_mov_b32 s19, 0
	s_cselect_b32 s18, s18, s0
	s_delay_alu instid0(VALU_DEP_1) | instskip(SKIP_2) | instid1(SALU_CYCLE_1)
	v_dual_lshrrev_b32 v10, 7, v0 :: v_dual_lshlrev_b32 v11, 3, v1
	s_wait_kmcnt 0x0
	s_mul_u64 s[0:1], s[4:5], s[18:19]
	s_lshl_b64 s[4:5], s[0:1], 3
	v_cmp_gt_i32_e64 s0, s16, v1
	s_add_nc_u64 s[4:5], s[12:13], s[4:5]
	s_lshl_b64 s[12:13], s[14:15], 3
	s_delay_alu instid0(SALU_CYCLE_1)
	s_add_nc_u64 s[12:13], s[4:5], s[12:13]
	s_and_saveexec_b32 s4, s0
	s_cbranch_execz .LBB62_6
; %bb.1:
	v_dual_mov_b32 v5, v1 :: v_dual_lshrrev_b32 v2, 7, v0
	s_lshl_b32 s5, s16, 4
	s_lshl_b32 s14, s20, 1
	s_mov_b32 s15, s19
	s_delay_alu instid0(VALU_DEP_1) | instskip(SKIP_2) | instid1(VALU_DEP_3)
	v_mul_lo_u32 v4, s16, v2
	v_mad_u32 v3, s20, v2, v1
	v_cmp_gt_i32_e32 vcc_lo, s17, v2
	v_lshlrev_b32_e32 v4, 3, v4
	s_delay_alu instid0(VALU_DEP_1)
	v_add3_u32 v4, v4, v11, 0
	s_branch .LBB62_3
.LBB62_2:                               ;   in Loop: Header=BB62_3 Depth=1
	s_or_b32 exec_lo, exec_lo, s21
	v_add_nc_u32_e32 v5, 0x80, v5
	v_add_nc_u32_e32 v4, 0x400, v4
	;; [unrolled: 1-line block ×3, first 2 shown]
	s_delay_alu instid0(VALU_DEP_3) | instskip(SKIP_1) | instid1(SALU_CYCLE_1)
	v_cmp_le_i32_e64 s1, s16, v5
	s_or_b32 s15, s1, s15
	s_and_not1_b32 exec_lo, exec_lo, s15
	s_cbranch_execz .LBB62_6
.LBB62_3:                               ; =>This Loop Header: Depth=1
                                        ;     Child Loop BB62_5 Depth 2
	s_and_saveexec_b32 s21, vcc_lo
	s_cbranch_execz .LBB62_2
; %bb.4:                                ;   in Loop: Header=BB62_3 Depth=1
	s_delay_alu instid0(VALU_DEP_1)
	v_dual_mov_b32 v6, v3 :: v_dual_mov_b32 v7, v4
	v_mov_b32_e32 v8, v2
	s_mov_b32 s22, 0
.LBB62_5:                               ;   Parent Loop BB62_3 Depth=1
                                        ; =>  This Inner Loop Header: Depth=2
	global_load_b64 v[12:13], v6, s[12:13] scale_offset
	s_wait_xcnt 0x0
	v_dual_add_nc_u32 v8, 2, v8 :: v_dual_add_nc_u32 v6, s14, v6
	s_delay_alu instid0(VALU_DEP_1)
	v_cmp_le_i32_e64 s1, s17, v8
	s_or_b32 s22, s1, s22
	s_wait_loadcnt 0x0
	ds_store_b64 v7, v[12:13]
	v_add_nc_u32_e32 v7, s5, v7
	s_and_not1_b32 exec_lo, exec_lo, s22
	s_cbranch_execnz .LBB62_5
	s_branch .LBB62_2
.LBB62_6:
	s_or_b32 exec_lo, exec_lo, s4
	s_min_i32 s5, s17, s16
	s_wait_dscnt 0x0
	s_cmp_lt_i32 s5, 1
	s_barrier_signal -1
	s_barrier_wait -1
	s_cbranch_scc1 .LBB62_43
; %bb.7:
	v_mbcnt_lo_u32_b32 v2, -1, 0
	s_mul_i32 s1, s17, s16
	s_mul_u64 s[8:9], s[8:9], s[18:19]
	s_lshl_b32 s1, s1, 3
	s_mul_u64 s[2:3], s[2:3], s[18:19]
	v_cmp_ne_u32_e32 vcc_lo, 31, v2
	v_lshl_or_b32 v16, v2, 2, 64
	s_add_co_i32 s18, s1, 0
	s_lshl_b32 s1, s17, 3
	s_lshl_b64 s[8:9], s[8:9], 3
	v_add_co_ci_u32_e64 v3, null, 0, v2, vcc_lo
	v_cmp_gt_u32_e32 vcc_lo, 30, v2
	s_lshl_b64 s[2:3], s[2:3], 3
	s_add_co_i32 s19, s18, s1
	s_delay_alu instid0(VALU_DEP_2)
	v_dual_lshlrev_b32 v12, 2, v3 :: v_dual_bitop2_b32 v3, 31, v0 bitop3:0x40
	v_cndmask_b32_e64 v4, 0, 2, vcc_lo
	v_cmp_gt_u32_e32 vcc_lo, 28, v2
	s_cmp_eq_u64 s[6:7], 0
	s_add_nc_u64 s[8:9], s[6:7], s[8:9]
	v_cmp_eq_u32_e64 s1, 0, v3
	v_add_lshl_u32 v13, v4, v2, 2
	v_cndmask_b32_e64 v5, 0, 4, vcc_lo
	v_cmp_gt_u32_e32 vcc_lo, 24, v2
	v_dual_lshrrev_b32 v3, 2, v0 :: v_dual_lshlrev_b32 v4, 3, v0
	s_cselect_b32 s21, -1, 0
	s_delay_alu instid0(VALU_DEP_3) | instskip(SKIP_4) | instid1(VALU_DEP_2)
	v_add_lshl_u32 v14, v5, v2, 2
	v_cndmask_b32_e64 v6, 0, 8, vcc_lo
	s_cmp_lg_u64 s[6:7], 0
	v_dual_mov_b32 v21, 0 :: v_dual_add_nc_u32 v20, s19, v3
	s_cselect_b32 s6, -1, 0
	v_add_lshl_u32 v15, v6, v2, 2
	v_mad_u32 v2, s16, v0, s16
	s_lshl_b32 s7, s16, 3
	s_add_nc_u64 s[10:11], s[10:11], s[2:3]
	v_cmp_eq_u32_e64 s2, 0, v0
	v_add3_u32 v17, v4, 0, 8
	v_add3_u32 v19, 0, s7, v4
	s_mov_b32 s15, 0
	s_add_co_i32 s22, s7, 8
	s_lshl_b32 s23, s16, 11
	s_mov_b32 s24, 0
	s_mov_b32 s25, s17
	v_lshl_add_u32 v18, v2, 3, 0
	v_mov_b64_e32 v[2:3], 0
	s_mov_b32 s26, s16
	s_mov_b32 s14, s15
	s_branch .LBB62_9
.LBB62_8:                               ;   in Loop: Header=BB62_9 Depth=1
	s_or_b32 exec_lo, exec_lo, s4
	v_dual_add_nc_u32 v17, s22, v17 :: v_dual_add_nc_u32 v18, s22, v18
	v_add_nc_u32_e32 v19, s22, v19
	s_add_co_i32 s14, s14, 1
	s_add_co_i32 s25, s25, -1
	s_add_co_i32 s26, s26, -1
	s_add_co_i32 s24, s24, s22
	s_cmp_eq_u32 s14, s5
	s_wait_dscnt 0x0
	s_barrier_signal -1
	s_barrier_wait -1
	s_cbranch_scc1 .LBB62_43
.LBB62_9:                               ; =>This Loop Header: Depth=1
                                        ;     Child Loop BB62_11 Depth 2
                                        ;     Child Loop BB62_24 Depth 2
	;; [unrolled: 1-line block ×3, first 2 shown]
                                        ;       Child Loop BB62_30 Depth 3
                                        ;     Child Loop BB62_34 Depth 2
                                        ;       Child Loop BB62_36 Depth 3
	s_sub_co_i32 s27, s16, s14
	v_mov_b64_e32 v[4:5], 0
	s_add_co_i32 s29, s27, -1
	s_delay_alu instid0(SALU_CYCLE_1)
	v_cmp_gt_i32_e64 s3, s29, v0
	s_and_saveexec_b32 s4, s3
	s_cbranch_execz .LBB62_13
; %bb.10:                               ;   in Loop: Header=BB62_9 Depth=1
	v_mov_b64_e32 v[4:5], 0
	v_dual_mov_b32 v6, v17 :: v_dual_mov_b32 v7, v0
	s_mov_b32 s28, 0
.LBB62_11:                              ;   Parent Loop BB62_9 Depth=1
                                        ; =>  This Inner Loop Header: Depth=2
	ds_load_b64 v[8:9], v6
	v_add_nc_u32_e32 v7, 0x100, v7
	v_add_nc_u32_e32 v6, 0x800, v6
	s_delay_alu instid0(VALU_DEP_2)
	v_cmp_le_i32_e32 vcc_lo, s29, v7
	s_or_b32 s28, vcc_lo, s28
	s_wait_dscnt 0x0
	v_fmac_f64_e32 v[4:5], v[8:9], v[8:9]
	s_and_not1_b32 exec_lo, exec_lo, s28
	s_cbranch_execnz .LBB62_11
; %bb.12:                               ;   in Loop: Header=BB62_9 Depth=1
	s_or_b32 exec_lo, exec_lo, s28
.LBB62_13:                              ;   in Loop: Header=BB62_9 Depth=1
	s_delay_alu instid0(SALU_CYCLE_1)
	s_or_b32 exec_lo, exec_lo, s4
	ds_bpermute_b32 v6, v12, v4
	ds_bpermute_b32 v7, v12, v5
	s_wait_dscnt 0x0
	v_add_f64_e32 v[4:5], v[4:5], v[6:7]
	ds_bpermute_b32 v6, v13, v4
	ds_bpermute_b32 v7, v13, v5
	s_wait_dscnt 0x0
	v_add_f64_e32 v[4:5], v[4:5], v[6:7]
	;; [unrolled: 4-line block ×5, first 2 shown]
	s_and_saveexec_b32 s4, s1
; %bb.14:                               ;   in Loop: Header=BB62_9 Depth=1
	ds_store_b64 v20, v[4:5] offset:8
; %bb.15:                               ;   in Loop: Header=BB62_9 Depth=1
	s_or_b32 exec_lo, exec_lo, s4
	s_lshl_b32 s4, s14, 3
	s_mul_i32 s28, s14, s16
	s_add_co_i32 s4, s4, 0
	s_lshl_b32 s28, s28, 3
	s_wait_dscnt 0x0
	s_add_co_i32 s28, s4, s28
	s_barrier_signal -1
	s_barrier_wait -1
	s_and_saveexec_b32 s30, s2
	s_cbranch_execz .LBB62_22
; %bb.16:                               ;   in Loop: Header=BB62_9 Depth=1
	v_mov_b32_e32 v26, s19
	s_mov_b32 s4, 0
	s_mov_b32 s31, 0
	s_mov_b32 s33, exec_lo
	ds_load_2addr_b64 v[6:9], v26 offset0:2 offset1:3
	ds_load_2addr_b64 v[22:25], v26 offset0:4 offset1:5
	s_wait_dscnt 0x1
	v_add_f64_e32 v[4:5], v[4:5], v[6:7]
	s_delay_alu instid0(VALU_DEP_1) | instskip(SKIP_1) | instid1(VALU_DEP_1)
	v_add_f64_e32 v[4:5], v[4:5], v[8:9]
	s_wait_dscnt 0x0
	v_add_f64_e32 v[4:5], v[4:5], v[22:23]
	s_delay_alu instid0(VALU_DEP_1) | instskip(SKIP_4) | instid1(VALU_DEP_1)
	v_add_f64_e32 v[8:9], v[4:5], v[24:25]
	ds_load_2addr_b64 v[4:7], v26 offset0:6 offset1:7
	ds_load_b64 v[22:23], v26 offset:64
	s_wait_dscnt 0x1
	v_add_f64_e32 v[4:5], v[8:9], v[4:5]
	v_add_f64_e32 v[4:5], v[4:5], v[6:7]
	s_wait_dscnt 0x0
	s_delay_alu instid0(VALU_DEP_1) | instskip(NEXT) | instid1(VALU_DEP_1)
	v_add_f64_e32 v[8:9], v[4:5], v[22:23]
                                        ; implicit-def: $vgpr4_vgpr5
	v_cmpx_nlt_f64_e32 0, v[8:9]
	s_xor_b32 s33, exec_lo, s33
	s_cbranch_execnz .LBB62_37
; %bb.17:                               ;   in Loop: Header=BB62_9 Depth=1
	s_or_saveexec_b32 s33, s33
	v_mov_b64_e32 v[6:7], 1.0
	s_xor_b32 exec_lo, exec_lo, s33
	s_cbranch_execnz .LBB62_41
.LBB62_18:                              ;   in Loop: Header=BB62_9 Depth=1
	s_or_b32 exec_lo, exec_lo, s33
	s_and_saveexec_b32 s33, s31
	s_cbranch_execnz .LBB62_42
.LBB62_19:                              ;   in Loop: Header=BB62_9 Depth=1
	s_or_b32 exec_lo, exec_lo, s33
	v_mov_b64_e32 v[8:9], 0
	s_and_saveexec_b32 s31, s4
	s_cbranch_execz .LBB62_21
.LBB62_20:                              ;   in Loop: Header=BB62_9 Depth=1
	v_dual_mov_b32 v8, s28 :: v_dual_mov_b32 v9, s19
	s_wait_dscnt 0x0
	ds_store_b64 v8, v[4:5]
	ds_load_b64 v[8:9], v9
.LBB62_21:                              ;   in Loop: Header=BB62_9 Depth=1
	s_or_b32 exec_lo, exec_lo, s31
	s_wait_dscnt 0x0
	v_mov_b32_e32 v4, s19
	s_lshl_b64 s[34:35], s[14:15], 3
	s_delay_alu instid0(SALU_CYCLE_1)
	s_add_nc_u64 s[34:35], s[10:11], s[34:35]
	global_store_b64 v21, v[8:9], s[34:35]
	ds_store_b64 v4, v[6:7] offset:8
.LBB62_22:                              ;   in Loop: Header=BB62_9 Depth=1
	s_wait_xcnt 0x0
	s_or_b32 exec_lo, exec_lo, s30
	s_wait_storecnt_dscnt 0x0
	s_barrier_signal -1
	s_barrier_wait -1
	s_and_saveexec_b32 s4, s3
	s_cbranch_execz .LBB62_25
; %bb.23:                               ;   in Loop: Header=BB62_9 Depth=1
	v_mov_b32_e32 v4, v0
	s_mov_b32 s3, 0
	s_mov_b32 s30, 0
.LBB62_24:                              ;   Parent Loop BB62_9 Depth=1
                                        ; =>  This Inner Loop Header: Depth=2
	s_delay_alu instid0(SALU_CYCLE_1) | instskip(NEXT) | instid1(VALU_DEP_2)
	v_dual_mov_b32 v5, s19 :: v_dual_add_nc_u32 v22, s30, v17
	v_add_nc_u32_e32 v4, 0x100, v4
	s_addk_co_i32 s30, 0x800
	ds_load_b64 v[6:7], v5 offset:8
	ds_load_b64 v[8:9], v22
	v_cmp_le_i32_e32 vcc_lo, s29, v4
	s_or_b32 s3, vcc_lo, s3
	s_wait_dscnt 0x0
	v_mul_f64_e32 v[6:7], v[6:7], v[8:9]
	ds_store_b64 v22, v[6:7]
	s_and_not1_b32 exec_lo, exec_lo, s3
	s_cbranch_execnz .LBB62_24
.LBB62_25:                              ;   in Loop: Header=BB62_9 Depth=1
	s_or_b32 exec_lo, exec_lo, s4
	s_not_b32 s3, s14
	s_mov_b32 s4, exec_lo
	s_add_co_i32 s3, s17, s3
	s_wait_dscnt 0x0
	s_barrier_signal -1
	s_barrier_wait -1
	v_cmpx_gt_i32_e64 s3, v0
	s_cbranch_execz .LBB62_31
; %bb.26:                               ;   in Loop: Header=BB62_9 Depth=1
	v_dual_mov_b32 v6, v18 :: v_dual_mov_b32 v7, v0
	s_cmp_gt_i32 s27, 0
	s_mov_b32 s29, 0
	s_cselect_b32 s30, -1, 0
	s_branch .LBB62_28
.LBB62_27:                              ;   in Loop: Header=BB62_28 Depth=2
	v_dual_mov_b32 v8, s19 :: v_dual_add_nc_u32 v6, s23, v6
	ds_load_b64 v[8:9], v8
	s_wait_dscnt 0x0
	v_mul_f64_e32 v[4:5], v[4:5], v[8:9]
	v_lshl_add_u32 v8, v7, 3, s18
	v_add_nc_u32_e32 v7, 0x100, v7
	s_delay_alu instid0(VALU_DEP_1)
	v_cmp_le_i32_e32 vcc_lo, s3, v7
	s_or_b32 s29, vcc_lo, s29
	ds_store_b64 v8, v[4:5]
	s_and_not1_b32 exec_lo, exec_lo, s29
	s_cbranch_execz .LBB62_31
.LBB62_28:                              ;   Parent Loop BB62_9 Depth=1
                                        ; =>  This Loop Header: Depth=2
                                        ;       Child Loop BB62_30 Depth 3
	v_mov_b64_e32 v[4:5], 0
	s_and_not1_b32 vcc_lo, exec_lo, s30
	s_cbranch_vccnz .LBB62_27
; %bb.29:                               ;   in Loop: Header=BB62_28 Depth=2
	v_mov_b32_e32 v8, v6
	s_mov_b32 s31, s24
	s_mov_b32 s33, s26
.LBB62_30:                              ;   Parent Loop BB62_9 Depth=1
                                        ;     Parent Loop BB62_28 Depth=2
                                        ; =>    This Inner Loop Header: Depth=3
	v_mov_b32_e32 v9, s31
	s_add_co_i32 s33, s33, -1
	s_add_co_i32 s31, s31, 8
	s_cmp_eq_u32 s33, 0
	ds_load_b64 v[22:23], v8
	ds_load_b64 v[24:25], v9
	v_add_nc_u32_e32 v8, 8, v8
	s_wait_dscnt 0x0
	v_fmac_f64_e32 v[4:5], v[22:23], v[24:25]
	s_cbranch_scc0 .LBB62_30
	s_branch .LBB62_27
.LBB62_31:                              ;   in Loop: Header=BB62_9 Depth=1
	s_or_b32 exec_lo, exec_lo, s4
	s_delay_alu instid0(SALU_CYCLE_1)
	s_mov_b32 s4, exec_lo
	s_wait_dscnt 0x0
	s_barrier_signal -1
	s_barrier_wait -1
	v_cmpx_gt_i32_e64 s27, v0
	s_cbranch_execz .LBB62_8
; %bb.32:                               ;   in Loop: Header=BB62_9 Depth=1
	v_dual_mov_b32 v4, v19 :: v_dual_mov_b32 v5, v0
	s_cmp_gt_i32 s3, 0
	s_mov_b32 s3, 0
	s_cselect_b32 s29, -1, 0
	s_branch .LBB62_34
.LBB62_33:                              ;   in Loop: Header=BB62_34 Depth=2
	v_add_nc_u32_e32 v5, 0x100, v5
	v_add_nc_u32_e32 v4, 0x800, v4
	s_delay_alu instid0(VALU_DEP_2) | instskip(SKIP_1) | instid1(SALU_CYCLE_1)
	v_cmp_le_i32_e32 vcc_lo, s27, v5
	s_or_b32 s3, vcc_lo, s3
	s_and_not1_b32 exec_lo, exec_lo, s3
	s_cbranch_execz .LBB62_8
.LBB62_34:                              ;   Parent Loop BB62_9 Depth=1
                                        ; =>  This Loop Header: Depth=2
                                        ;       Child Loop BB62_36 Depth 3
	s_and_not1_b32 vcc_lo, exec_lo, s29
	s_cbranch_vccnz .LBB62_33
; %bb.35:                               ;   in Loop: Header=BB62_34 Depth=2
	v_lshl_add_u32 v6, v5, 3, s28
	v_mov_b32_e32 v7, v4
	s_mov_b32 s30, 1
	s_mov_b32 s31, s18
.LBB62_36:                              ;   Parent Loop BB62_9 Depth=1
                                        ;     Parent Loop BB62_34 Depth=2
                                        ; =>    This Inner Loop Header: Depth=3
	s_delay_alu instid0(SALU_CYCLE_1)
	v_mov_b32_e32 v24, s31
	s_add_co_i32 s30, s30, 1
	s_add_co_i32 s31, s31, 8
	ds_load_b64 v[8:9], v7
	ds_load_b64 v[22:23], v6
	;; [unrolled: 1-line block ×3, first 2 shown]
	s_cmp_eq_u32 s25, s30
	s_wait_dscnt 0x0
	v_fma_f64 v[8:9], -v[22:23], v[24:25], v[8:9]
	ds_store_b64 v7, v[8:9]
	v_add_nc_u32_e32 v7, s7, v7
	s_cbranch_scc0 .LBB62_36
	s_branch .LBB62_33
.LBB62_37:                              ;   in Loop: Header=BB62_9 Depth=1
	v_mov_b32_e32 v4, s19
	s_and_b32 vcc_lo, exec_lo, s6
	ds_store_b64 v4, v[2:3]
	s_cbranch_vccz .LBB62_39
; %bb.38:                               ;   in Loop: Header=BB62_9 Depth=1
	v_mov_b32_e32 v4, s28
	s_mov_b32 s31, -1
	ds_load_b64 v[4:5], v4
	s_branch .LBB62_40
.LBB62_39:                              ;   in Loop: Header=BB62_9 Depth=1
                                        ; implicit-def: $vgpr4_vgpr5
.LBB62_40:                              ;   in Loop: Header=BB62_9 Depth=1
	s_and_b32 s31, s31, exec_lo
                                        ; implicit-def: $vgpr8_vgpr9
	s_or_saveexec_b32 s33, s33
	v_mov_b64_e32 v[6:7], 1.0
	s_xor_b32 exec_lo, exec_lo, s33
	s_cbranch_execz .LBB62_18
.LBB62_41:                              ;   in Loop: Header=BB62_9 Depth=1
	s_wait_dscnt 0x0
	v_mov_b32_e32 v4, s28
	s_and_not1_b32 s31, s31, exec_lo
	s_and_b32 s34, s6, exec_lo
	s_delay_alu instid0(SALU_CYCLE_1) | instskip(SKIP_3) | instid1(VALU_DEP_1)
	s_or_b32 s31, s31, s34
	ds_load_b64 v[6:7], v4
	s_wait_dscnt 0x0
	v_fmac_f64_e32 v[8:9], v[6:7], v[6:7]
	v_cmp_gt_f64_e32 vcc_lo, 0x10000000, v[8:9]
	v_cndmask_b32_e64 v4, 0, 0x100, vcc_lo
	s_delay_alu instid0(VALU_DEP_1) | instskip(NEXT) | instid1(VALU_DEP_1)
	v_ldexp_f64 v[4:5], v[8:9], v4
	v_rsq_f64_e32 v[8:9], v[4:5]
	v_nop
	s_delay_alu instid0(TRANS32_DEP_1) | instskip(SKIP_1) | instid1(VALU_DEP_1)
	v_mul_f64_e32 v[22:23], v[4:5], v[8:9]
	v_mul_f64_e32 v[8:9], 0.5, v[8:9]
	v_fma_f64 v[24:25], -v[8:9], v[22:23], 0.5
	s_delay_alu instid0(VALU_DEP_1) | instskip(SKIP_1) | instid1(VALU_DEP_2)
	v_fmac_f64_e32 v[22:23], v[22:23], v[24:25]
	v_fmac_f64_e32 v[8:9], v[8:9], v[24:25]
	v_fma_f64 v[24:25], -v[22:23], v[22:23], v[4:5]
	s_delay_alu instid0(VALU_DEP_1) | instskip(NEXT) | instid1(VALU_DEP_1)
	v_fmac_f64_e32 v[22:23], v[24:25], v[8:9]
	v_fma_f64 v[24:25], -v[22:23], v[22:23], v[4:5]
	s_delay_alu instid0(VALU_DEP_1) | instskip(SKIP_2) | instid1(VALU_DEP_2)
	v_fmac_f64_e32 v[22:23], v[24:25], v[8:9]
	v_cndmask_b32_e64 v8, 0, 0xffffff80, vcc_lo
	v_cmp_class_f64_e64 vcc_lo, v[4:5], 0x260
	v_ldexp_f64 v[8:9], v[22:23], v8
	s_delay_alu instid0(VALU_DEP_1) | instskip(SKIP_1) | instid1(VALU_DEP_2)
	v_dual_cndmask_b32 v4, v8, v4 :: v_dual_cndmask_b32 v5, v9, v5
	v_cmp_le_f64_e32 vcc_lo, 0, v[6:7]
	v_xor_b32_e32 v8, 0x80000000, v5
	s_delay_alu instid0(VALU_DEP_1) | instskip(NEXT) | instid1(VALU_DEP_1)
	v_cndmask_b32_e32 v5, v5, v8, vcc_lo
	v_add_f64_e64 v[8:9], v[6:7], -v[4:5]
	v_add_f64_e64 v[6:7], v[4:5], -v[6:7]
	s_delay_alu instid0(VALU_DEP_2) | instskip(NEXT) | instid1(VALU_DEP_2)
	v_div_scale_f64 v[22:23], null, v[8:9], v[8:9], 1.0
	v_div_scale_f64 v[24:25], null, v[4:5], v[4:5], v[6:7]
	v_div_scale_f64 v[34:35], vcc_lo, 1.0, v[8:9], 1.0
	s_delay_alu instid0(VALU_DEP_3) | instskip(NEXT) | instid1(VALU_DEP_2)
	v_rcp_f64_e32 v[26:27], v[22:23]
	v_rcp_f64_e32 v[28:29], v[24:25]
	s_delay_alu instid0(TRANS32_DEP_2) | instskip(NEXT) | instid1(TRANS32_DEP_1)
	v_fma_f64 v[30:31], -v[22:23], v[26:27], 1.0
	v_fma_f64 v[32:33], -v[24:25], v[28:29], 1.0
	s_delay_alu instid0(VALU_DEP_2) | instskip(NEXT) | instid1(VALU_DEP_2)
	v_fmac_f64_e32 v[26:27], v[26:27], v[30:31]
	v_fmac_f64_e32 v[28:29], v[28:29], v[32:33]
	s_delay_alu instid0(VALU_DEP_2) | instskip(NEXT) | instid1(VALU_DEP_2)
	v_fma_f64 v[30:31], -v[22:23], v[26:27], 1.0
	v_fma_f64 v[32:33], -v[24:25], v[28:29], 1.0
	s_delay_alu instid0(VALU_DEP_2) | instskip(NEXT) | instid1(VALU_DEP_2)
	v_fmac_f64_e32 v[26:27], v[26:27], v[30:31]
	v_fmac_f64_e32 v[28:29], v[28:29], v[32:33]
	s_delay_alu instid0(VALU_DEP_2) | instskip(SKIP_1) | instid1(VALU_DEP_2)
	v_mul_f64_e32 v[32:33], v[34:35], v[26:27]
	v_div_scale_f64 v[30:31], s4, v[6:7], v[4:5], v[6:7]
	v_fma_f64 v[22:23], -v[22:23], v[32:33], v[34:35]
	s_delay_alu instid0(VALU_DEP_2) | instskip(NEXT) | instid1(VALU_DEP_2)
	v_mul_f64_e32 v[36:37], v[30:31], v[28:29]
	v_div_fmas_f64 v[22:23], v[22:23], v[26:27], v[32:33]
	s_delay_alu instid0(VALU_DEP_2) | instskip(SKIP_2) | instid1(VALU_DEP_1)
	v_fma_f64 v[24:25], -v[24:25], v[36:37], v[30:31]
	s_mov_b32 vcc_lo, s4
	s_and_b32 s4, s21, exec_lo
	v_div_fmas_f64 v[24:25], v[24:25], v[28:29], v[36:37]
	s_delay_alu instid0(VALU_DEP_1) | instskip(NEXT) | instid1(VALU_DEP_4)
	v_div_fixup_f64 v[24:25], v[24:25], v[4:5], v[6:7]
	v_div_fixup_f64 v[6:7], v[22:23], v[8:9], 1.0
	v_mov_b32_e32 v8, s19
	ds_store_b64 v8, v[24:25]
	s_or_b32 exec_lo, exec_lo, s33
	s_and_saveexec_b32 s33, s31
	s_cbranch_execz .LBB62_19
.LBB62_42:                              ;   in Loop: Header=BB62_9 Depth=1
	s_lshl_b64 s[34:35], s[14:15], 3
	s_or_b32 s4, s4, exec_lo
	s_add_nc_u64 s[34:35], s[8:9], s[34:35]
	s_wait_dscnt 0x0
	global_store_b64 v21, v[4:5], s[34:35]
	s_wait_xcnt 0x0
	v_mov_b64_e32 v[4:5], 1.0
	s_or_b32 exec_lo, exec_lo, s33
	v_mov_b64_e32 v[8:9], 0
	s_and_saveexec_b32 s31, s4
	s_cbranch_execnz .LBB62_20
	s_branch .LBB62_21
.LBB62_43:
	s_and_saveexec_b32 s1, s0
	s_cbranch_execz .LBB62_49
; %bb.44:
	v_mul_lo_u32 v2, s16, v10
	v_mad_u32 v0, s20, v10, v1
	s_lshl_b32 s1, s20, 1
	s_mov_b32 s2, 0
	s_lshl_b32 s3, s16, 4
	v_cmp_gt_i32_e32 vcc_lo, s17, v10
	s_delay_alu instid0(VALU_DEP_3) | instskip(NEXT) | instid1(VALU_DEP_1)
	v_lshlrev_b32_e32 v2, 3, v2
	v_add3_u32 v2, v2, v11, 0
	s_branch .LBB62_46
.LBB62_45:                              ;   in Loop: Header=BB62_46 Depth=1
	s_or_b32 exec_lo, exec_lo, s4
	v_add_nc_u32_e32 v1, 0x80, v1
	v_add_nc_u32_e32 v0, 0x80, v0
	;; [unrolled: 1-line block ×3, first 2 shown]
	s_delay_alu instid0(VALU_DEP_3) | instskip(SKIP_1) | instid1(SALU_CYCLE_1)
	v_cmp_le_i32_e64 s0, s16, v1
	s_or_b32 s2, s0, s2
	s_and_not1_b32 exec_lo, exec_lo, s2
	s_cbranch_execz .LBB62_49
.LBB62_46:                              ; =>This Loop Header: Depth=1
                                        ;     Child Loop BB62_48 Depth 2
	s_and_saveexec_b32 s4, vcc_lo
	s_cbranch_execz .LBB62_45
; %bb.47:                               ;   in Loop: Header=BB62_46 Depth=1
	s_delay_alu instid0(VALU_DEP_1)
	v_dual_mov_b32 v3, v2 :: v_dual_mov_b32 v4, v0
	v_mov_b32_e32 v5, v10
	s_mov_b32 s5, 0
.LBB62_48:                              ;   Parent Loop BB62_46 Depth=1
                                        ; =>  This Inner Loop Header: Depth=2
	ds_load_b64 v[6:7], v3
	v_dual_add_nc_u32 v5, 2, v5 :: v_dual_add_nc_u32 v3, s3, v3
	s_delay_alu instid0(VALU_DEP_1)
	v_cmp_le_i32_e64 s0, s17, v5
	s_or_b32 s5, s0, s5
	s_wait_dscnt 0x0
	global_store_b64 v4, v[6:7], s[12:13] scale_offset
	s_wait_xcnt 0x0
	v_add_nc_u32_e32 v4, s1, v4
	s_and_not1_b32 exec_lo, exec_lo, s5
	s_cbranch_execnz .LBB62_48
	s_branch .LBB62_45
.LBB62_49:
	s_endpgm
	.section	.rodata,"a",@progbits
	.p2align	6, 0x0
	.amdhsa_kernel _ZN9rocsolver6v33100L18geqr2_kernel_smallILi256EdidPdEEvT1_S3_T3_lS3_lPT2_lPT0_l
		.amdhsa_group_segment_fixed_size 0
		.amdhsa_private_segment_fixed_size 0
		.amdhsa_kernarg_size 72
		.amdhsa_user_sgpr_count 2
		.amdhsa_user_sgpr_dispatch_ptr 0
		.amdhsa_user_sgpr_queue_ptr 0
		.amdhsa_user_sgpr_kernarg_segment_ptr 1
		.amdhsa_user_sgpr_dispatch_id 0
		.amdhsa_user_sgpr_kernarg_preload_length 0
		.amdhsa_user_sgpr_kernarg_preload_offset 0
		.amdhsa_user_sgpr_private_segment_size 0
		.amdhsa_wavefront_size32 1
		.amdhsa_uses_dynamic_stack 0
		.amdhsa_enable_private_segment 0
		.amdhsa_system_sgpr_workgroup_id_x 1
		.amdhsa_system_sgpr_workgroup_id_y 0
		.amdhsa_system_sgpr_workgroup_id_z 1
		.amdhsa_system_sgpr_workgroup_info 0
		.amdhsa_system_vgpr_workitem_id 0
		.amdhsa_next_free_vgpr 38
		.amdhsa_next_free_sgpr 36
		.amdhsa_named_barrier_count 0
		.amdhsa_reserve_vcc 1
		.amdhsa_float_round_mode_32 0
		.amdhsa_float_round_mode_16_64 0
		.amdhsa_float_denorm_mode_32 3
		.amdhsa_float_denorm_mode_16_64 3
		.amdhsa_fp16_overflow 0
		.amdhsa_memory_ordered 1
		.amdhsa_forward_progress 1
		.amdhsa_inst_pref_size 20
		.amdhsa_round_robin_scheduling 0
		.amdhsa_exception_fp_ieee_invalid_op 0
		.amdhsa_exception_fp_denorm_src 0
		.amdhsa_exception_fp_ieee_div_zero 0
		.amdhsa_exception_fp_ieee_overflow 0
		.amdhsa_exception_fp_ieee_underflow 0
		.amdhsa_exception_fp_ieee_inexact 0
		.amdhsa_exception_int_div_zero 0
	.end_amdhsa_kernel
	.section	.text._ZN9rocsolver6v33100L18geqr2_kernel_smallILi256EdidPdEEvT1_S3_T3_lS3_lPT2_lPT0_l,"axG",@progbits,_ZN9rocsolver6v33100L18geqr2_kernel_smallILi256EdidPdEEvT1_S3_T3_lS3_lPT2_lPT0_l,comdat
.Lfunc_end62:
	.size	_ZN9rocsolver6v33100L18geqr2_kernel_smallILi256EdidPdEEvT1_S3_T3_lS3_lPT2_lPT0_l, .Lfunc_end62-_ZN9rocsolver6v33100L18geqr2_kernel_smallILi256EdidPdEEvT1_S3_T3_lS3_lPT2_lPT0_l
                                        ; -- End function
	.set _ZN9rocsolver6v33100L18geqr2_kernel_smallILi256EdidPdEEvT1_S3_T3_lS3_lPT2_lPT0_l.num_vgpr, 38
	.set _ZN9rocsolver6v33100L18geqr2_kernel_smallILi256EdidPdEEvT1_S3_T3_lS3_lPT2_lPT0_l.num_agpr, 0
	.set _ZN9rocsolver6v33100L18geqr2_kernel_smallILi256EdidPdEEvT1_S3_T3_lS3_lPT2_lPT0_l.numbered_sgpr, 36
	.set _ZN9rocsolver6v33100L18geqr2_kernel_smallILi256EdidPdEEvT1_S3_T3_lS3_lPT2_lPT0_l.num_named_barrier, 0
	.set _ZN9rocsolver6v33100L18geqr2_kernel_smallILi256EdidPdEEvT1_S3_T3_lS3_lPT2_lPT0_l.private_seg_size, 0
	.set _ZN9rocsolver6v33100L18geqr2_kernel_smallILi256EdidPdEEvT1_S3_T3_lS3_lPT2_lPT0_l.uses_vcc, 1
	.set _ZN9rocsolver6v33100L18geqr2_kernel_smallILi256EdidPdEEvT1_S3_T3_lS3_lPT2_lPT0_l.uses_flat_scratch, 0
	.set _ZN9rocsolver6v33100L18geqr2_kernel_smallILi256EdidPdEEvT1_S3_T3_lS3_lPT2_lPT0_l.has_dyn_sized_stack, 0
	.set _ZN9rocsolver6v33100L18geqr2_kernel_smallILi256EdidPdEEvT1_S3_T3_lS3_lPT2_lPT0_l.has_recursion, 0
	.set _ZN9rocsolver6v33100L18geqr2_kernel_smallILi256EdidPdEEvT1_S3_T3_lS3_lPT2_lPT0_l.has_indirect_call, 0
	.section	.AMDGPU.csdata,"",@progbits
; Kernel info:
; codeLenInByte = 2556
; TotalNumSgprs: 38
; NumVgprs: 38
; ScratchSize: 0
; MemoryBound: 0
; FloatMode: 240
; IeeeMode: 1
; LDSByteSize: 0 bytes/workgroup (compile time only)
; SGPRBlocks: 0
; VGPRBlocks: 2
; NumSGPRsForWavesPerEU: 38
; NumVGPRsForWavesPerEU: 38
; NamedBarCnt: 0
; Occupancy: 16
; WaveLimiterHint : 0
; COMPUTE_PGM_RSRC2:SCRATCH_EN: 0
; COMPUTE_PGM_RSRC2:USER_SGPR: 2
; COMPUTE_PGM_RSRC2:TRAP_HANDLER: 0
; COMPUTE_PGM_RSRC2:TGID_X_EN: 1
; COMPUTE_PGM_RSRC2:TGID_Y_EN: 0
; COMPUTE_PGM_RSRC2:TGID_Z_EN: 1
; COMPUTE_PGM_RSRC2:TIDIG_COMP_CNT: 0
	.section	.text._ZN9rocsolver6v33100L16reset_batch_infoIdiiPdEEvT2_lT0_T1_,"axG",@progbits,_ZN9rocsolver6v33100L16reset_batch_infoIdiiPdEEvT2_lT0_T1_,comdat
	.globl	_ZN9rocsolver6v33100L16reset_batch_infoIdiiPdEEvT2_lT0_T1_ ; -- Begin function _ZN9rocsolver6v33100L16reset_batch_infoIdiiPdEEvT2_lT0_T1_
	.p2align	8
	.type	_ZN9rocsolver6v33100L16reset_batch_infoIdiiPdEEvT2_lT0_T1_,@function
_ZN9rocsolver6v33100L16reset_batch_infoIdiiPdEEvT2_lT0_T1_: ; @_ZN9rocsolver6v33100L16reset_batch_infoIdiiPdEEvT2_lT0_T1_
; %bb.0:
	s_clause 0x1
	s_load_b32 s5, s[0:1], 0x24
	s_load_b64 s[2:3], s[0:1], 0x10
	s_bfe_u32 s4, ttmp6, 0x4000c
	s_and_b32 s6, ttmp6, 15
	s_add_co_i32 s7, s4, 1
	s_getreg_b32 s4, hwreg(HW_REG_IB_STS2, 6, 4)
	s_mul_i32 s7, ttmp9, s7
	s_delay_alu instid0(SALU_CYCLE_1) | instskip(SKIP_4) | instid1(SALU_CYCLE_1)
	s_add_co_i32 s6, s6, s7
	s_wait_kmcnt 0x0
	s_and_b32 s5, s5, 0xffff
	s_cmp_eq_u32 s4, 0
	s_cselect_b32 s6, ttmp9, s6
	v_mad_u32 v0, s6, s5, v0
	s_delay_alu instid0(VALU_DEP_1)
	v_cmp_gt_i32_e32 vcc_lo, s2, v0
	s_and_saveexec_b32 s2, vcc_lo
	s_cbranch_execz .LBB63_2
; %bb.1:
	v_cvt_f64_i32_e32 v[2:3], s3
	s_load_b128 s[0:3], s[0:1], 0x0
	s_bfe_u32 s5, ttmp6, 0x40010
	s_bfe_u32 s6, ttmp6, 0x40004
	s_add_co_i32 s5, s5, 1
	s_delay_alu instid0(SALU_CYCLE_1) | instskip(NEXT) | instid1(SALU_CYCLE_1)
	s_mul_i32 s5, ttmp7, s5
	s_add_co_i32 s6, s6, s5
	s_cmp_eq_u32 s4, 0
	s_cselect_b32 s4, ttmp7, s6
	s_delay_alu instid0(SALU_CYCLE_1) | instskip(SKIP_2) | instid1(SALU_CYCLE_1)
	s_ashr_i32 s5, s4, 31
	s_wait_kmcnt 0x0
	s_mul_u64 s[2:3], s[2:3], s[4:5]
	s_lshl_b64 s[2:3], s[2:3], 3
	s_delay_alu instid0(SALU_CYCLE_1)
	s_add_nc_u64 s[0:1], s[0:1], s[2:3]
	global_store_b64 v0, v[2:3], s[0:1] scale_offset
.LBB63_2:
	s_endpgm
	.section	.rodata,"a",@progbits
	.p2align	6, 0x0
	.amdhsa_kernel _ZN9rocsolver6v33100L16reset_batch_infoIdiiPdEEvT2_lT0_T1_
		.amdhsa_group_segment_fixed_size 0
		.amdhsa_private_segment_fixed_size 0
		.amdhsa_kernarg_size 280
		.amdhsa_user_sgpr_count 2
		.amdhsa_user_sgpr_dispatch_ptr 0
		.amdhsa_user_sgpr_queue_ptr 0
		.amdhsa_user_sgpr_kernarg_segment_ptr 1
		.amdhsa_user_sgpr_dispatch_id 0
		.amdhsa_user_sgpr_kernarg_preload_length 0
		.amdhsa_user_sgpr_kernarg_preload_offset 0
		.amdhsa_user_sgpr_private_segment_size 0
		.amdhsa_wavefront_size32 1
		.amdhsa_uses_dynamic_stack 0
		.amdhsa_enable_private_segment 0
		.amdhsa_system_sgpr_workgroup_id_x 1
		.amdhsa_system_sgpr_workgroup_id_y 1
		.amdhsa_system_sgpr_workgroup_id_z 0
		.amdhsa_system_sgpr_workgroup_info 0
		.amdhsa_system_vgpr_workitem_id 0
		.amdhsa_next_free_vgpr 4
		.amdhsa_next_free_sgpr 8
		.amdhsa_named_barrier_count 0
		.amdhsa_reserve_vcc 1
		.amdhsa_float_round_mode_32 0
		.amdhsa_float_round_mode_16_64 0
		.amdhsa_float_denorm_mode_32 3
		.amdhsa_float_denorm_mode_16_64 3
		.amdhsa_fp16_overflow 0
		.amdhsa_memory_ordered 1
		.amdhsa_forward_progress 1
		.amdhsa_inst_pref_size 2
		.amdhsa_round_robin_scheduling 0
		.amdhsa_exception_fp_ieee_invalid_op 0
		.amdhsa_exception_fp_denorm_src 0
		.amdhsa_exception_fp_ieee_div_zero 0
		.amdhsa_exception_fp_ieee_overflow 0
		.amdhsa_exception_fp_ieee_underflow 0
		.amdhsa_exception_fp_ieee_inexact 0
		.amdhsa_exception_int_div_zero 0
	.end_amdhsa_kernel
	.section	.text._ZN9rocsolver6v33100L16reset_batch_infoIdiiPdEEvT2_lT0_T1_,"axG",@progbits,_ZN9rocsolver6v33100L16reset_batch_infoIdiiPdEEvT2_lT0_T1_,comdat
.Lfunc_end63:
	.size	_ZN9rocsolver6v33100L16reset_batch_infoIdiiPdEEvT2_lT0_T1_, .Lfunc_end63-_ZN9rocsolver6v33100L16reset_batch_infoIdiiPdEEvT2_lT0_T1_
                                        ; -- End function
	.set _ZN9rocsolver6v33100L16reset_batch_infoIdiiPdEEvT2_lT0_T1_.num_vgpr, 4
	.set _ZN9rocsolver6v33100L16reset_batch_infoIdiiPdEEvT2_lT0_T1_.num_agpr, 0
	.set _ZN9rocsolver6v33100L16reset_batch_infoIdiiPdEEvT2_lT0_T1_.numbered_sgpr, 8
	.set _ZN9rocsolver6v33100L16reset_batch_infoIdiiPdEEvT2_lT0_T1_.num_named_barrier, 0
	.set _ZN9rocsolver6v33100L16reset_batch_infoIdiiPdEEvT2_lT0_T1_.private_seg_size, 0
	.set _ZN9rocsolver6v33100L16reset_batch_infoIdiiPdEEvT2_lT0_T1_.uses_vcc, 1
	.set _ZN9rocsolver6v33100L16reset_batch_infoIdiiPdEEvT2_lT0_T1_.uses_flat_scratch, 0
	.set _ZN9rocsolver6v33100L16reset_batch_infoIdiiPdEEvT2_lT0_T1_.has_dyn_sized_stack, 0
	.set _ZN9rocsolver6v33100L16reset_batch_infoIdiiPdEEvT2_lT0_T1_.has_recursion, 0
	.set _ZN9rocsolver6v33100L16reset_batch_infoIdiiPdEEvT2_lT0_T1_.has_indirect_call, 0
	.section	.AMDGPU.csdata,"",@progbits
; Kernel info:
; codeLenInByte = 192
; TotalNumSgprs: 10
; NumVgprs: 4
; ScratchSize: 0
; MemoryBound: 0
; FloatMode: 240
; IeeeMode: 1
; LDSByteSize: 0 bytes/workgroup (compile time only)
; SGPRBlocks: 0
; VGPRBlocks: 0
; NumSGPRsForWavesPerEU: 10
; NumVGPRsForWavesPerEU: 4
; NamedBarCnt: 0
; Occupancy: 16
; WaveLimiterHint : 0
; COMPUTE_PGM_RSRC2:SCRATCH_EN: 0
; COMPUTE_PGM_RSRC2:USER_SGPR: 2
; COMPUTE_PGM_RSRC2:TRAP_HANDLER: 0
; COMPUTE_PGM_RSRC2:TGID_X_EN: 1
; COMPUTE_PGM_RSRC2:TGID_Y_EN: 1
; COMPUTE_PGM_RSRC2:TGID_Z_EN: 0
; COMPUTE_PGM_RSRC2:TIDIG_COMP_CNT: 0
	.section	.text._ZN9rocsolver6v33100L8set_diagIdidPdTnNSt9enable_ifIXoont18rocblas_is_complexIT_E18rocblas_is_complexIT1_EEiE4typeELi0EEEvPS5_llT2_lT0_lSA_b,"axG",@progbits,_ZN9rocsolver6v33100L8set_diagIdidPdTnNSt9enable_ifIXoont18rocblas_is_complexIT_E18rocblas_is_complexIT1_EEiE4typeELi0EEEvPS5_llT2_lT0_lSA_b,comdat
	.globl	_ZN9rocsolver6v33100L8set_diagIdidPdTnNSt9enable_ifIXoont18rocblas_is_complexIT_E18rocblas_is_complexIT1_EEiE4typeELi0EEEvPS5_llT2_lT0_lSA_b ; -- Begin function _ZN9rocsolver6v33100L8set_diagIdidPdTnNSt9enable_ifIXoont18rocblas_is_complexIT_E18rocblas_is_complexIT1_EEiE4typeELi0EEEvPS5_llT2_lT0_lSA_b
	.p2align	8
	.type	_ZN9rocsolver6v33100L8set_diagIdidPdTnNSt9enable_ifIXoont18rocblas_is_complexIT_E18rocblas_is_complexIT1_EEiE4typeELi0EEEvPS5_llT2_lT0_lSA_b,@function
_ZN9rocsolver6v33100L8set_diagIdidPdTnNSt9enable_ifIXoont18rocblas_is_complexIT_E18rocblas_is_complexIT1_EEiE4typeELi0EEEvPS5_llT2_lT0_lSA_b: ; @_ZN9rocsolver6v33100L8set_diagIdidPdTnNSt9enable_ifIXoont18rocblas_is_complexIT_E18rocblas_is_complexIT1_EEiE4typeELi0EEEvPS5_llT2_lT0_lSA_b
; %bb.0:
	s_load_u16 s5, s[0:1], 0x4e
	s_bfe_u32 s2, ttmp6, 0x40010
	s_bfe_u32 s6, ttmp6, 0x40004
	s_add_co_i32 s4, s2, 1
	s_load_b64 s[2:3], s[0:1], 0x38
	s_mul_i32 s4, ttmp7, s4
	v_bfe_u32 v0, v0, 10, 10
	s_add_co_i32 s6, s6, s4
	s_getreg_b32 s4, hwreg(HW_REG_IB_STS2, 6, 4)
	s_delay_alu instid0(SALU_CYCLE_1) | instskip(SKIP_3) | instid1(VALU_DEP_1)
	s_cmp_eq_u32 s4, 0
	s_cselect_b32 s6, ttmp7, s6
	s_wait_kmcnt 0x0
	v_mad_u32 v0, s6, s5, v0
	v_cmp_gt_i32_e32 vcc_lo, s2, v0
	s_and_saveexec_b32 s2, vcc_lo
	s_cbranch_execz .LBB64_2
; %bb.1:
	s_clause 0x2
	s_load_b96 s[16:18], s[0:1], 0x20
	s_load_b64 s[6:7], s[0:1], 0x30
	s_load_b256 s[8:15], s[0:1], 0x0
	s_bitcmp1_b32 s3, 0
	s_cselect_b32 s19, -1, 0
	s_wait_xcnt 0x0
	s_bfe_u32 s0, ttmp6, 0x4000c
	s_and_b32 s1, ttmp6, 15
	s_add_co_i32 s0, s0, 1
	s_delay_alu instid0(SALU_CYCLE_1) | instskip(NEXT) | instid1(SALU_CYCLE_1)
	s_mul_i32 s0, ttmp9, s0
	s_add_co_i32 s1, s1, s0
	s_cmp_eq_u32 s4, 0
	s_cselect_b32 s0, ttmp9, s1
	s_delay_alu instid0(SALU_CYCLE_1)
	s_ashr_i32 s1, s0, 31
	s_wait_kmcnt 0x0
	v_mad_u32 v1, v0, s18, v0
	s_mul_u64 s[2:3], s[6:7], s[0:1]
	s_lshl_b64 s[4:5], s[16:17], 3
	s_lshl_b64 s[2:3], s[2:3], 3
	s_mul_u64 s[0:1], s[12:13], s[0:1]
	s_add_nc_u64 s[2:3], s[14:15], s[2:3]
	s_lshl_b64 s[0:1], s[0:1], 3
	s_add_nc_u64 s[2:3], s[2:3], s[4:5]
	s_lshl_b64 s[4:5], s[10:11], 3
	s_add_nc_u64 s[0:1], s[8:9], s[0:1]
	s_delay_alu instid0(SALU_CYCLE_1)
	s_add_nc_u64 s[0:1], s[0:1], s[4:5]
	global_load_b64 v[2:3], v1, s[2:3] scale_offset
	s_wait_loadcnt 0x0
	v_cndmask_b32_e64 v5, v3, 0x3ff00000, s19
	v_cndmask_b32_e64 v4, v2, 0, s19
	global_store_b64 v0, v[2:3], s[0:1] scale_offset
	global_store_b64 v1, v[4:5], s[2:3] scale_offset
.LBB64_2:
	s_endpgm
	.section	.rodata,"a",@progbits
	.p2align	6, 0x0
	.amdhsa_kernel _ZN9rocsolver6v33100L8set_diagIdidPdTnNSt9enable_ifIXoont18rocblas_is_complexIT_E18rocblas_is_complexIT1_EEiE4typeELi0EEEvPS5_llT2_lT0_lSA_b
		.amdhsa_group_segment_fixed_size 0
		.amdhsa_private_segment_fixed_size 0
		.amdhsa_kernarg_size 320
		.amdhsa_user_sgpr_count 2
		.amdhsa_user_sgpr_dispatch_ptr 0
		.amdhsa_user_sgpr_queue_ptr 0
		.amdhsa_user_sgpr_kernarg_segment_ptr 1
		.amdhsa_user_sgpr_dispatch_id 0
		.amdhsa_user_sgpr_kernarg_preload_length 0
		.amdhsa_user_sgpr_kernarg_preload_offset 0
		.amdhsa_user_sgpr_private_segment_size 0
		.amdhsa_wavefront_size32 1
		.amdhsa_uses_dynamic_stack 0
		.amdhsa_enable_private_segment 0
		.amdhsa_system_sgpr_workgroup_id_x 1
		.amdhsa_system_sgpr_workgroup_id_y 1
		.amdhsa_system_sgpr_workgroup_id_z 0
		.amdhsa_system_sgpr_workgroup_info 0
		.amdhsa_system_vgpr_workitem_id 1
		.amdhsa_next_free_vgpr 6
		.amdhsa_next_free_sgpr 20
		.amdhsa_named_barrier_count 0
		.amdhsa_reserve_vcc 1
		.amdhsa_float_round_mode_32 0
		.amdhsa_float_round_mode_16_64 0
		.amdhsa_float_denorm_mode_32 3
		.amdhsa_float_denorm_mode_16_64 3
		.amdhsa_fp16_overflow 0
		.amdhsa_memory_ordered 1
		.amdhsa_forward_progress 1
		.amdhsa_inst_pref_size 3
		.amdhsa_round_robin_scheduling 0
		.amdhsa_exception_fp_ieee_invalid_op 0
		.amdhsa_exception_fp_denorm_src 0
		.amdhsa_exception_fp_ieee_div_zero 0
		.amdhsa_exception_fp_ieee_overflow 0
		.amdhsa_exception_fp_ieee_underflow 0
		.amdhsa_exception_fp_ieee_inexact 0
		.amdhsa_exception_int_div_zero 0
	.end_amdhsa_kernel
	.section	.text._ZN9rocsolver6v33100L8set_diagIdidPdTnNSt9enable_ifIXoont18rocblas_is_complexIT_E18rocblas_is_complexIT1_EEiE4typeELi0EEEvPS5_llT2_lT0_lSA_b,"axG",@progbits,_ZN9rocsolver6v33100L8set_diagIdidPdTnNSt9enable_ifIXoont18rocblas_is_complexIT_E18rocblas_is_complexIT1_EEiE4typeELi0EEEvPS5_llT2_lT0_lSA_b,comdat
.Lfunc_end64:
	.size	_ZN9rocsolver6v33100L8set_diagIdidPdTnNSt9enable_ifIXoont18rocblas_is_complexIT_E18rocblas_is_complexIT1_EEiE4typeELi0EEEvPS5_llT2_lT0_lSA_b, .Lfunc_end64-_ZN9rocsolver6v33100L8set_diagIdidPdTnNSt9enable_ifIXoont18rocblas_is_complexIT_E18rocblas_is_complexIT1_EEiE4typeELi0EEEvPS5_llT2_lT0_lSA_b
                                        ; -- End function
	.set _ZN9rocsolver6v33100L8set_diagIdidPdTnNSt9enable_ifIXoont18rocblas_is_complexIT_E18rocblas_is_complexIT1_EEiE4typeELi0EEEvPS5_llT2_lT0_lSA_b.num_vgpr, 6
	.set _ZN9rocsolver6v33100L8set_diagIdidPdTnNSt9enable_ifIXoont18rocblas_is_complexIT_E18rocblas_is_complexIT1_EEiE4typeELi0EEEvPS5_llT2_lT0_lSA_b.num_agpr, 0
	.set _ZN9rocsolver6v33100L8set_diagIdidPdTnNSt9enable_ifIXoont18rocblas_is_complexIT_E18rocblas_is_complexIT1_EEiE4typeELi0EEEvPS5_llT2_lT0_lSA_b.numbered_sgpr, 20
	.set _ZN9rocsolver6v33100L8set_diagIdidPdTnNSt9enable_ifIXoont18rocblas_is_complexIT_E18rocblas_is_complexIT1_EEiE4typeELi0EEEvPS5_llT2_lT0_lSA_b.num_named_barrier, 0
	.set _ZN9rocsolver6v33100L8set_diagIdidPdTnNSt9enable_ifIXoont18rocblas_is_complexIT_E18rocblas_is_complexIT1_EEiE4typeELi0EEEvPS5_llT2_lT0_lSA_b.private_seg_size, 0
	.set _ZN9rocsolver6v33100L8set_diagIdidPdTnNSt9enable_ifIXoont18rocblas_is_complexIT_E18rocblas_is_complexIT1_EEiE4typeELi0EEEvPS5_llT2_lT0_lSA_b.uses_vcc, 1
	.set _ZN9rocsolver6v33100L8set_diagIdidPdTnNSt9enable_ifIXoont18rocblas_is_complexIT_E18rocblas_is_complexIT1_EEiE4typeELi0EEEvPS5_llT2_lT0_lSA_b.uses_flat_scratch, 0
	.set _ZN9rocsolver6v33100L8set_diagIdidPdTnNSt9enable_ifIXoont18rocblas_is_complexIT_E18rocblas_is_complexIT1_EEiE4typeELi0EEEvPS5_llT2_lT0_lSA_b.has_dyn_sized_stack, 0
	.set _ZN9rocsolver6v33100L8set_diagIdidPdTnNSt9enable_ifIXoont18rocblas_is_complexIT_E18rocblas_is_complexIT1_EEiE4typeELi0EEEvPS5_llT2_lT0_lSA_b.has_recursion, 0
	.set _ZN9rocsolver6v33100L8set_diagIdidPdTnNSt9enable_ifIXoont18rocblas_is_complexIT_E18rocblas_is_complexIT1_EEiE4typeELi0EEEvPS5_llT2_lT0_lSA_b.has_indirect_call, 0
	.section	.AMDGPU.csdata,"",@progbits
; Kernel info:
; codeLenInByte = 296
; TotalNumSgprs: 22
; NumVgprs: 6
; ScratchSize: 0
; MemoryBound: 0
; FloatMode: 240
; IeeeMode: 1
; LDSByteSize: 0 bytes/workgroup (compile time only)
; SGPRBlocks: 0
; VGPRBlocks: 0
; NumSGPRsForWavesPerEU: 22
; NumVGPRsForWavesPerEU: 6
; NamedBarCnt: 0
; Occupancy: 16
; WaveLimiterHint : 0
; COMPUTE_PGM_RSRC2:SCRATCH_EN: 0
; COMPUTE_PGM_RSRC2:USER_SGPR: 2
; COMPUTE_PGM_RSRC2:TRAP_HANDLER: 0
; COMPUTE_PGM_RSRC2:TGID_X_EN: 1
; COMPUTE_PGM_RSRC2:TGID_Y_EN: 1
; COMPUTE_PGM_RSRC2:TGID_Z_EN: 0
; COMPUTE_PGM_RSRC2:TIDIG_COMP_CNT: 1
	.section	.text._ZN9rocsolver6v33100L11set_taubetaIdidPdEEvPT_lS4_T2_llPT1_ll,"axG",@progbits,_ZN9rocsolver6v33100L11set_taubetaIdidPdEEvPT_lS4_T2_llPT1_ll,comdat
	.globl	_ZN9rocsolver6v33100L11set_taubetaIdidPdEEvPT_lS4_T2_llPT1_ll ; -- Begin function _ZN9rocsolver6v33100L11set_taubetaIdidPdEEvPT_lS4_T2_llPT1_ll
	.p2align	8
	.type	_ZN9rocsolver6v33100L11set_taubetaIdidPdEEvPT_lS4_T2_llPT1_ll,@function
_ZN9rocsolver6v33100L11set_taubetaIdidPdEEvPT_lS4_T2_llPT1_ll: ; @_ZN9rocsolver6v33100L11set_taubetaIdidPdEEvPT_lS4_T2_llPT1_ll
; %bb.0:
	s_load_b512 s[4:19], s[0:1], 0x0
	s_bfe_u32 s2, ttmp6, 0x4000c
	s_and_b32 s3, ttmp6, 15
	s_add_co_i32 s2, s2, 1
	s_getreg_b32 s20, hwreg(HW_REG_IB_STS2, 6, 4)
	s_mul_i32 s2, ttmp9, s2
	s_mov_b32 s22, 0
	s_add_co_i32 s3, s3, s2
	s_cmp_eq_u32 s20, 0
	s_cselect_b32 s20, ttmp9, s3
	s_mov_b64 s[2:3], 0
	s_ashr_i32 s21, s20, 31
	s_wait_kmcnt 0x0
	s_cmp_eq_u64 s[16:17], 0
	s_cbranch_scc1 .LBB65_2
; %bb.1:
	s_load_b64 s[0:1], s[0:1], 0x40
	s_lshl_b64 s[2:3], s[18:19], 3
	s_wait_kmcnt 0x0
	s_mul_u64 s[0:1], s[0:1], s[20:21]
	s_delay_alu instid0(SALU_CYCLE_1) | instskip(NEXT) | instid1(SALU_CYCLE_1)
	s_lshl_b64 s[0:1], s[0:1], 3
	s_add_nc_u64 s[0:1], s[16:17], s[0:1]
	s_delay_alu instid0(SALU_CYCLE_1)
	s_add_nc_u64 s[2:3], s[0:1], s[2:3]
.LBB65_2:
	s_lshl_b64 s[0:1], s[20:21], 3
	s_mul_u64 s[6:7], s[6:7], s[20:21]
	s_add_nc_u64 s[8:9], s[8:9], s[0:1]
	s_mul_u64 s[0:1], s[14:15], s[20:21]
	s_load_b64 s[16:17], s[8:9], 0x0
	s_lshl_b64 s[0:1], s[0:1], 3
	s_lshl_b64 s[12:13], s[12:13], 3
	;; [unrolled: 1-line block ×3, first 2 shown]
	s_cmp_eq_u64 s[2:3], 0
	s_add_nc_u64 s[0:1], s[10:11], s[0:1]
	s_cselect_b32 s6, -1, 0
	s_cmp_lg_u64 s[2:3], 0
	s_add_nc_u64 s[0:1], s[0:1], s[12:13]
	s_cselect_b32 s7, -1, 0
	s_add_nc_u64 s[4:5], s[4:5], s[14:15]
	s_wait_kmcnt 0x0
	v_cmp_ngt_f64_e64 s18, s[16:17], 0
	s_and_b32 vcc_lo, exec_lo, s18
	s_cbranch_vccz .LBB65_6
; %bb.3:
	v_mov_b64_e32 v[2:3], 1.0
	v_mov_b64_e32 v[4:5], 0
	v_mov_b32_e32 v0, 0
	s_mov_b32 s10, 0
	s_and_b32 vcc_lo, exec_lo, s7
	s_clause 0x1
	global_store_b64 v0, v[2:3], s[8:9]
	global_store_b64 v0, v[4:5], s[4:5]
	s_cbranch_vccz .LBB65_7
; %bb.4:
	global_load_b64 v[0:1], v0, s[0:1]
	s_mov_b32 s22, -1
	s_and_b32 vcc_lo, exec_lo, s10
	s_cbranch_vccnz .LBB65_8
.LBB65_5:
	s_mov_b32 s6, 0
	s_and_not1_b32 vcc_lo, exec_lo, s22
	s_cbranch_vccz .LBB65_9
	s_branch .LBB65_10
.LBB65_6:
	s_mov_b32 s10, -1
.LBB65_7:
                                        ; implicit-def: $vgpr0_vgpr1
	s_delay_alu instid0(SALU_CYCLE_1)
	s_and_b32 vcc_lo, exec_lo, s10
	s_cbranch_vccz .LBB65_5
.LBB65_8:
	v_mov_b32_e32 v12, 0
	s_mov_b32 s22, s7
	global_load_b64 v[2:3], v12, s[0:1]
	s_wait_loadcnt 0x0
	s_wait_xcnt 0x1
	v_fma_f64 v[0:1], v[2:3], v[2:3], s[16:17]
	s_delay_alu instid0(VALU_DEP_1) | instskip(SKIP_2) | instid1(SALU_CYCLE_1)
	v_cmp_gt_f64_e32 vcc_lo, 0x10000000, v[0:1]
	s_and_b32 s10, vcc_lo, exec_lo
	s_cselect_b32 s10, 0x100, 0
	v_ldexp_f64 v[0:1], v[0:1], s10
	s_cselect_b32 s10, 0xffffff80, 0
	s_delay_alu instid0(VALU_DEP_1) | instskip(SKIP_1) | instid1(TRANS32_DEP_1)
	v_rsq_f64_e32 v[4:5], v[0:1]
	v_cmp_class_f64_e64 vcc_lo, v[0:1], 0x260
	v_mul_f64_e32 v[6:7], v[0:1], v[4:5]
	v_mul_f64_e32 v[4:5], 0.5, v[4:5]
	s_delay_alu instid0(VALU_DEP_1) | instskip(NEXT) | instid1(VALU_DEP_1)
	v_fma_f64 v[8:9], -v[4:5], v[6:7], 0.5
	v_fmac_f64_e32 v[6:7], v[6:7], v[8:9]
	v_fmac_f64_e32 v[4:5], v[4:5], v[8:9]
	s_delay_alu instid0(VALU_DEP_2) | instskip(NEXT) | instid1(VALU_DEP_1)
	v_fma_f64 v[8:9], -v[6:7], v[6:7], v[0:1]
	v_fmac_f64_e32 v[6:7], v[8:9], v[4:5]
	s_delay_alu instid0(VALU_DEP_1) | instskip(NEXT) | instid1(VALU_DEP_1)
	v_fma_f64 v[8:9], -v[6:7], v[6:7], v[0:1]
	v_fmac_f64_e32 v[6:7], v[8:9], v[4:5]
	s_delay_alu instid0(VALU_DEP_1) | instskip(NEXT) | instid1(VALU_DEP_1)
	v_ldexp_f64 v[4:5], v[6:7], s10
	v_dual_cndmask_b32 v0, v4, v0 :: v_dual_cndmask_b32 v1, v5, v1
	v_cmp_le_f64_e32 vcc_lo, 0, v[2:3]
	s_delay_alu instid0(VALU_DEP_2) | instskip(NEXT) | instid1(VALU_DEP_1)
	v_xor_b32_e32 v4, 0x80000000, v1
	v_cndmask_b32_e32 v1, v1, v4, vcc_lo
	s_delay_alu instid0(VALU_DEP_1) | instskip(NEXT) | instid1(VALU_DEP_1)
	v_add_f64_e64 v[2:3], v[2:3], -v[0:1]
	v_div_scale_f64 v[4:5], null, v[2:3], v[2:3], 1.0
	v_div_scale_f64 v[10:11], vcc_lo, 1.0, v[2:3], 1.0
	s_delay_alu instid0(VALU_DEP_2) | instskip(SKIP_1) | instid1(TRANS32_DEP_1)
	v_rcp_f64_e32 v[6:7], v[4:5]
	v_nop
	v_fma_f64 v[8:9], -v[4:5], v[6:7], 1.0
	s_delay_alu instid0(VALU_DEP_1) | instskip(NEXT) | instid1(VALU_DEP_1)
	v_fmac_f64_e32 v[6:7], v[6:7], v[8:9]
	v_fma_f64 v[8:9], -v[4:5], v[6:7], 1.0
	s_delay_alu instid0(VALU_DEP_1) | instskip(NEXT) | instid1(VALU_DEP_1)
	v_fmac_f64_e32 v[6:7], v[6:7], v[8:9]
	v_mul_f64_e32 v[8:9], v[10:11], v[6:7]
	s_delay_alu instid0(VALU_DEP_1) | instskip(NEXT) | instid1(VALU_DEP_1)
	v_fma_f64 v[4:5], -v[4:5], v[8:9], v[10:11]
	v_div_fmas_f64 v[4:5], v[4:5], v[6:7], v[8:9]
	s_delay_alu instid0(VALU_DEP_1)
	v_div_fixup_f64 v[2:3], v[4:5], v[2:3], 1.0
	s_clause 0x1
	global_store_b64 v12, v[2:3], s[8:9]
	global_load_b64 v[2:3], v12, s[0:1]
	s_wait_loadcnt 0x0
	v_add_f64_e64 v[2:3], v[0:1], -v[2:3]
	s_delay_alu instid0(VALU_DEP_1) | instskip(NEXT) | instid1(VALU_DEP_1)
	v_div_scale_f64 v[4:5], null, v[0:1], v[0:1], v[2:3]
	v_rcp_f64_e32 v[6:7], v[4:5]
	v_nop
	s_delay_alu instid0(TRANS32_DEP_1) | instskip(NEXT) | instid1(VALU_DEP_1)
	v_fma_f64 v[8:9], -v[4:5], v[6:7], 1.0
	v_fmac_f64_e32 v[6:7], v[6:7], v[8:9]
	s_delay_alu instid0(VALU_DEP_1) | instskip(NEXT) | instid1(VALU_DEP_1)
	v_fma_f64 v[8:9], -v[4:5], v[6:7], 1.0
	v_fmac_f64_e32 v[6:7], v[6:7], v[8:9]
	v_div_scale_f64 v[8:9], vcc_lo, v[2:3], v[0:1], v[2:3]
	s_delay_alu instid0(VALU_DEP_1) | instskip(NEXT) | instid1(VALU_DEP_1)
	v_mul_f64_e32 v[10:11], v[8:9], v[6:7]
	v_fma_f64 v[4:5], -v[4:5], v[10:11], v[8:9]
	s_delay_alu instid0(VALU_DEP_1) | instskip(NEXT) | instid1(VALU_DEP_1)
	v_div_fmas_f64 v[4:5], v[4:5], v[6:7], v[10:11]
	v_div_fixup_f64 v[2:3], v[4:5], v[0:1], v[2:3]
	global_store_b64 v12, v[2:3], s[4:5]
	s_and_not1_b32 vcc_lo, exec_lo, s22
	s_cbranch_vccnz .LBB65_10
.LBB65_9:
	s_wait_xcnt 0x0
	v_mov_b32_e32 v2, 0
	s_mov_b32 s6, -1
	s_wait_loadcnt 0x0
	global_store_b64 v2, v[0:1], s[2:3]
	s_wait_xcnt 0x0
	v_mov_b64_e32 v[0:1], 1.0
.LBB65_10:
	s_and_not1_b32 vcc_lo, exec_lo, s6
	s_cbranch_vccz .LBB65_12
; %bb.11:
	s_endpgm
.LBB65_12:
	s_wait_xcnt 0x0
	v_mov_b32_e32 v2, 0
	s_wait_loadcnt 0x0
	global_store_b64 v2, v[0:1], s[0:1]
	s_endpgm
	.section	.rodata,"a",@progbits
	.p2align	6, 0x0
	.amdhsa_kernel _ZN9rocsolver6v33100L11set_taubetaIdidPdEEvPT_lS4_T2_llPT1_ll
		.amdhsa_group_segment_fixed_size 0
		.amdhsa_private_segment_fixed_size 0
		.amdhsa_kernarg_size 72
		.amdhsa_user_sgpr_count 2
		.amdhsa_user_sgpr_dispatch_ptr 0
		.amdhsa_user_sgpr_queue_ptr 0
		.amdhsa_user_sgpr_kernarg_segment_ptr 1
		.amdhsa_user_sgpr_dispatch_id 0
		.amdhsa_user_sgpr_kernarg_preload_length 0
		.amdhsa_user_sgpr_kernarg_preload_offset 0
		.amdhsa_user_sgpr_private_segment_size 0
		.amdhsa_wavefront_size32 1
		.amdhsa_uses_dynamic_stack 0
		.amdhsa_enable_private_segment 0
		.amdhsa_system_sgpr_workgroup_id_x 1
		.amdhsa_system_sgpr_workgroup_id_y 0
		.amdhsa_system_sgpr_workgroup_id_z 0
		.amdhsa_system_sgpr_workgroup_info 0
		.amdhsa_system_vgpr_workitem_id 0
		.amdhsa_next_free_vgpr 13
		.amdhsa_next_free_sgpr 23
		.amdhsa_named_barrier_count 0
		.amdhsa_reserve_vcc 1
		.amdhsa_float_round_mode_32 0
		.amdhsa_float_round_mode_16_64 0
		.amdhsa_float_denorm_mode_32 3
		.amdhsa_float_denorm_mode_16_64 3
		.amdhsa_fp16_overflow 0
		.amdhsa_memory_ordered 1
		.amdhsa_forward_progress 1
		.amdhsa_inst_pref_size 7
		.amdhsa_round_robin_scheduling 0
		.amdhsa_exception_fp_ieee_invalid_op 0
		.amdhsa_exception_fp_denorm_src 0
		.amdhsa_exception_fp_ieee_div_zero 0
		.amdhsa_exception_fp_ieee_overflow 0
		.amdhsa_exception_fp_ieee_underflow 0
		.amdhsa_exception_fp_ieee_inexact 0
		.amdhsa_exception_int_div_zero 0
	.end_amdhsa_kernel
	.section	.text._ZN9rocsolver6v33100L11set_taubetaIdidPdEEvPT_lS4_T2_llPT1_ll,"axG",@progbits,_ZN9rocsolver6v33100L11set_taubetaIdidPdEEvPT_lS4_T2_llPT1_ll,comdat
.Lfunc_end65:
	.size	_ZN9rocsolver6v33100L11set_taubetaIdidPdEEvPT_lS4_T2_llPT1_ll, .Lfunc_end65-_ZN9rocsolver6v33100L11set_taubetaIdidPdEEvPT_lS4_T2_llPT1_ll
                                        ; -- End function
	.set _ZN9rocsolver6v33100L11set_taubetaIdidPdEEvPT_lS4_T2_llPT1_ll.num_vgpr, 13
	.set _ZN9rocsolver6v33100L11set_taubetaIdidPdEEvPT_lS4_T2_llPT1_ll.num_agpr, 0
	.set _ZN9rocsolver6v33100L11set_taubetaIdidPdEEvPT_lS4_T2_llPT1_ll.numbered_sgpr, 23
	.set _ZN9rocsolver6v33100L11set_taubetaIdidPdEEvPT_lS4_T2_llPT1_ll.num_named_barrier, 0
	.set _ZN9rocsolver6v33100L11set_taubetaIdidPdEEvPT_lS4_T2_llPT1_ll.private_seg_size, 0
	.set _ZN9rocsolver6v33100L11set_taubetaIdidPdEEvPT_lS4_T2_llPT1_ll.uses_vcc, 1
	.set _ZN9rocsolver6v33100L11set_taubetaIdidPdEEvPT_lS4_T2_llPT1_ll.uses_flat_scratch, 0
	.set _ZN9rocsolver6v33100L11set_taubetaIdidPdEEvPT_lS4_T2_llPT1_ll.has_dyn_sized_stack, 0
	.set _ZN9rocsolver6v33100L11set_taubetaIdidPdEEvPT_lS4_T2_llPT1_ll.has_recursion, 0
	.set _ZN9rocsolver6v33100L11set_taubetaIdidPdEEvPT_lS4_T2_llPT1_ll.has_indirect_call, 0
	.section	.AMDGPU.csdata,"",@progbits
; Kernel info:
; codeLenInByte = 836
; TotalNumSgprs: 25
; NumVgprs: 13
; ScratchSize: 0
; MemoryBound: 0
; FloatMode: 240
; IeeeMode: 1
; LDSByteSize: 0 bytes/workgroup (compile time only)
; SGPRBlocks: 0
; VGPRBlocks: 0
; NumSGPRsForWavesPerEU: 25
; NumVGPRsForWavesPerEU: 13
; NamedBarCnt: 0
; Occupancy: 16
; WaveLimiterHint : 0
; COMPUTE_PGM_RSRC2:SCRATCH_EN: 0
; COMPUTE_PGM_RSRC2:USER_SGPR: 2
; COMPUTE_PGM_RSRC2:TRAP_HANDLER: 0
; COMPUTE_PGM_RSRC2:TGID_X_EN: 1
; COMPUTE_PGM_RSRC2:TGID_Y_EN: 0
; COMPUTE_PGM_RSRC2:TGID_Z_EN: 0
; COMPUTE_PGM_RSRC2:TIDIG_COMP_CNT: 0
	.section	.text._ZN9rocsolver6v33100L13conj_in_placeIdiPdTnNSt9enable_ifIXnt18rocblas_is_complexIT_EEiE4typeELi0EEEvT0_S7_T1_lS7_l,"axG",@progbits,_ZN9rocsolver6v33100L13conj_in_placeIdiPdTnNSt9enable_ifIXnt18rocblas_is_complexIT_EEiE4typeELi0EEEvT0_S7_T1_lS7_l,comdat
	.globl	_ZN9rocsolver6v33100L13conj_in_placeIdiPdTnNSt9enable_ifIXnt18rocblas_is_complexIT_EEiE4typeELi0EEEvT0_S7_T1_lS7_l ; -- Begin function _ZN9rocsolver6v33100L13conj_in_placeIdiPdTnNSt9enable_ifIXnt18rocblas_is_complexIT_EEiE4typeELi0EEEvT0_S7_T1_lS7_l
	.p2align	8
	.type	_ZN9rocsolver6v33100L13conj_in_placeIdiPdTnNSt9enable_ifIXnt18rocblas_is_complexIT_EEiE4typeELi0EEEvT0_S7_T1_lS7_l,@function
_ZN9rocsolver6v33100L13conj_in_placeIdiPdTnNSt9enable_ifIXnt18rocblas_is_complexIT_EEiE4typeELi0EEEvT0_S7_T1_lS7_l: ; @_ZN9rocsolver6v33100L13conj_in_placeIdiPdTnNSt9enable_ifIXnt18rocblas_is_complexIT_EEiE4typeELi0EEEvT0_S7_T1_lS7_l
; %bb.0:
	s_endpgm
	.section	.rodata,"a",@progbits
	.p2align	6, 0x0
	.amdhsa_kernel _ZN9rocsolver6v33100L13conj_in_placeIdiPdTnNSt9enable_ifIXnt18rocblas_is_complexIT_EEiE4typeELi0EEEvT0_S7_T1_lS7_l
		.amdhsa_group_segment_fixed_size 0
		.amdhsa_private_segment_fixed_size 0
		.amdhsa_kernarg_size 40
		.amdhsa_user_sgpr_count 2
		.amdhsa_user_sgpr_dispatch_ptr 0
		.amdhsa_user_sgpr_queue_ptr 0
		.amdhsa_user_sgpr_kernarg_segment_ptr 1
		.amdhsa_user_sgpr_dispatch_id 0
		.amdhsa_user_sgpr_kernarg_preload_length 0
		.amdhsa_user_sgpr_kernarg_preload_offset 0
		.amdhsa_user_sgpr_private_segment_size 0
		.amdhsa_wavefront_size32 1
		.amdhsa_uses_dynamic_stack 0
		.amdhsa_enable_private_segment 0
		.amdhsa_system_sgpr_workgroup_id_x 1
		.amdhsa_system_sgpr_workgroup_id_y 0
		.amdhsa_system_sgpr_workgroup_id_z 0
		.amdhsa_system_sgpr_workgroup_info 0
		.amdhsa_system_vgpr_workitem_id 0
		.amdhsa_next_free_vgpr 1
		.amdhsa_next_free_sgpr 1
		.amdhsa_named_barrier_count 0
		.amdhsa_reserve_vcc 0
		.amdhsa_float_round_mode_32 0
		.amdhsa_float_round_mode_16_64 0
		.amdhsa_float_denorm_mode_32 3
		.amdhsa_float_denorm_mode_16_64 3
		.amdhsa_fp16_overflow 0
		.amdhsa_memory_ordered 1
		.amdhsa_forward_progress 1
		.amdhsa_inst_pref_size 1
		.amdhsa_round_robin_scheduling 0
		.amdhsa_exception_fp_ieee_invalid_op 0
		.amdhsa_exception_fp_denorm_src 0
		.amdhsa_exception_fp_ieee_div_zero 0
		.amdhsa_exception_fp_ieee_overflow 0
		.amdhsa_exception_fp_ieee_underflow 0
		.amdhsa_exception_fp_ieee_inexact 0
		.amdhsa_exception_int_div_zero 0
	.end_amdhsa_kernel
	.section	.text._ZN9rocsolver6v33100L13conj_in_placeIdiPdTnNSt9enable_ifIXnt18rocblas_is_complexIT_EEiE4typeELi0EEEvT0_S7_T1_lS7_l,"axG",@progbits,_ZN9rocsolver6v33100L13conj_in_placeIdiPdTnNSt9enable_ifIXnt18rocblas_is_complexIT_EEiE4typeELi0EEEvT0_S7_T1_lS7_l,comdat
.Lfunc_end66:
	.size	_ZN9rocsolver6v33100L13conj_in_placeIdiPdTnNSt9enable_ifIXnt18rocblas_is_complexIT_EEiE4typeELi0EEEvT0_S7_T1_lS7_l, .Lfunc_end66-_ZN9rocsolver6v33100L13conj_in_placeIdiPdTnNSt9enable_ifIXnt18rocblas_is_complexIT_EEiE4typeELi0EEEvT0_S7_T1_lS7_l
                                        ; -- End function
	.set _ZN9rocsolver6v33100L13conj_in_placeIdiPdTnNSt9enable_ifIXnt18rocblas_is_complexIT_EEiE4typeELi0EEEvT0_S7_T1_lS7_l.num_vgpr, 0
	.set _ZN9rocsolver6v33100L13conj_in_placeIdiPdTnNSt9enable_ifIXnt18rocblas_is_complexIT_EEiE4typeELi0EEEvT0_S7_T1_lS7_l.num_agpr, 0
	.set _ZN9rocsolver6v33100L13conj_in_placeIdiPdTnNSt9enable_ifIXnt18rocblas_is_complexIT_EEiE4typeELi0EEEvT0_S7_T1_lS7_l.numbered_sgpr, 0
	.set _ZN9rocsolver6v33100L13conj_in_placeIdiPdTnNSt9enable_ifIXnt18rocblas_is_complexIT_EEiE4typeELi0EEEvT0_S7_T1_lS7_l.num_named_barrier, 0
	.set _ZN9rocsolver6v33100L13conj_in_placeIdiPdTnNSt9enable_ifIXnt18rocblas_is_complexIT_EEiE4typeELi0EEEvT0_S7_T1_lS7_l.private_seg_size, 0
	.set _ZN9rocsolver6v33100L13conj_in_placeIdiPdTnNSt9enable_ifIXnt18rocblas_is_complexIT_EEiE4typeELi0EEEvT0_S7_T1_lS7_l.uses_vcc, 0
	.set _ZN9rocsolver6v33100L13conj_in_placeIdiPdTnNSt9enable_ifIXnt18rocblas_is_complexIT_EEiE4typeELi0EEEvT0_S7_T1_lS7_l.uses_flat_scratch, 0
	.set _ZN9rocsolver6v33100L13conj_in_placeIdiPdTnNSt9enable_ifIXnt18rocblas_is_complexIT_EEiE4typeELi0EEEvT0_S7_T1_lS7_l.has_dyn_sized_stack, 0
	.set _ZN9rocsolver6v33100L13conj_in_placeIdiPdTnNSt9enable_ifIXnt18rocblas_is_complexIT_EEiE4typeELi0EEEvT0_S7_T1_lS7_l.has_recursion, 0
	.set _ZN9rocsolver6v33100L13conj_in_placeIdiPdTnNSt9enable_ifIXnt18rocblas_is_complexIT_EEiE4typeELi0EEEvT0_S7_T1_lS7_l.has_indirect_call, 0
	.section	.AMDGPU.csdata,"",@progbits
; Kernel info:
; codeLenInByte = 4
; TotalNumSgprs: 0
; NumVgprs: 0
; ScratchSize: 0
; MemoryBound: 0
; FloatMode: 240
; IeeeMode: 1
; LDSByteSize: 0 bytes/workgroup (compile time only)
; SGPRBlocks: 0
; VGPRBlocks: 0
; NumSGPRsForWavesPerEU: 1
; NumVGPRsForWavesPerEU: 1
; NamedBarCnt: 0
; Occupancy: 16
; WaveLimiterHint : 0
; COMPUTE_PGM_RSRC2:SCRATCH_EN: 0
; COMPUTE_PGM_RSRC2:USER_SGPR: 2
; COMPUTE_PGM_RSRC2:TRAP_HANDLER: 0
; COMPUTE_PGM_RSRC2:TGID_X_EN: 1
; COMPUTE_PGM_RSRC2:TGID_Y_EN: 0
; COMPUTE_PGM_RSRC2:TGID_Z_EN: 0
; COMPUTE_PGM_RSRC2:TIDIG_COMP_CNT: 0
	.section	.text._ZN9rocsolver6v33100L16larf_left_kernelILi1024EdiPdEEvT1_S3_T2_lS3_lPKT0_lS4_lS3_l,"axG",@progbits,_ZN9rocsolver6v33100L16larf_left_kernelILi1024EdiPdEEvT1_S3_T2_lS3_lPKT0_lS4_lS3_l,comdat
	.globl	_ZN9rocsolver6v33100L16larf_left_kernelILi1024EdiPdEEvT1_S3_T2_lS3_lPKT0_lS4_lS3_l ; -- Begin function _ZN9rocsolver6v33100L16larf_left_kernelILi1024EdiPdEEvT1_S3_T2_lS3_lPKT0_lS4_lS3_l
	.p2align	8
	.type	_ZN9rocsolver6v33100L16larf_left_kernelILi1024EdiPdEEvT1_S3_T2_lS3_lPKT0_lS4_lS3_l,@function
_ZN9rocsolver6v33100L16larf_left_kernelILi1024EdiPdEEvT1_S3_T2_lS3_lPKT0_lS4_lS3_l: ; @_ZN9rocsolver6v33100L16larf_left_kernelILi1024EdiPdEEvT1_S3_T2_lS3_lPKT0_lS4_lS3_l
; %bb.0:
	s_clause 0x3
	s_load_b96 s[12:14], s[0:1], 0x40
	s_load_b64 s[16:17], s[0:1], 0x50
	s_load_b32 s18, s[0:1], 0x0
	s_load_b256 s[4:11], s[0:1], 0x20
	s_bfe_u32 s2, ttmp6, 0x40010
	s_bfe_u32 s20, ttmp6, 0x40014
	s_and_b32 s15, ttmp7, 0xffff
	s_lshr_b32 s22, ttmp7, 16
	s_add_co_i32 s2, s2, 1
	s_add_co_i32 s20, s20, 1
	s_bfe_u32 s19, ttmp6, 0x40004
	s_bfe_u32 s21, ttmp6, 0x40008
	s_mul_i32 s2, s15, s2
	s_mul_i32 s20, s22, s20
	s_getreg_b32 s23, hwreg(HW_REG_IB_STS2, 6, 4)
	v_mov_b64_e32 v[4:5], 0
	s_add_co_i32 s19, s19, s2
	s_add_co_i32 s2, s21, s20
	s_mov_b32 s3, 0
	v_lshlrev_b32_e32 v2, 3, v0
	s_wait_kmcnt 0x0
	s_ashr_i32 s21, s14, 31
	s_cmp_eq_u32 s23, 0
	v_cmp_gt_i32_e32 vcc_lo, s18, v0
	s_mov_b32 s20, s14
	s_cselect_b32 s2, s22, s2
	s_cselect_b32 s22, s15, s19
	s_mov_b32 s23, s3
	s_mul_u64 s[14:15], s[16:17], s[2:3]
	s_mul_u64 s[16:17], s[22:23], s[20:21]
	s_and_saveexec_b32 s19, vcc_lo
	s_cbranch_execz .LBB67_6
; %bb.1:
	s_clause 0x1
	s_load_b32 s24, s[0:1], 0x18
	s_load_b128 s[20:23], s[0:1], 0x8
	v_dual_mov_b32 v1, 0 :: v_dual_mov_b32 v6, v0
	s_wait_xcnt 0x0
	s_sub_co_i32 s1, 1, s18
	s_mul_u64 s[4:5], s[4:5], s[2:3]
	s_wait_kmcnt 0x0
	s_ashr_i32 s25, s24, 31
	s_mul_i32 s1, s24, s1
	v_mul_u64_e32 v[4:5], s[24:25], v[0:1]
	v_cmp_lt_i64_e64 s0, s[24:25], 1
	v_add3_u32 v1, v2, 0, 0x100
	s_delay_alu instid0(VALU_DEP_1)
	v_mov_b32_e32 v3, v1
	s_and_b32 s0, s0, exec_lo
	s_cselect_b32 s0, s1, 0
	s_lshl_b64 s[22:23], s[22:23], 3
	s_ashr_i32 s1, s0, 31
	s_lshl_b64 s[4:5], s[4:5], 3
	s_lshl_b64 s[0:1], s[0:1], 3
	s_delay_alu instid0(SALU_CYCLE_1) | instskip(NEXT) | instid1(SALU_CYCLE_1)
	s_add_nc_u64 s[0:1], s[20:21], s[0:1]
	s_add_nc_u64 s[0:1], s[0:1], s[22:23]
	s_delay_alu instid0(SALU_CYCLE_1)
	s_add_nc_u64 s[0:1], s[0:1], s[4:5]
	s_lshl_b64 s[4:5], s[24:25], 13
	v_lshl_add_u64 v[4:5], v[4:5], 3, s[0:1]
	s_mov_b32 s1, s3
.LBB67_2:                               ; =>This Inner Loop Header: Depth=1
	global_load_b64 v[8:9], v[4:5], off
	v_add_nc_u32_e32 v6, 0x400, v6
	s_wait_xcnt 0x0
	v_add_nc_u64_e32 v[4:5], s[4:5], v[4:5]
	s_delay_alu instid0(VALU_DEP_2)
	v_cmp_le_i32_e64 s0, s18, v6
	s_or_b32 s1, s0, s1
	s_wait_loadcnt 0x0
	ds_store_b64 v3, v[8:9]
	v_add_nc_u32_e32 v3, 0x2000, v3
	s_and_not1_b32 exec_lo, exec_lo, s1
	s_cbranch_execnz .LBB67_2
; %bb.3:
	s_or_b32 exec_lo, exec_lo, s1
	s_lshl_b64 s[0:1], s[14:15], 3
	s_lshl_b64 s[4:5], s[16:17], 3
	v_dual_mov_b32 v5, 0 :: v_dual_lshlrev_b32 v4, 3, v0
	s_add_nc_u64 s[0:1], s[0:1], s[4:5]
	s_lshl_b64 s[4:5], s[12:13], 3
	v_mov_b32_e32 v3, v0
	s_add_nc_u64 s[0:1], s[0:1], s[4:5]
	s_delay_alu instid0(SALU_CYCLE_1) | instskip(NEXT) | instid1(SALU_CYCLE_1)
	s_add_nc_u64 s[0:1], s[10:11], s[0:1]
	v_add_nc_u64_e32 v[6:7], s[0:1], v[4:5]
	v_mov_b64_e32 v[4:5], 0
	s_mov_b32 s1, 0
.LBB67_4:                               ; =>This Inner Loop Header: Depth=1
	global_load_b64 v[8:9], v[6:7], off
	ds_load_b64 v[10:11], v1
	v_add_nc_u32_e32 v3, 0x400, v3
	s_wait_xcnt 0x0
	v_add_nc_u64_e32 v[6:7], 0x2000, v[6:7]
	v_add_nc_u32_e32 v1, 0x2000, v1
	s_delay_alu instid0(VALU_DEP_3)
	v_cmp_le_i32_e64 s0, s18, v3
	s_or_b32 s1, s0, s1
	s_wait_loadcnt_dscnt 0x0
	v_fmac_f64_e32 v[4:5], v[8:9], v[10:11]
	s_and_not1_b32 exec_lo, exec_lo, s1
	s_cbranch_execnz .LBB67_4
; %bb.5:
	s_or_b32 exec_lo, exec_lo, s1
.LBB67_6:
	s_delay_alu instid0(SALU_CYCLE_1) | instskip(SKIP_2) | instid1(VALU_DEP_1)
	s_or_b32 exec_lo, exec_lo, s19
	v_mbcnt_lo_u32_b32 v1, -1, 0
	s_mov_b32 s1, exec_lo
	v_cmp_ne_u32_e64 s0, 31, v1
	s_delay_alu instid0(VALU_DEP_1) | instskip(SKIP_1) | instid1(VALU_DEP_2)
	v_add_co_ci_u32_e64 v3, null, 0, v1, s0
	v_cmp_gt_u32_e64 s0, 30, v1
	v_lshlrev_b32_e32 v3, 2, v3
	ds_bpermute_b32 v6, v3, v4
	ds_bpermute_b32 v7, v3, v5
	v_cndmask_b32_e64 v3, 0, 2, s0
	v_cmp_gt_u32_e64 s0, 28, v1
	s_delay_alu instid0(VALU_DEP_2)
	v_add_lshl_u32 v3, v3, v1, 2
	s_wait_dscnt 0x0
	v_add_f64_e32 v[4:5], v[4:5], v[6:7]
	ds_bpermute_b32 v6, v3, v4
	ds_bpermute_b32 v7, v3, v5
	v_cndmask_b32_e64 v3, 0, 4, s0
	v_cmp_gt_u32_e64 s0, 24, v1
	s_delay_alu instid0(VALU_DEP_2)
	v_add_lshl_u32 v3, v3, v1, 2
	s_wait_dscnt 0x0
	v_add_f64_e32 v[4:5], v[4:5], v[6:7]
	ds_bpermute_b32 v6, v3, v4
	ds_bpermute_b32 v7, v3, v5
	v_cndmask_b32_e64 v3, 0, 8, s0
	s_delay_alu instid0(VALU_DEP_1)
	v_add_lshl_u32 v3, v3, v1, 2
	v_lshl_or_b32 v1, v1, 2, 64
	s_wait_dscnt 0x0
	v_add_f64_e32 v[4:5], v[4:5], v[6:7]
	ds_bpermute_b32 v6, v3, v4
	ds_bpermute_b32 v7, v3, v5
	s_wait_dscnt 0x0
	v_add_f64_e32 v[4:5], v[4:5], v[6:7]
	ds_bpermute_b32 v6, v1, v4
	ds_bpermute_b32 v7, v1, v5
	s_wait_dscnt 0x0
	v_dual_add_f64 v[4:5], v[4:5], v[6:7] :: v_dual_bitop2_b32 v1, 31, v0 bitop3:0x40
	s_delay_alu instid0(VALU_DEP_1)
	v_cmpx_eq_u32_e32 0, v1
; %bb.7:
	v_lshrrev_b32_e32 v1, 2, v0
	s_delay_alu instid0(VALU_DEP_1)
	v_add_nc_u32_e32 v1, 0, v1
	ds_store_b64 v1, v[4:5]
; %bb.8:
	s_or_b32 exec_lo, exec_lo, s1
	s_delay_alu instid0(SALU_CYCLE_1)
	s_mov_b32 s1, exec_lo
	s_wait_dscnt 0x0
	s_barrier_signal -1
	s_barrier_wait -1
	v_cmpx_eq_u32_e32 0, v0
	s_cbranch_execz .LBB67_10
; %bb.9:
	v_mov_b32_e32 v1, 0
	ds_load_2addr_b64 v[6:9], v1 offset0:1 offset1:2
	ds_load_2addr_b64 v[10:13], v1 offset0:3 offset1:4
	s_wait_dscnt 0x1
	v_add_f64_e32 v[4:5], v[4:5], v[6:7]
	s_delay_alu instid0(VALU_DEP_1) | instskip(SKIP_1) | instid1(VALU_DEP_1)
	v_add_f64_e32 v[4:5], v[4:5], v[8:9]
	s_wait_dscnt 0x0
	v_add_f64_e32 v[4:5], v[4:5], v[10:11]
	s_delay_alu instid0(VALU_DEP_1) | instskip(SKIP_4) | instid1(VALU_DEP_1)
	v_add_f64_e32 v[12:13], v[4:5], v[12:13]
	ds_load_2addr_b64 v[4:7], v1 offset0:5 offset1:6
	ds_load_2addr_b64 v[8:11], v1 offset0:7 offset1:8
	s_wait_dscnt 0x1
	v_add_f64_e32 v[4:5], v[12:13], v[4:5]
	v_add_f64_e32 v[4:5], v[4:5], v[6:7]
	s_wait_dscnt 0x0
	s_delay_alu instid0(VALU_DEP_1) | instskip(NEXT) | instid1(VALU_DEP_1)
	v_add_f64_e32 v[4:5], v[4:5], v[8:9]
	v_add_f64_e32 v[12:13], v[4:5], v[10:11]
	ds_load_2addr_b64 v[4:7], v1 offset0:9 offset1:10
	ds_load_2addr_b64 v[8:11], v1 offset0:11 offset1:12
	s_wait_dscnt 0x1
	v_add_f64_e32 v[4:5], v[12:13], v[4:5]
	s_delay_alu instid0(VALU_DEP_1) | instskip(SKIP_1) | instid1(VALU_DEP_1)
	v_add_f64_e32 v[4:5], v[4:5], v[6:7]
	s_wait_dscnt 0x0
	v_add_f64_e32 v[4:5], v[4:5], v[8:9]
	s_delay_alu instid0(VALU_DEP_1) | instskip(SKIP_4) | instid1(VALU_DEP_1)
	v_add_f64_e32 v[12:13], v[4:5], v[10:11]
	ds_load_2addr_b64 v[4:7], v1 offset0:13 offset1:14
	ds_load_2addr_b64 v[8:11], v1 offset0:15 offset1:16
	s_wait_dscnt 0x1
	v_add_f64_e32 v[4:5], v[12:13], v[4:5]
	v_add_f64_e32 v[4:5], v[4:5], v[6:7]
	s_wait_dscnt 0x0
	s_delay_alu instid0(VALU_DEP_1) | instskip(NEXT) | instid1(VALU_DEP_1)
	v_add_f64_e32 v[4:5], v[4:5], v[8:9]
	v_add_f64_e32 v[12:13], v[4:5], v[10:11]
	;; [unrolled: 19-line block ×3, first 2 shown]
	ds_load_2addr_b64 v[4:7], v1 offset0:25 offset1:26
	ds_load_2addr_b64 v[8:11], v1 offset0:27 offset1:28
	s_wait_dscnt 0x1
	v_add_f64_e32 v[4:5], v[12:13], v[4:5]
	s_delay_alu instid0(VALU_DEP_1) | instskip(SKIP_1) | instid1(VALU_DEP_1)
	v_add_f64_e32 v[4:5], v[4:5], v[6:7]
	s_wait_dscnt 0x0
	v_add_f64_e32 v[4:5], v[4:5], v[8:9]
	s_delay_alu instid0(VALU_DEP_1) | instskip(SKIP_4) | instid1(VALU_DEP_1)
	v_add_f64_e32 v[8:9], v[4:5], v[10:11]
	ds_load_2addr_b64 v[4:7], v1 offset0:29 offset1:30
	ds_load_b64 v[10:11], v1 offset:248
	s_wait_dscnt 0x1
	v_add_f64_e32 v[4:5], v[8:9], v[4:5]
	v_add_f64_e32 v[4:5], v[4:5], v[6:7]
	s_wait_dscnt 0x0
	s_delay_alu instid0(VALU_DEP_1)
	v_add_f64_e32 v[4:5], v[4:5], v[10:11]
	ds_store_b64 v1, v[4:5]
.LBB67_10:
	s_or_b32 exec_lo, exec_lo, s1
	s_wait_dscnt 0x0
	s_barrier_signal -1
	s_barrier_wait -1
	s_and_saveexec_b32 s0, vcc_lo
	s_cbranch_execz .LBB67_13
; %bb.11:
	s_mul_u64 s[0:1], s[8:9], s[2:3]
	v_mov_b32_e32 v3, 0
	s_lshl_b64 s[0:1], s[0:1], 3
	s_lshl_b64 s[2:3], s[16:17], 3
	s_add_nc_u64 s[0:1], s[6:7], s[0:1]
	v_add3_u32 v1, v2, 0, 0x100
	s_load_b64 s[0:1], s[0:1], 0x0
	ds_load_b64 v[4:5], v3
	s_wait_dscnt 0x0
	s_wait_kmcnt 0x0
	v_mul_f64_e64 v[4:5], v[4:5], -s[0:1]
	s_lshl_b64 s[0:1], s[14:15], 3
	s_delay_alu instid0(SALU_CYCLE_1) | instskip(SKIP_1) | instid1(SALU_CYCLE_1)
	s_add_nc_u64 s[0:1], s[0:1], s[2:3]
	s_lshl_b64 s[2:3], s[12:13], 3
	s_add_nc_u64 s[0:1], s[0:1], s[2:3]
	s_delay_alu instid0(SALU_CYCLE_1) | instskip(NEXT) | instid1(SALU_CYCLE_1)
	s_add_nc_u64 s[0:1], s[10:11], s[0:1]
	v_add_nc_u64_e32 v[6:7], s[0:1], v[2:3]
	s_mov_b32 s0, 0
.LBB67_12:                              ; =>This Inner Loop Header: Depth=1
	global_load_b64 v[2:3], v[6:7], off
	ds_load_b64 v[8:9], v1
	v_add_nc_u32_e32 v0, 0x400, v0
	v_add_nc_u32_e32 v1, 0x2000, v1
	s_delay_alu instid0(VALU_DEP_2)
	v_cmp_le_i32_e32 vcc_lo, s18, v0
	s_or_b32 s0, vcc_lo, s0
	s_wait_loadcnt_dscnt 0x0
	v_fmac_f64_e32 v[2:3], v[4:5], v[8:9]
	global_store_b64 v[6:7], v[2:3], off
	s_wait_xcnt 0x0
	v_add_nc_u64_e32 v[6:7], 0x2000, v[6:7]
	s_and_not1_b32 exec_lo, exec_lo, s0
	s_cbranch_execnz .LBB67_12
.LBB67_13:
	s_endpgm
	.section	.rodata,"a",@progbits
	.p2align	6, 0x0
	.amdhsa_kernel _ZN9rocsolver6v33100L16larf_left_kernelILi1024EdiPdEEvT1_S3_T2_lS3_lPKT0_lS4_lS3_l
		.amdhsa_group_segment_fixed_size 0
		.amdhsa_private_segment_fixed_size 0
		.amdhsa_kernarg_size 88
		.amdhsa_user_sgpr_count 2
		.amdhsa_user_sgpr_dispatch_ptr 0
		.amdhsa_user_sgpr_queue_ptr 0
		.amdhsa_user_sgpr_kernarg_segment_ptr 1
		.amdhsa_user_sgpr_dispatch_id 0
		.amdhsa_user_sgpr_kernarg_preload_length 0
		.amdhsa_user_sgpr_kernarg_preload_offset 0
		.amdhsa_user_sgpr_private_segment_size 0
		.amdhsa_wavefront_size32 1
		.amdhsa_uses_dynamic_stack 0
		.amdhsa_enable_private_segment 0
		.amdhsa_system_sgpr_workgroup_id_x 1
		.amdhsa_system_sgpr_workgroup_id_y 1
		.amdhsa_system_sgpr_workgroup_id_z 1
		.amdhsa_system_sgpr_workgroup_info 0
		.amdhsa_system_vgpr_workitem_id 0
		.amdhsa_next_free_vgpr 14
		.amdhsa_next_free_sgpr 26
		.amdhsa_named_barrier_count 0
		.amdhsa_reserve_vcc 1
		.amdhsa_float_round_mode_32 0
		.amdhsa_float_round_mode_16_64 0
		.amdhsa_float_denorm_mode_32 3
		.amdhsa_float_denorm_mode_16_64 3
		.amdhsa_fp16_overflow 0
		.amdhsa_memory_ordered 1
		.amdhsa_forward_progress 1
		.amdhsa_inst_pref_size 12
		.amdhsa_round_robin_scheduling 0
		.amdhsa_exception_fp_ieee_invalid_op 0
		.amdhsa_exception_fp_denorm_src 0
		.amdhsa_exception_fp_ieee_div_zero 0
		.amdhsa_exception_fp_ieee_overflow 0
		.amdhsa_exception_fp_ieee_underflow 0
		.amdhsa_exception_fp_ieee_inexact 0
		.amdhsa_exception_int_div_zero 0
	.end_amdhsa_kernel
	.section	.text._ZN9rocsolver6v33100L16larf_left_kernelILi1024EdiPdEEvT1_S3_T2_lS3_lPKT0_lS4_lS3_l,"axG",@progbits,_ZN9rocsolver6v33100L16larf_left_kernelILi1024EdiPdEEvT1_S3_T2_lS3_lPKT0_lS4_lS3_l,comdat
.Lfunc_end67:
	.size	_ZN9rocsolver6v33100L16larf_left_kernelILi1024EdiPdEEvT1_S3_T2_lS3_lPKT0_lS4_lS3_l, .Lfunc_end67-_ZN9rocsolver6v33100L16larf_left_kernelILi1024EdiPdEEvT1_S3_T2_lS3_lPKT0_lS4_lS3_l
                                        ; -- End function
	.set _ZN9rocsolver6v33100L16larf_left_kernelILi1024EdiPdEEvT1_S3_T2_lS3_lPKT0_lS4_lS3_l.num_vgpr, 14
	.set _ZN9rocsolver6v33100L16larf_left_kernelILi1024EdiPdEEvT1_S3_T2_lS3_lPKT0_lS4_lS3_l.num_agpr, 0
	.set _ZN9rocsolver6v33100L16larf_left_kernelILi1024EdiPdEEvT1_S3_T2_lS3_lPKT0_lS4_lS3_l.numbered_sgpr, 26
	.set _ZN9rocsolver6v33100L16larf_left_kernelILi1024EdiPdEEvT1_S3_T2_lS3_lPKT0_lS4_lS3_l.num_named_barrier, 0
	.set _ZN9rocsolver6v33100L16larf_left_kernelILi1024EdiPdEEvT1_S3_T2_lS3_lPKT0_lS4_lS3_l.private_seg_size, 0
	.set _ZN9rocsolver6v33100L16larf_left_kernelILi1024EdiPdEEvT1_S3_T2_lS3_lPKT0_lS4_lS3_l.uses_vcc, 1
	.set _ZN9rocsolver6v33100L16larf_left_kernelILi1024EdiPdEEvT1_S3_T2_lS3_lPKT0_lS4_lS3_l.uses_flat_scratch, 0
	.set _ZN9rocsolver6v33100L16larf_left_kernelILi1024EdiPdEEvT1_S3_T2_lS3_lPKT0_lS4_lS3_l.has_dyn_sized_stack, 0
	.set _ZN9rocsolver6v33100L16larf_left_kernelILi1024EdiPdEEvT1_S3_T2_lS3_lPKT0_lS4_lS3_l.has_recursion, 0
	.set _ZN9rocsolver6v33100L16larf_left_kernelILi1024EdiPdEEvT1_S3_T2_lS3_lPKT0_lS4_lS3_l.has_indirect_call, 0
	.section	.AMDGPU.csdata,"",@progbits
; Kernel info:
; codeLenInByte = 1440
; TotalNumSgprs: 28
; NumVgprs: 14
; ScratchSize: 0
; MemoryBound: 0
; FloatMode: 240
; IeeeMode: 1
; LDSByteSize: 0 bytes/workgroup (compile time only)
; SGPRBlocks: 0
; VGPRBlocks: 0
; NumSGPRsForWavesPerEU: 28
; NumVGPRsForWavesPerEU: 14
; NamedBarCnt: 0
; Occupancy: 16
; WaveLimiterHint : 0
; COMPUTE_PGM_RSRC2:SCRATCH_EN: 0
; COMPUTE_PGM_RSRC2:USER_SGPR: 2
; COMPUTE_PGM_RSRC2:TRAP_HANDLER: 0
; COMPUTE_PGM_RSRC2:TGID_X_EN: 1
; COMPUTE_PGM_RSRC2:TGID_Y_EN: 1
; COMPUTE_PGM_RSRC2:TGID_Z_EN: 1
; COMPUTE_PGM_RSRC2:TIDIG_COMP_CNT: 0
	.section	.text._ZN9rocsolver6v33100L17larf_right_kernelILi1024EdiPdEEvT1_S3_T2_lS3_lPKT0_lS4_lS3_l,"axG",@progbits,_ZN9rocsolver6v33100L17larf_right_kernelILi1024EdiPdEEvT1_S3_T2_lS3_lPKT0_lS4_lS3_l,comdat
	.globl	_ZN9rocsolver6v33100L17larf_right_kernelILi1024EdiPdEEvT1_S3_T2_lS3_lPKT0_lS4_lS3_l ; -- Begin function _ZN9rocsolver6v33100L17larf_right_kernelILi1024EdiPdEEvT1_S3_T2_lS3_lPKT0_lS4_lS3_l
	.p2align	8
	.type	_ZN9rocsolver6v33100L17larf_right_kernelILi1024EdiPdEEvT1_S3_T2_lS3_lPKT0_lS4_lS3_l,@function
_ZN9rocsolver6v33100L17larf_right_kernelILi1024EdiPdEEvT1_S3_T2_lS3_lPKT0_lS4_lS3_l: ; @_ZN9rocsolver6v33100L17larf_right_kernelILi1024EdiPdEEvT1_S3_T2_lS3_lPKT0_lS4_lS3_l
; %bb.0:
	s_clause 0x3
	s_load_b32 s15, s[0:1], 0x4
	s_load_b96 s[12:14], s[0:1], 0x40
	s_load_b64 s[16:17], s[0:1], 0x50
	s_load_b256 s[4:11], s[0:1], 0x20
	s_bfe_u32 s2, ttmp6, 0x40010
	s_bfe_u32 s21, ttmp6, 0x40014
	s_and_b32 s18, ttmp7, 0xffff
	s_lshr_b32 s20, ttmp7, 16
	s_add_co_i32 s2, s2, 1
	s_add_co_i32 s21, s21, 1
	s_bfe_u32 s19, ttmp6, 0x40004
	s_bfe_u32 s22, ttmp6, 0x40008
	s_mul_i32 s2, s18, s2
	s_mul_i32 s21, s20, s21
	s_getreg_b32 s23, hwreg(HW_REG_IB_STS2, 6, 4)
	v_mov_b64_e32 v[2:3], 0
	s_add_co_i32 s19, s19, s2
	s_add_co_i32 s22, s22, s21
	s_cmp_eq_u32 s23, 0
	v_lshlrev_b32_e32 v6, 3, v0
	s_mov_b32 s3, 0
	s_wait_kmcnt 0x0
	v_cmp_gt_i32_e32 vcc_lo, s15, v0
	s_cselect_b32 s2, s20, s22
	s_cselect_b32 s18, s18, s19
	s_mul_u64 s[16:17], s[16:17], s[2:3]
	s_and_saveexec_b32 s19, vcc_lo
	s_cbranch_execz .LBB68_6
; %bb.1:
	s_clause 0x1
	s_load_b32 s24, s[0:1], 0x18
	s_load_b128 s[20:23], s[0:1], 0x8
	v_add3_u32 v7, v6, 0, 0x100
	v_mov_b32_e32 v1, 0
	s_wait_xcnt 0x0
	s_sub_co_i32 s1, 1, s15
	s_mul_u64 s[4:5], s[4:5], s[2:3]
	v_dual_mov_b32 v5, v0 :: v_dual_mov_b32 v4, v7
	s_wait_kmcnt 0x0
	s_ashr_i32 s25, s24, 31
	s_mul_i32 s1, s24, s1
	v_mul_u64_e32 v[2:3], s[24:25], v[0:1]
	v_cmp_lt_i64_e64 s0, s[24:25], 1
	s_and_b32 s0, s0, exec_lo
	s_cselect_b32 s0, s1, 0
	s_lshl_b64 s[22:23], s[22:23], 3
	s_ashr_i32 s1, s0, 31
	s_lshl_b64 s[4:5], s[4:5], 3
	s_lshl_b64 s[0:1], s[0:1], 3
	s_delay_alu instid0(SALU_CYCLE_1) | instskip(NEXT) | instid1(SALU_CYCLE_1)
	s_add_nc_u64 s[0:1], s[20:21], s[0:1]
	s_add_nc_u64 s[0:1], s[0:1], s[22:23]
	s_delay_alu instid0(SALU_CYCLE_1)
	s_add_nc_u64 s[0:1], s[0:1], s[4:5]
	s_lshl_b64 s[4:5], s[24:25], 13
	v_lshl_add_u64 v[2:3], v[2:3], 3, s[0:1]
	s_mov_b32 s1, s3
.LBB68_2:                               ; =>This Inner Loop Header: Depth=1
	global_load_b64 v[8:9], v[2:3], off
	v_add_nc_u32_e32 v5, 0x400, v5
	s_wait_xcnt 0x0
	v_add_nc_u64_e32 v[2:3], s[4:5], v[2:3]
	s_delay_alu instid0(VALU_DEP_2)
	v_cmp_le_i32_e64 s0, s15, v5
	s_or_b32 s1, s0, s1
	s_wait_loadcnt 0x0
	ds_store_b64 v4, v[8:9]
	v_add_nc_u32_e32 v4, 0x2000, v4
	s_and_not1_b32 exec_lo, exec_lo, s1
	s_cbranch_execnz .LBB68_2
; %bb.3:
	s_or_b32 exec_lo, exec_lo, s1
	s_ashr_i32 s5, s14, 31
	s_mov_b32 s4, s14
	s_lshl_b32 s0, s18, 3
	v_mul_u64_e32 v[4:5], s[4:5], v[0:1]
	s_mov_b32 s1, 0
	s_lshl_b64 s[20:21], s[12:13], 3
	s_add_nc_u64 s[22:23], s[10:11], s[0:1]
	s_lshl_b64 s[24:25], s[16:17], 3
	s_add_nc_u64 s[20:21], s[22:23], s[20:21]
	v_mov_b64_e32 v[2:3], 0
	s_add_nc_u64 s[20:21], s[20:21], s[24:25]
	v_mov_b32_e32 v1, v0
	s_lshl_b64 s[4:5], s[4:5], 13
	s_delay_alu instid0(VALU_DEP_3)
	v_lshl_add_u64 v[4:5], v[4:5], 3, s[20:21]
.LBB68_4:                               ; =>This Inner Loop Header: Depth=1
	global_load_b64 v[8:9], v[4:5], off
	ds_load_b64 v[10:11], v7
	v_add_nc_u32_e32 v1, 0x400, v1
	s_wait_xcnt 0x0
	v_add_nc_u64_e32 v[4:5], s[4:5], v[4:5]
	v_add_nc_u32_e32 v7, 0x2000, v7
	s_delay_alu instid0(VALU_DEP_3)
	v_cmp_le_i32_e64 s0, s15, v1
	s_or_b32 s1, s0, s1
	s_wait_loadcnt_dscnt 0x0
	v_fmac_f64_e32 v[2:3], v[8:9], v[10:11]
	s_and_not1_b32 exec_lo, exec_lo, s1
	s_cbranch_execnz .LBB68_4
; %bb.5:
	s_or_b32 exec_lo, exec_lo, s1
.LBB68_6:
	s_delay_alu instid0(SALU_CYCLE_1) | instskip(SKIP_2) | instid1(VALU_DEP_1)
	s_or_b32 exec_lo, exec_lo, s19
	v_mbcnt_lo_u32_b32 v1, -1, 0
	s_mov_b32 s1, exec_lo
	v_cmp_ne_u32_e64 s0, 31, v1
	s_delay_alu instid0(VALU_DEP_1) | instskip(SKIP_1) | instid1(VALU_DEP_2)
	v_add_co_ci_u32_e64 v4, null, 0, v1, s0
	v_cmp_gt_u32_e64 s0, 30, v1
	v_lshlrev_b32_e32 v5, 2, v4
	ds_bpermute_b32 v4, v5, v2
	ds_bpermute_b32 v5, v5, v3
	s_wait_dscnt 0x0
	v_add_f64_e32 v[2:3], v[2:3], v[4:5]
	v_cndmask_b32_e64 v4, 0, 2, s0
	v_cmp_gt_u32_e64 s0, 28, v1
	s_delay_alu instid0(VALU_DEP_2)
	v_add_lshl_u32 v5, v4, v1, 2
	ds_bpermute_b32 v4, v5, v2
	ds_bpermute_b32 v5, v5, v3
	s_wait_dscnt 0x0
	v_add_f64_e32 v[2:3], v[2:3], v[4:5]
	v_cndmask_b32_e64 v4, 0, 4, s0
	v_cmp_gt_u32_e64 s0, 24, v1
	s_delay_alu instid0(VALU_DEP_2)
	v_add_lshl_u32 v5, v4, v1, 2
	ds_bpermute_b32 v4, v5, v2
	ds_bpermute_b32 v5, v5, v3
	s_wait_dscnt 0x0
	v_add_f64_e32 v[2:3], v[2:3], v[4:5]
	v_cndmask_b32_e64 v4, 0, 8, s0
	s_delay_alu instid0(VALU_DEP_1)
	v_add_lshl_u32 v5, v4, v1, 2
	v_lshl_or_b32 v1, v1, 2, 64
	ds_bpermute_b32 v4, v5, v2
	ds_bpermute_b32 v5, v5, v3
	s_wait_dscnt 0x0
	v_add_f64_e32 v[2:3], v[2:3], v[4:5]
	ds_bpermute_b32 v4, v1, v2
	ds_bpermute_b32 v5, v1, v3
	v_and_b32_e32 v1, 31, v0
	s_wait_dscnt 0x0
	v_add_f64_e32 v[2:3], v[2:3], v[4:5]
	s_delay_alu instid0(VALU_DEP_2)
	v_cmpx_eq_u32_e32 0, v1
; %bb.7:
	v_lshrrev_b32_e32 v1, 2, v0
	s_delay_alu instid0(VALU_DEP_1)
	v_add_nc_u32_e32 v1, 0, v1
	ds_store_b64 v1, v[2:3]
; %bb.8:
	s_or_b32 exec_lo, exec_lo, s1
	s_delay_alu instid0(SALU_CYCLE_1)
	s_mov_b32 s1, exec_lo
	s_wait_dscnt 0x0
	s_barrier_signal -1
	s_barrier_wait -1
	v_cmpx_eq_u32_e32 0, v0
	s_cbranch_execz .LBB68_10
; %bb.9:
	v_mov_b32_e32 v1, 0
	ds_load_2addr_b64 v[8:11], v1 offset0:1 offset1:2
	ds_load_2addr_b64 v[12:15], v1 offset0:3 offset1:4
	s_wait_dscnt 0x1
	v_add_f64_e32 v[2:3], v[2:3], v[8:9]
	s_delay_alu instid0(VALU_DEP_1) | instskip(SKIP_1) | instid1(VALU_DEP_1)
	v_add_f64_e32 v[2:3], v[2:3], v[10:11]
	s_wait_dscnt 0x0
	v_add_f64_e32 v[2:3], v[2:3], v[12:13]
	s_delay_alu instid0(VALU_DEP_1) | instskip(SKIP_4) | instid1(VALU_DEP_1)
	v_add_f64_e32 v[12:13], v[2:3], v[14:15]
	ds_load_2addr_b64 v[2:5], v1 offset0:5 offset1:6
	ds_load_2addr_b64 v[8:11], v1 offset0:7 offset1:8
	s_wait_dscnt 0x1
	v_add_f64_e32 v[2:3], v[12:13], v[2:3]
	v_add_f64_e32 v[2:3], v[2:3], v[4:5]
	s_wait_dscnt 0x0
	s_delay_alu instid0(VALU_DEP_1) | instskip(NEXT) | instid1(VALU_DEP_1)
	v_add_f64_e32 v[2:3], v[2:3], v[8:9]
	v_add_f64_e32 v[12:13], v[2:3], v[10:11]
	ds_load_2addr_b64 v[2:5], v1 offset0:9 offset1:10
	ds_load_2addr_b64 v[8:11], v1 offset0:11 offset1:12
	s_wait_dscnt 0x1
	v_add_f64_e32 v[2:3], v[12:13], v[2:3]
	s_delay_alu instid0(VALU_DEP_1) | instskip(SKIP_1) | instid1(VALU_DEP_1)
	v_add_f64_e32 v[2:3], v[2:3], v[4:5]
	s_wait_dscnt 0x0
	v_add_f64_e32 v[2:3], v[2:3], v[8:9]
	s_delay_alu instid0(VALU_DEP_1) | instskip(SKIP_4) | instid1(VALU_DEP_1)
	v_add_f64_e32 v[12:13], v[2:3], v[10:11]
	ds_load_2addr_b64 v[2:5], v1 offset0:13 offset1:14
	ds_load_2addr_b64 v[8:11], v1 offset0:15 offset1:16
	s_wait_dscnt 0x1
	v_add_f64_e32 v[2:3], v[12:13], v[2:3]
	v_add_f64_e32 v[2:3], v[2:3], v[4:5]
	s_wait_dscnt 0x0
	s_delay_alu instid0(VALU_DEP_1) | instskip(NEXT) | instid1(VALU_DEP_1)
	v_add_f64_e32 v[2:3], v[2:3], v[8:9]
	v_add_f64_e32 v[12:13], v[2:3], v[10:11]
	;; [unrolled: 19-line block ×3, first 2 shown]
	ds_load_2addr_b64 v[2:5], v1 offset0:25 offset1:26
	ds_load_2addr_b64 v[8:11], v1 offset0:27 offset1:28
	s_wait_dscnt 0x1
	v_add_f64_e32 v[2:3], v[12:13], v[2:3]
	s_delay_alu instid0(VALU_DEP_1) | instskip(SKIP_1) | instid1(VALU_DEP_1)
	v_add_f64_e32 v[2:3], v[2:3], v[4:5]
	s_wait_dscnt 0x0
	v_add_f64_e32 v[2:3], v[2:3], v[8:9]
	s_delay_alu instid0(VALU_DEP_1) | instskip(SKIP_4) | instid1(VALU_DEP_1)
	v_add_f64_e32 v[8:9], v[2:3], v[10:11]
	ds_load_2addr_b64 v[2:5], v1 offset0:29 offset1:30
	ds_load_b64 v[10:11], v1 offset:248
	s_wait_dscnt 0x1
	v_add_f64_e32 v[2:3], v[8:9], v[2:3]
	v_add_f64_e32 v[2:3], v[2:3], v[4:5]
	s_wait_dscnt 0x0
	s_delay_alu instid0(VALU_DEP_1)
	v_add_f64_e32 v[2:3], v[2:3], v[10:11]
	ds_store_b64 v1, v[2:3]
.LBB68_10:
	s_or_b32 exec_lo, exec_lo, s1
	s_wait_dscnt 0x0
	s_barrier_signal -1
	s_barrier_wait -1
	s_and_saveexec_b32 s0, vcc_lo
	s_cbranch_execz .LBB68_13
; %bb.11:
	s_mul_u64 s[0:1], s[8:9], s[2:3]
	v_mov_b32_e32 v1, 0
	s_lshl_b64 s[0:1], s[0:1], 3
	s_ashr_i32 s3, s14, 31
	s_add_nc_u64 s[0:1], s[6:7], s[0:1]
	s_mov_b32 s2, s14
	s_load_b64 s[0:1], s[0:1], 0x0
	ds_load_b64 v[2:3], v1
	v_mul_u64_e32 v[4:5], s[2:3], v[0:1]
	s_lshl_b64 s[4:5], s[12:13], 3
	s_lshl_b64 s[8:9], s[16:17], 3
	v_add3_u32 v1, v6, 0, 0x100
	s_lshl_b64 s[2:3], s[2:3], 13
	s_wait_dscnt 0x0
	s_wait_kmcnt 0x0
	v_mul_f64_e64 v[2:3], v[2:3], -s[0:1]
	s_mov_b32 s1, 0
	s_lshl_b32 s0, s18, 3
	s_delay_alu instid0(SALU_CYCLE_1) | instskip(NEXT) | instid1(SALU_CYCLE_1)
	s_add_nc_u64 s[6:7], s[10:11], s[0:1]
	s_add_nc_u64 s[4:5], s[6:7], s[4:5]
	s_delay_alu instid0(SALU_CYCLE_1)
	s_add_nc_u64 s[4:5], s[4:5], s[8:9]
	s_delay_alu instid0(VALU_DEP_3) | instid1(SALU_CYCLE_1)
	v_lshl_add_u64 v[4:5], v[4:5], 3, s[4:5]
.LBB68_12:                              ; =>This Inner Loop Header: Depth=1
	global_load_b64 v[6:7], v[4:5], off
	ds_load_b64 v[8:9], v1
	v_add_nc_u32_e32 v0, 0x400, v0
	v_add_nc_u32_e32 v1, 0x2000, v1
	s_delay_alu instid0(VALU_DEP_2)
	v_cmp_le_i32_e32 vcc_lo, s15, v0
	s_or_b32 s1, vcc_lo, s1
	s_wait_loadcnt_dscnt 0x0
	v_fmac_f64_e32 v[6:7], v[2:3], v[8:9]
	global_store_b64 v[4:5], v[6:7], off
	s_wait_xcnt 0x0
	v_add_nc_u64_e32 v[4:5], s[2:3], v[4:5]
	s_and_not1_b32 exec_lo, exec_lo, s1
	s_cbranch_execnz .LBB68_12
.LBB68_13:
	s_endpgm
	.section	.rodata,"a",@progbits
	.p2align	6, 0x0
	.amdhsa_kernel _ZN9rocsolver6v33100L17larf_right_kernelILi1024EdiPdEEvT1_S3_T2_lS3_lPKT0_lS4_lS3_l
		.amdhsa_group_segment_fixed_size 0
		.amdhsa_private_segment_fixed_size 0
		.amdhsa_kernarg_size 88
		.amdhsa_user_sgpr_count 2
		.amdhsa_user_sgpr_dispatch_ptr 0
		.amdhsa_user_sgpr_queue_ptr 0
		.amdhsa_user_sgpr_kernarg_segment_ptr 1
		.amdhsa_user_sgpr_dispatch_id 0
		.amdhsa_user_sgpr_kernarg_preload_length 0
		.amdhsa_user_sgpr_kernarg_preload_offset 0
		.amdhsa_user_sgpr_private_segment_size 0
		.amdhsa_wavefront_size32 1
		.amdhsa_uses_dynamic_stack 0
		.amdhsa_enable_private_segment 0
		.amdhsa_system_sgpr_workgroup_id_x 1
		.amdhsa_system_sgpr_workgroup_id_y 1
		.amdhsa_system_sgpr_workgroup_id_z 1
		.amdhsa_system_sgpr_workgroup_info 0
		.amdhsa_system_vgpr_workitem_id 0
		.amdhsa_next_free_vgpr 16
		.amdhsa_next_free_sgpr 26
		.amdhsa_named_barrier_count 0
		.amdhsa_reserve_vcc 1
		.amdhsa_float_round_mode_32 0
		.amdhsa_float_round_mode_16_64 0
		.amdhsa_float_denorm_mode_32 3
		.amdhsa_float_denorm_mode_16_64 3
		.amdhsa_fp16_overflow 0
		.amdhsa_memory_ordered 1
		.amdhsa_forward_progress 1
		.amdhsa_inst_pref_size 12
		.amdhsa_round_robin_scheduling 0
		.amdhsa_exception_fp_ieee_invalid_op 0
		.amdhsa_exception_fp_denorm_src 0
		.amdhsa_exception_fp_ieee_div_zero 0
		.amdhsa_exception_fp_ieee_overflow 0
		.amdhsa_exception_fp_ieee_underflow 0
		.amdhsa_exception_fp_ieee_inexact 0
		.amdhsa_exception_int_div_zero 0
	.end_amdhsa_kernel
	.section	.text._ZN9rocsolver6v33100L17larf_right_kernelILi1024EdiPdEEvT1_S3_T2_lS3_lPKT0_lS4_lS3_l,"axG",@progbits,_ZN9rocsolver6v33100L17larf_right_kernelILi1024EdiPdEEvT1_S3_T2_lS3_lPKT0_lS4_lS3_l,comdat
.Lfunc_end68:
	.size	_ZN9rocsolver6v33100L17larf_right_kernelILi1024EdiPdEEvT1_S3_T2_lS3_lPKT0_lS4_lS3_l, .Lfunc_end68-_ZN9rocsolver6v33100L17larf_right_kernelILi1024EdiPdEEvT1_S3_T2_lS3_lPKT0_lS4_lS3_l
                                        ; -- End function
	.set _ZN9rocsolver6v33100L17larf_right_kernelILi1024EdiPdEEvT1_S3_T2_lS3_lPKT0_lS4_lS3_l.num_vgpr, 16
	.set _ZN9rocsolver6v33100L17larf_right_kernelILi1024EdiPdEEvT1_S3_T2_lS3_lPKT0_lS4_lS3_l.num_agpr, 0
	.set _ZN9rocsolver6v33100L17larf_right_kernelILi1024EdiPdEEvT1_S3_T2_lS3_lPKT0_lS4_lS3_l.numbered_sgpr, 26
	.set _ZN9rocsolver6v33100L17larf_right_kernelILi1024EdiPdEEvT1_S3_T2_lS3_lPKT0_lS4_lS3_l.num_named_barrier, 0
	.set _ZN9rocsolver6v33100L17larf_right_kernelILi1024EdiPdEEvT1_S3_T2_lS3_lPKT0_lS4_lS3_l.private_seg_size, 0
	.set _ZN9rocsolver6v33100L17larf_right_kernelILi1024EdiPdEEvT1_S3_T2_lS3_lPKT0_lS4_lS3_l.uses_vcc, 1
	.set _ZN9rocsolver6v33100L17larf_right_kernelILi1024EdiPdEEvT1_S3_T2_lS3_lPKT0_lS4_lS3_l.uses_flat_scratch, 0
	.set _ZN9rocsolver6v33100L17larf_right_kernelILi1024EdiPdEEvT1_S3_T2_lS3_lPKT0_lS4_lS3_l.has_dyn_sized_stack, 0
	.set _ZN9rocsolver6v33100L17larf_right_kernelILi1024EdiPdEEvT1_S3_T2_lS3_lPKT0_lS4_lS3_l.has_recursion, 0
	.set _ZN9rocsolver6v33100L17larf_right_kernelILi1024EdiPdEEvT1_S3_T2_lS3_lPKT0_lS4_lS3_l.has_indirect_call, 0
	.section	.AMDGPU.csdata,"",@progbits
; Kernel info:
; codeLenInByte = 1444
; TotalNumSgprs: 28
; NumVgprs: 16
; ScratchSize: 0
; MemoryBound: 0
; FloatMode: 240
; IeeeMode: 1
; LDSByteSize: 0 bytes/workgroup (compile time only)
; SGPRBlocks: 0
; VGPRBlocks: 0
; NumSGPRsForWavesPerEU: 28
; NumVGPRsForWavesPerEU: 16
; NamedBarCnt: 0
; Occupancy: 16
; WaveLimiterHint : 0
; COMPUTE_PGM_RSRC2:SCRATCH_EN: 0
; COMPUTE_PGM_RSRC2:USER_SGPR: 2
; COMPUTE_PGM_RSRC2:TRAP_HANDLER: 0
; COMPUTE_PGM_RSRC2:TGID_X_EN: 1
; COMPUTE_PGM_RSRC2:TGID_Y_EN: 1
; COMPUTE_PGM_RSRC2:TGID_Z_EN: 1
; COMPUTE_PGM_RSRC2:TIDIG_COMP_CNT: 0
	.section	.text._ZN9rocsolver6v33100L12restore_diagIdidPdEEvPT1_llT2_lT0_lS6_,"axG",@progbits,_ZN9rocsolver6v33100L12restore_diagIdidPdEEvPT1_llT2_lT0_lS6_,comdat
	.globl	_ZN9rocsolver6v33100L12restore_diagIdidPdEEvPT1_llT2_lT0_lS6_ ; -- Begin function _ZN9rocsolver6v33100L12restore_diagIdidPdEEvPT1_llT2_lT0_lS6_
	.p2align	8
	.type	_ZN9rocsolver6v33100L12restore_diagIdidPdEEvPT1_llT2_lT0_lS6_,@function
_ZN9rocsolver6v33100L12restore_diagIdidPdEEvPT1_llT2_lT0_lS6_: ; @_ZN9rocsolver6v33100L12restore_diagIdidPdEEvPT1_llT2_lT0_lS6_
; %bb.0:
	s_clause 0x1
	s_load_u16 s3, s[0:1], 0x4e
	s_load_b32 s4, s[0:1], 0x38
	s_bfe_u32 s2, ttmp6, 0x40010
	s_bfe_u32 s5, ttmp6, 0x40004
	s_add_co_i32 s2, s2, 1
	v_bfe_u32 v0, v0, 10, 10
	s_mul_i32 s2, ttmp7, s2
	s_delay_alu instid0(SALU_CYCLE_1) | instskip(SKIP_1) | instid1(SALU_CYCLE_1)
	s_add_co_i32 s5, s5, s2
	s_getreg_b32 s2, hwreg(HW_REG_IB_STS2, 6, 4)
	s_cmp_eq_u32 s2, 0
	s_cselect_b32 s5, ttmp7, s5
	s_wait_kmcnt 0x0
	v_mad_u32 v0, s5, s3, v0
	s_mov_b32 s3, exec_lo
	s_delay_alu instid0(VALU_DEP_1)
	v_cmpx_gt_i32_e64 s4, v0
	s_cbranch_execz .LBB69_2
; %bb.1:
	s_load_b256 s[4:11], s[0:1], 0x0
	s_bfe_u32 s3, ttmp6, 0x4000c
	s_and_b32 s12, ttmp6, 15
	s_add_co_i32 s3, s3, 1
	s_delay_alu instid0(SALU_CYCLE_1) | instskip(NEXT) | instid1(SALU_CYCLE_1)
	s_mul_i32 s3, ttmp9, s3
	s_add_co_i32 s12, s12, s3
	s_cmp_eq_u32 s2, 0
	s_cselect_b32 s2, ttmp9, s12
	s_delay_alu instid0(SALU_CYCLE_1) | instskip(SKIP_4) | instid1(SALU_CYCLE_1)
	s_ashr_i32 s3, s2, 31
	s_wait_kmcnt 0x0
	s_mul_u64 s[8:9], s[8:9], s[2:3]
	s_lshl_b64 s[6:7], s[6:7], 3
	s_lshl_b64 s[8:9], s[8:9], 3
	s_add_nc_u64 s[4:5], s[4:5], s[8:9]
	s_delay_alu instid0(SALU_CYCLE_1)
	s_add_nc_u64 s[4:5], s[4:5], s[6:7]
	global_load_b64 v[2:3], v0, s[4:5] scale_offset
	s_wait_xcnt 0x0
	s_clause 0x1
	s_load_b96 s[4:6], s[0:1], 0x20
	s_load_b64 s[8:9], s[0:1], 0x30
	s_wait_kmcnt 0x0
	v_mad_u32 v0, v0, s6, v0
	s_mul_u64 s[0:1], s[8:9], s[2:3]
	s_lshl_b64 s[2:3], s[4:5], 3
	s_lshl_b64 s[0:1], s[0:1], 3
	s_delay_alu instid0(SALU_CYCLE_1) | instskip(NEXT) | instid1(SALU_CYCLE_1)
	s_add_nc_u64 s[0:1], s[10:11], s[0:1]
	s_add_nc_u64 s[0:1], s[0:1], s[2:3]
	s_wait_loadcnt 0x0
	global_store_b64 v0, v[2:3], s[0:1] scale_offset
.LBB69_2:
	s_endpgm
	.section	.rodata,"a",@progbits
	.p2align	6, 0x0
	.amdhsa_kernel _ZN9rocsolver6v33100L12restore_diagIdidPdEEvPT1_llT2_lT0_lS6_
		.amdhsa_group_segment_fixed_size 0
		.amdhsa_private_segment_fixed_size 0
		.amdhsa_kernarg_size 320
		.amdhsa_user_sgpr_count 2
		.amdhsa_user_sgpr_dispatch_ptr 0
		.amdhsa_user_sgpr_queue_ptr 0
		.amdhsa_user_sgpr_kernarg_segment_ptr 1
		.amdhsa_user_sgpr_dispatch_id 0
		.amdhsa_user_sgpr_kernarg_preload_length 0
		.amdhsa_user_sgpr_kernarg_preload_offset 0
		.amdhsa_user_sgpr_private_segment_size 0
		.amdhsa_wavefront_size32 1
		.amdhsa_uses_dynamic_stack 0
		.amdhsa_enable_private_segment 0
		.amdhsa_system_sgpr_workgroup_id_x 1
		.amdhsa_system_sgpr_workgroup_id_y 1
		.amdhsa_system_sgpr_workgroup_id_z 0
		.amdhsa_system_sgpr_workgroup_info 0
		.amdhsa_system_vgpr_workitem_id 1
		.amdhsa_next_free_vgpr 4
		.amdhsa_next_free_sgpr 13
		.amdhsa_named_barrier_count 0
		.amdhsa_reserve_vcc 0
		.amdhsa_float_round_mode_32 0
		.amdhsa_float_round_mode_16_64 0
		.amdhsa_float_denorm_mode_32 3
		.amdhsa_float_denorm_mode_16_64 3
		.amdhsa_fp16_overflow 0
		.amdhsa_memory_ordered 1
		.amdhsa_forward_progress 1
		.amdhsa_inst_pref_size 3
		.amdhsa_round_robin_scheduling 0
		.amdhsa_exception_fp_ieee_invalid_op 0
		.amdhsa_exception_fp_denorm_src 0
		.amdhsa_exception_fp_ieee_div_zero 0
		.amdhsa_exception_fp_ieee_overflow 0
		.amdhsa_exception_fp_ieee_underflow 0
		.amdhsa_exception_fp_ieee_inexact 0
		.amdhsa_exception_int_div_zero 0
	.end_amdhsa_kernel
	.section	.text._ZN9rocsolver6v33100L12restore_diagIdidPdEEvPT1_llT2_lT0_lS6_,"axG",@progbits,_ZN9rocsolver6v33100L12restore_diagIdidPdEEvPT1_llT2_lT0_lS6_,comdat
.Lfunc_end69:
	.size	_ZN9rocsolver6v33100L12restore_diagIdidPdEEvPT1_llT2_lT0_lS6_, .Lfunc_end69-_ZN9rocsolver6v33100L12restore_diagIdidPdEEvPT1_llT2_lT0_lS6_
                                        ; -- End function
	.set _ZN9rocsolver6v33100L12restore_diagIdidPdEEvPT1_llT2_lT0_lS6_.num_vgpr, 4
	.set _ZN9rocsolver6v33100L12restore_diagIdidPdEEvPT1_llT2_lT0_lS6_.num_agpr, 0
	.set _ZN9rocsolver6v33100L12restore_diagIdidPdEEvPT1_llT2_lT0_lS6_.numbered_sgpr, 13
	.set _ZN9rocsolver6v33100L12restore_diagIdidPdEEvPT1_llT2_lT0_lS6_.num_named_barrier, 0
	.set _ZN9rocsolver6v33100L12restore_diagIdidPdEEvPT1_llT2_lT0_lS6_.private_seg_size, 0
	.set _ZN9rocsolver6v33100L12restore_diagIdidPdEEvPT1_llT2_lT0_lS6_.uses_vcc, 0
	.set _ZN9rocsolver6v33100L12restore_diagIdidPdEEvPT1_llT2_lT0_lS6_.uses_flat_scratch, 0
	.set _ZN9rocsolver6v33100L12restore_diagIdidPdEEvPT1_llT2_lT0_lS6_.has_dyn_sized_stack, 0
	.set _ZN9rocsolver6v33100L12restore_diagIdidPdEEvPT1_llT2_lT0_lS6_.has_recursion, 0
	.set _ZN9rocsolver6v33100L12restore_diagIdidPdEEvPT1_llT2_lT0_lS6_.has_indirect_call, 0
	.section	.AMDGPU.csdata,"",@progbits
; Kernel info:
; codeLenInByte = 276
; TotalNumSgprs: 13
; NumVgprs: 4
; ScratchSize: 0
; MemoryBound: 0
; FloatMode: 240
; IeeeMode: 1
; LDSByteSize: 0 bytes/workgroup (compile time only)
; SGPRBlocks: 0
; VGPRBlocks: 0
; NumSGPRsForWavesPerEU: 13
; NumVGPRsForWavesPerEU: 4
; NamedBarCnt: 0
; Occupancy: 16
; WaveLimiterHint : 0
; COMPUTE_PGM_RSRC2:SCRATCH_EN: 0
; COMPUTE_PGM_RSRC2:USER_SGPR: 2
; COMPUTE_PGM_RSRC2:TRAP_HANDLER: 0
; COMPUTE_PGM_RSRC2:TGID_X_EN: 1
; COMPUTE_PGM_RSRC2:TGID_Y_EN: 1
; COMPUTE_PGM_RSRC2:TGID_Z_EN: 0
; COMPUTE_PGM_RSRC2:TIDIG_COMP_CNT: 1
	.section	.text._ZN9rocsolver6v33100L14set_triangularIdPdTnNSt9enable_ifIXnt18rocblas_is_complexIT_EEiE4typeELi0EEEviiT0_iilPS4_lS8_il15rocblas_direct_15rocblas_storev_b,"axG",@progbits,_ZN9rocsolver6v33100L14set_triangularIdPdTnNSt9enable_ifIXnt18rocblas_is_complexIT_EEiE4typeELi0EEEviiT0_iilPS4_lS8_il15rocblas_direct_15rocblas_storev_b,comdat
	.globl	_ZN9rocsolver6v33100L14set_triangularIdPdTnNSt9enable_ifIXnt18rocblas_is_complexIT_EEiE4typeELi0EEEviiT0_iilPS4_lS8_il15rocblas_direct_15rocblas_storev_b ; -- Begin function _ZN9rocsolver6v33100L14set_triangularIdPdTnNSt9enable_ifIXnt18rocblas_is_complexIT_EEiE4typeELi0EEEviiT0_iilPS4_lS8_il15rocblas_direct_15rocblas_storev_b
	.p2align	8
	.type	_ZN9rocsolver6v33100L14set_triangularIdPdTnNSt9enable_ifIXnt18rocblas_is_complexIT_EEiE4typeELi0EEEviiT0_iilPS4_lS8_il15rocblas_direct_15rocblas_storev_b,@function
_ZN9rocsolver6v33100L14set_triangularIdPdTnNSt9enable_ifIXnt18rocblas_is_complexIT_EEiE4typeELi0EEEviiT0_iilPS4_lS8_il15rocblas_direct_15rocblas_storev_b: ; @_ZN9rocsolver6v33100L14set_triangularIdPdTnNSt9enable_ifIXnt18rocblas_is_complexIT_EEiE4typeELi0EEEviiT0_iilPS4_lS8_il15rocblas_direct_15rocblas_storev_b
; %bb.0:
	s_clause 0x1
	s_load_b32 s2, s[0:1], 0x64
	s_load_b64 s[18:19], s[0:1], 0x0
	s_bfe_u32 s5, ttmp6, 0x40010
	s_bfe_u32 s8, ttmp6, 0x4000c
	s_and_b32 s4, ttmp7, 0xffff
	s_add_co_i32 s5, s5, 1
	s_add_co_i32 s8, s8, 1
	s_bfe_u32 s6, ttmp6, 0x40004
	s_and_b32 s7, ttmp6, 15
	s_mul_i32 s5, s4, s5
	s_mul_i32 s8, ttmp9, s8
	s_getreg_b32 s3, hwreg(HW_REG_IB_STS2, 6, 4)
	v_and_b32_e32 v1, 0x3ff, v0
	v_bfe_u32 v2, v0, 10, 10
	s_add_co_i32 s6, s6, s5
	s_add_co_i32 s7, s7, s8
	s_mov_b32 s21, 0
	s_wait_kmcnt 0x0
	s_lshr_b32 s5, s2, 16
	s_and_b32 s2, s2, 0xffff
	s_cmp_eq_u32 s3, 0
	s_cselect_b32 s7, ttmp9, s7
	s_cselect_b32 s4, s4, s6
	v_mad_u32 v0, s7, s2, v1
	v_mad_u32 v2, s4, s5, v2
	s_mov_b32 s2, exec_lo
	s_delay_alu instid0(VALU_DEP_1) | instskip(NEXT) | instid1(VALU_DEP_1)
	v_max_u32_e32 v1, v0, v2
	v_cmpx_gt_u32_e64 s19, v1
	s_cbranch_execz .LBB70_36
; %bb.1:
	s_clause 0x2
	s_load_b256 s[4:11], s[0:1], 0x18
	s_load_b64 s[12:13], s[0:1], 0x40
	s_load_b32 s2, s[0:1], 0x38
	s_bfe_u32 s14, ttmp6, 0x40014
	s_lshr_b32 s15, ttmp7, 16
	s_add_co_i32 s14, s14, 1
	s_bfe_u32 s16, ttmp6, 0x40008
	s_mul_i32 s14, s15, s14
	s_delay_alu instid0(SALU_CYCLE_1)
	s_add_co_i32 s16, s16, s14
	s_cmp_eq_u32 s3, 0
	s_mov_b32 s3, exec_lo
	s_cselect_b32 s20, s15, s16
	s_wait_kmcnt 0x0
	s_mul_u64 s[8:9], s[8:9], s[20:21]
	s_mul_u64 s[12:13], s[12:13], s[20:21]
	s_lshl_b64 s[8:9], s[8:9], 3
	s_lshl_b64 s[12:13], s[12:13], 3
	s_add_nc_u64 s[16:17], s[6:7], s[8:9]
	s_add_nc_u64 s[6:7], s[10:11], s[12:13]
	v_cmpx_ne_u32_e64 v2, v0
	s_xor_b32 s15, exec_lo, s3
	s_cbranch_execz .LBB70_34
; %bb.2:
	s_clause 0x1
	s_load_b128 s[8:11], s[0:1], 0x8
	s_load_b96 s[12:14], s[0:1], 0x48
	s_wait_xcnt 0x0
	s_mul_u64 s[0:1], s[4:5], s[20:21]
	v_mov_b32_e32 v1, 0
	s_lshl_b64 s[0:1], s[0:1], 3
	s_wait_kmcnt 0x0
	s_ashr_i32 s5, s10, 31
	s_mov_b32 s4, s10
	s_add_nc_u64 s[0:1], s[8:9], s[0:1]
	s_lshl_b64 s[4:5], s[4:5], 3
	s_bitcmp1_b32 s14, 0
	s_add_nc_u64 s[0:1], s[0:1], s[4:5]
	s_cselect_b32 s3, -1, 0
	s_delay_alu instid0(SALU_CYCLE_1)
	s_xor_b32 s4, s3, -1
	s_cmp_lg_u32 s12, 0xab
	s_mov_b32 s3, -1
	s_cbranch_scc0 .LBB70_18
; %bb.3:
	s_mov_b32 s3, exec_lo
	v_cmpx_le_u32_e64 v2, v0
	s_xor_b32 s5, exec_lo, s3
	s_cbranch_execz .LBB70_5
; %bb.4:
	s_ashr_i32 s3, s2, 31
	v_mov_b32_e32 v3, 0
	v_mul_u64_e32 v[4:5], s[2:3], v[0:1]
	v_mov_b64_e32 v[6:7], 0
	s_delay_alu instid0(VALU_DEP_2) | instskip(NEXT) | instid1(VALU_DEP_1)
	v_lshl_add_u64 v[4:5], v[4:5], 3, s[6:7]
	v_lshl_add_u64 v[4:5], v[2:3], 3, v[4:5]
	global_store_b64 v[4:5], v[6:7], off
.LBB70_5:
	s_wait_xcnt 0x0
	s_and_not1_saveexec_b32 s5, s5
	s_cbranch_execz .LBB70_17
; %bb.6:
	v_lshl_add_u64 v[4:5], v[0:1], 3, s[16:17]
	s_cmp_lg_u32 s13, 0xb5
	s_mov_b32 s3, -1
	global_load_b64 v[4:5], v[4:5], off
	s_cbranch_scc0 .LBB70_12
; %bb.7:
	v_mov_b32_e32 v3, 0
	s_and_not1_b32 vcc_lo, exec_lo, s4
	s_delay_alu instid0(VALU_DEP_1)
	v_lshlrev_b64_e32 v[6:7], 3, v[2:3]
	s_cbranch_vccnz .LBB70_9
; %bb.8:
	s_sub_co_i32 s3, s18, s19
	s_ashr_i32 s9, s11, 31
	v_dual_mov_b32 v9, v3 :: v_dual_add_nc_u32 v8, s3, v0
	s_mov_b32 s8, s11
	s_ashr_i32 s3, s2, 31
	s_delay_alu instid0(SALU_CYCLE_1) | instskip(NEXT) | instid1(VALU_DEP_2)
	v_mul_u64_e32 v[10:11], s[2:3], v[0:1]
	v_mul_u64_e32 v[8:9], s[8:9], v[8:9]
	s_mov_b32 s3, 0
	s_delay_alu instid0(VALU_DEP_2) | instskip(NEXT) | instid1(VALU_DEP_2)
	v_lshl_add_u64 v[10:11], v[10:11], 3, s[6:7]
	v_lshl_add_u64 v[8:9], v[8:9], 3, s[0:1]
	s_delay_alu instid0(VALU_DEP_2) | instskip(NEXT) | instid1(VALU_DEP_2)
	v_add_nc_u64_e32 v[10:11], v[10:11], v[6:7]
	v_add_nc_u64_e32 v[8:9], v[8:9], v[6:7]
	global_load_b64 v[8:9], v[8:9], off
	s_wait_loadcnt 0x0
	v_mul_f64_e64 v[8:9], v[8:9], -v[4:5]
	global_store_b64 v[10:11], v[8:9], off
.LBB70_9:
	s_and_not1_b32 vcc_lo, exec_lo, s3
	s_cbranch_vccnz .LBB70_11
; %bb.10:
	s_sub_co_i32 s3, s18, s19
	s_ashr_i32 s9, s11, 31
	s_wait_xcnt 0x0
	v_dual_mov_b32 v9, 0 :: v_dual_add_nc_u32 v8, s3, v0
	s_ashr_i32 s3, s2, 31
	s_mov_b32 s8, s11
	v_mul_u64_e32 v[10:11], s[2:3], v[0:1]
	s_delay_alu instid0(VALU_DEP_2) | instskip(NEXT) | instid1(VALU_DEP_2)
	v_mul_u64_e32 v[8:9], s[8:9], v[8:9]
	v_lshl_add_u64 v[10:11], v[10:11], 3, s[6:7]
	s_delay_alu instid0(VALU_DEP_2) | instskip(NEXT) | instid1(VALU_DEP_2)
	v_lshl_add_u64 v[8:9], v[8:9], 3, s[0:1]
	v_add_nc_u64_e32 v[10:11], v[10:11], v[6:7]
	s_delay_alu instid0(VALU_DEP_2) | instskip(SKIP_4) | instid1(VALU_DEP_1)
	v_add_nc_u64_e32 v[6:7], v[8:9], v[6:7]
	global_load_b64 v[8:9], v[10:11], off
	global_load_b64 v[12:13], v[6:7], off
	s_wait_loadcnt 0x0
	v_add_f64_e32 v[6:7], v[8:9], v[12:13]
	v_mul_f64_e64 v[6:7], v[6:7], -v[4:5]
	global_store_b64 v[10:11], v[6:7], off
.LBB70_11:
	s_mov_b32 s3, 0
.LBB70_12:
	s_delay_alu instid0(SALU_CYCLE_1)
	s_and_not1_b32 vcc_lo, exec_lo, s3
	s_cbranch_vccnz .LBB70_17
; %bb.13:
	s_and_not1_b32 vcc_lo, exec_lo, s4
	s_mov_b32 s3, -1
	s_cbranch_vccnz .LBB70_15
; %bb.14:
	s_sub_co_i32 s3, s18, s19
	s_wait_xcnt 0x0
	v_dual_mov_b32 v7, 0 :: v_dual_add_nc_u32 v6, s3, v0
	s_ashr_i32 s9, s11, 31
	s_mov_b32 s8, s11
	s_ashr_i32 s3, s2, 31
	s_delay_alu instid0(VALU_DEP_1) | instskip(NEXT) | instid1(VALU_DEP_1)
	v_mov_b32_e32 v3, v7
	v_mul_u64_e32 v[8:9], s[8:9], v[2:3]
	s_delay_alu instid0(VALU_DEP_1) | instskip(NEXT) | instid1(VALU_DEP_1)
	v_lshl_add_u64 v[8:9], v[8:9], 3, s[0:1]
	v_lshl_add_u64 v[6:7], v[6:7], 3, v[8:9]
	v_mul_u64_e32 v[8:9], s[2:3], v[0:1]
	s_mov_b32 s3, 0
	global_load_b64 v[6:7], v[6:7], off
	v_lshl_add_u64 v[8:9], v[8:9], 3, s[6:7]
	s_delay_alu instid0(VALU_DEP_1)
	v_lshl_add_u64 v[8:9], v[2:3], 3, v[8:9]
	s_wait_loadcnt 0x0
	v_mul_f64_e64 v[6:7], v[6:7], -v[4:5]
	global_store_b64 v[8:9], v[6:7], off
.LBB70_15:
	s_and_not1_b32 vcc_lo, exec_lo, s3
	s_cbranch_vccnz .LBB70_17
; %bb.16:
	s_ashr_i32 s3, s2, 31
	s_ashr_i32 s9, s11, 31
	s_wait_xcnt 0x0
	v_mul_u64_e32 v[6:7], s[2:3], v[0:1]
	s_sub_co_i32 s3, s18, s19
	s_delay_alu instid0(SALU_CYCLE_1)
	v_dual_mov_b32 v3, 0 :: v_dual_add_nc_u32 v10, s3, v0
	s_mov_b32 s8, s11
	s_delay_alu instid0(VALU_DEP_1) | instid1(SALU_CYCLE_1)
	v_mul_u64_e32 v[8:9], s[8:9], v[2:3]
	v_mov_b32_e32 v11, v3
	s_delay_alu instid0(VALU_DEP_4) | instskip(NEXT) | instid1(VALU_DEP_1)
	v_lshl_add_u64 v[6:7], v[6:7], 3, s[6:7]
	v_lshl_add_u64 v[6:7], v[2:3], 3, v[6:7]
	s_delay_alu instid0(VALU_DEP_4) | instskip(NEXT) | instid1(VALU_DEP_1)
	v_lshl_add_u64 v[8:9], v[8:9], 3, s[0:1]
	v_lshl_add_u64 v[8:9], v[10:11], 3, v[8:9]
	global_load_b64 v[10:11], v[6:7], off
	global_load_b64 v[12:13], v[8:9], off
	s_wait_loadcnt 0x0
	v_add_f64_e32 v[8:9], v[10:11], v[12:13]
	s_delay_alu instid0(VALU_DEP_1)
	v_mul_f64_e64 v[4:5], v[8:9], -v[4:5]
	global_store_b64 v[6:7], v[4:5], off
.LBB70_17:
	s_wait_xcnt 0x0
	s_or_b32 exec_lo, exec_lo, s5
	s_mov_b32 s3, 0
.LBB70_18:
	s_delay_alu instid0(SALU_CYCLE_1)
	s_and_not1_b32 vcc_lo, exec_lo, s3
	s_cbranch_vccnz .LBB70_34
; %bb.19:
	s_mov_b32 s3, exec_lo
	v_cmpx_ge_u32_e64 v2, v0
	s_xor_b32 s5, exec_lo, s3
	s_cbranch_execz .LBB70_21
; %bb.20:
	s_ashr_i32 s3, s2, 31
	v_mov_b32_e32 v3, 0
	v_mul_u64_e32 v[0:1], s[2:3], v[0:1]
	s_wait_loadcnt 0x0
	v_mov_b64_e32 v[4:5], 0
	s_delay_alu instid0(VALU_DEP_2) | instskip(NEXT) | instid1(VALU_DEP_1)
	v_lshl_add_u64 v[0:1], v[0:1], 3, s[6:7]
	v_lshl_add_u64 v[0:1], v[2:3], 3, v[0:1]
                                        ; implicit-def: $vgpr2
	global_store_b64 v[0:1], v[4:5], off
                                        ; implicit-def: $vgpr0_vgpr1
.LBB70_21:
	s_wait_xcnt 0x0
	s_and_not1_saveexec_b32 s5, s5
	s_cbranch_execz .LBB70_33
; %bb.22:
	s_wait_loadcnt 0x0
	v_lshl_add_u64 v[4:5], v[0:1], 3, s[16:17]
	v_cndmask_b32_e64 v6, 0, 1, s4
	v_mov_b32_e32 v3, 0
	s_cmp_lg_u32 s13, 0xb5
	s_mov_b32 s3, -1
	global_load_b64 v[4:5], v[4:5], off
	v_cmp_ne_u32_e32 vcc_lo, 1, v6
	s_cbranch_scc0 .LBB70_28
; %bb.23:
	v_lshlrev_b64_e32 v[6:7], 3, v[2:3]
	s_and_b32 vcc_lo, exec_lo, vcc_lo
	s_cbranch_vccnz .LBB70_25
; %bb.24:
	s_ashr_i32 s9, s11, 31
	s_mov_b32 s8, s11
	s_ashr_i32 s3, s2, 31
	v_mul_u64_e32 v[8:9], s[8:9], v[0:1]
	v_mul_u64_e32 v[10:11], s[2:3], v[0:1]
	s_mov_b32 s3, 0
	s_delay_alu instid0(VALU_DEP_2) | instskip(NEXT) | instid1(VALU_DEP_2)
	v_lshl_add_u64 v[8:9], v[8:9], 3, s[0:1]
	v_lshl_add_u64 v[10:11], v[10:11], 3, s[6:7]
	s_delay_alu instid0(VALU_DEP_2) | instskip(NEXT) | instid1(VALU_DEP_2)
	v_add_nc_u64_e32 v[8:9], v[8:9], v[6:7]
	v_add_nc_u64_e32 v[10:11], v[10:11], v[6:7]
	global_load_b64 v[8:9], v[8:9], off
	s_wait_loadcnt 0x0
	v_mul_f64_e64 v[8:9], v[8:9], -v[4:5]
	global_store_b64 v[10:11], v[8:9], off
.LBB70_25:
	s_and_not1_b32 vcc_lo, exec_lo, s3
	s_cbranch_vccnz .LBB70_27
; %bb.26:
	s_ashr_i32 s3, s2, 31
	s_ashr_i32 s9, s11, 31
	s_mov_b32 s8, s11
	s_wait_xcnt 0x0
	v_mul_u64_e32 v[8:9], s[2:3], v[0:1]
	v_mul_u64_e32 v[10:11], s[8:9], v[0:1]
	s_delay_alu instid0(VALU_DEP_2) | instskip(NEXT) | instid1(VALU_DEP_2)
	v_lshl_add_u64 v[8:9], v[8:9], 3, s[6:7]
	v_lshl_add_u64 v[10:11], v[10:11], 3, s[0:1]
	s_delay_alu instid0(VALU_DEP_2) | instskip(NEXT) | instid1(VALU_DEP_2)
	v_add_nc_u64_e32 v[8:9], v[8:9], v[6:7]
	v_add_nc_u64_e32 v[6:7], v[10:11], v[6:7]
	global_load_b64 v[10:11], v[8:9], off
	global_load_b64 v[12:13], v[6:7], off
	s_wait_loadcnt 0x0
	v_add_f64_e32 v[6:7], v[10:11], v[12:13]
	s_delay_alu instid0(VALU_DEP_1)
	v_mul_f64_e64 v[6:7], v[6:7], -v[4:5]
	global_store_b64 v[8:9], v[6:7], off
.LBB70_27:
	s_mov_b32 s3, 0
.LBB70_28:
	s_delay_alu instid0(SALU_CYCLE_1)
	s_and_not1_b32 vcc_lo, exec_lo, s3
	s_cbranch_vccnz .LBB70_33
; %bb.29:
	s_and_not1_b32 vcc_lo, exec_lo, s4
	s_mov_b32 s3, -1
	s_cbranch_vccnz .LBB70_31
; %bb.30:
	s_ashr_i32 s9, s11, 31
	s_mov_b32 s8, s11
	s_ashr_i32 s3, s2, 31
	s_wait_xcnt 0x0
	v_mul_u64_e32 v[6:7], s[8:9], v[2:3]
	v_mul_u64_e32 v[8:9], s[2:3], v[0:1]
	s_mov_b32 s3, 0
	s_delay_alu instid0(VALU_DEP_2) | instskip(NEXT) | instid1(VALU_DEP_2)
	v_lshl_add_u64 v[6:7], v[6:7], 3, s[0:1]
	v_lshl_add_u64 v[8:9], v[8:9], 3, s[6:7]
	s_delay_alu instid0(VALU_DEP_2) | instskip(NEXT) | instid1(VALU_DEP_2)
	v_lshl_add_u64 v[6:7], v[0:1], 3, v[6:7]
	v_lshl_add_u64 v[8:9], v[2:3], 3, v[8:9]
	global_load_b64 v[6:7], v[6:7], off
	s_wait_loadcnt 0x0
	v_mul_f64_e64 v[6:7], v[6:7], -v[4:5]
	global_store_b64 v[8:9], v[6:7], off
.LBB70_31:
	s_and_not1_b32 vcc_lo, exec_lo, s3
	s_cbranch_vccnz .LBB70_33
; %bb.32:
	s_ashr_i32 s3, s2, 31
	s_ashr_i32 s9, s11, 31
	s_mov_b32 s8, s11
	s_wait_xcnt 0x0
	v_mul_u64_e32 v[6:7], s[2:3], v[0:1]
	v_mul_u64_e32 v[8:9], s[8:9], v[2:3]
	s_delay_alu instid0(VALU_DEP_2) | instskip(NEXT) | instid1(VALU_DEP_2)
	v_lshl_add_u64 v[6:7], v[6:7], 3, s[6:7]
	v_lshl_add_u64 v[8:9], v[8:9], 3, s[0:1]
	s_delay_alu instid0(VALU_DEP_2) | instskip(NEXT) | instid1(VALU_DEP_2)
	v_lshl_add_u64 v[2:3], v[2:3], 3, v[6:7]
	v_lshl_add_u64 v[0:1], v[0:1], 3, v[8:9]
	global_load_b64 v[6:7], v[2:3], off
	global_load_b64 v[8:9], v[0:1], off
	s_wait_loadcnt 0x0
	v_add_f64_e32 v[0:1], v[6:7], v[8:9]
	s_delay_alu instid0(VALU_DEP_1)
	v_mul_f64_e64 v[0:1], v[0:1], -v[4:5]
	global_store_b64 v[2:3], v[0:1], off
.LBB70_33:
	s_wait_xcnt 0x0
	s_or_b32 exec_lo, exec_lo, s5
                                        ; implicit-def: $vgpr0
.LBB70_34:
	s_and_not1_saveexec_b32 s0, s15
	s_cbranch_execz .LBB70_36
; %bb.35:
	global_load_b64 v[2:3], v0, s[16:17] scale_offset
	v_mov_b32_e32 v1, 0
	s_ashr_i32 s3, s2, 31
	s_wait_loadcnt 0x1
	s_delay_alu instid0(VALU_DEP_1) | instskip(SKIP_2) | instid1(VALU_DEP_2)
	v_mul_u64_e32 v[4:5], s[2:3], v[0:1]
	s_wait_xcnt 0x0
	v_lshlrev_b64_e32 v[0:1], 3, v[0:1]
	v_lshl_add_u64 v[4:5], v[4:5], 3, s[6:7]
	s_delay_alu instid0(VALU_DEP_1)
	v_add_nc_u64_e32 v[0:1], v[4:5], v[0:1]
	s_wait_loadcnt 0x0
	global_store_b64 v[0:1], v[2:3], off
.LBB70_36:
	s_endpgm
	.section	.rodata,"a",@progbits
	.p2align	6, 0x0
	.amdhsa_kernel _ZN9rocsolver6v33100L14set_triangularIdPdTnNSt9enable_ifIXnt18rocblas_is_complexIT_EEiE4typeELi0EEEviiT0_iilPS4_lS8_il15rocblas_direct_15rocblas_storev_b
		.amdhsa_group_segment_fixed_size 0
		.amdhsa_private_segment_fixed_size 0
		.amdhsa_kernarg_size 344
		.amdhsa_user_sgpr_count 2
		.amdhsa_user_sgpr_dispatch_ptr 0
		.amdhsa_user_sgpr_queue_ptr 0
		.amdhsa_user_sgpr_kernarg_segment_ptr 1
		.amdhsa_user_sgpr_dispatch_id 0
		.amdhsa_user_sgpr_kernarg_preload_length 0
		.amdhsa_user_sgpr_kernarg_preload_offset 0
		.amdhsa_user_sgpr_private_segment_size 0
		.amdhsa_wavefront_size32 1
		.amdhsa_uses_dynamic_stack 0
		.amdhsa_enable_private_segment 0
		.amdhsa_system_sgpr_workgroup_id_x 1
		.amdhsa_system_sgpr_workgroup_id_y 1
		.amdhsa_system_sgpr_workgroup_id_z 1
		.amdhsa_system_sgpr_workgroup_info 0
		.amdhsa_system_vgpr_workitem_id 1
		.amdhsa_next_free_vgpr 14
		.amdhsa_next_free_sgpr 22
		.amdhsa_named_barrier_count 0
		.amdhsa_reserve_vcc 1
		.amdhsa_float_round_mode_32 0
		.amdhsa_float_round_mode_16_64 0
		.amdhsa_float_denorm_mode_32 3
		.amdhsa_float_denorm_mode_16_64 3
		.amdhsa_fp16_overflow 0
		.amdhsa_memory_ordered 1
		.amdhsa_forward_progress 1
		.amdhsa_inst_pref_size 15
		.amdhsa_round_robin_scheduling 0
		.amdhsa_exception_fp_ieee_invalid_op 0
		.amdhsa_exception_fp_denorm_src 0
		.amdhsa_exception_fp_ieee_div_zero 0
		.amdhsa_exception_fp_ieee_overflow 0
		.amdhsa_exception_fp_ieee_underflow 0
		.amdhsa_exception_fp_ieee_inexact 0
		.amdhsa_exception_int_div_zero 0
	.end_amdhsa_kernel
	.section	.text._ZN9rocsolver6v33100L14set_triangularIdPdTnNSt9enable_ifIXnt18rocblas_is_complexIT_EEiE4typeELi0EEEviiT0_iilPS4_lS8_il15rocblas_direct_15rocblas_storev_b,"axG",@progbits,_ZN9rocsolver6v33100L14set_triangularIdPdTnNSt9enable_ifIXnt18rocblas_is_complexIT_EEiE4typeELi0EEEviiT0_iilPS4_lS8_il15rocblas_direct_15rocblas_storev_b,comdat
.Lfunc_end70:
	.size	_ZN9rocsolver6v33100L14set_triangularIdPdTnNSt9enable_ifIXnt18rocblas_is_complexIT_EEiE4typeELi0EEEviiT0_iilPS4_lS8_il15rocblas_direct_15rocblas_storev_b, .Lfunc_end70-_ZN9rocsolver6v33100L14set_triangularIdPdTnNSt9enable_ifIXnt18rocblas_is_complexIT_EEiE4typeELi0EEEviiT0_iilPS4_lS8_il15rocblas_direct_15rocblas_storev_b
                                        ; -- End function
	.set _ZN9rocsolver6v33100L14set_triangularIdPdTnNSt9enable_ifIXnt18rocblas_is_complexIT_EEiE4typeELi0EEEviiT0_iilPS4_lS8_il15rocblas_direct_15rocblas_storev_b.num_vgpr, 14
	.set _ZN9rocsolver6v33100L14set_triangularIdPdTnNSt9enable_ifIXnt18rocblas_is_complexIT_EEiE4typeELi0EEEviiT0_iilPS4_lS8_il15rocblas_direct_15rocblas_storev_b.num_agpr, 0
	.set _ZN9rocsolver6v33100L14set_triangularIdPdTnNSt9enable_ifIXnt18rocblas_is_complexIT_EEiE4typeELi0EEEviiT0_iilPS4_lS8_il15rocblas_direct_15rocblas_storev_b.numbered_sgpr, 22
	.set _ZN9rocsolver6v33100L14set_triangularIdPdTnNSt9enable_ifIXnt18rocblas_is_complexIT_EEiE4typeELi0EEEviiT0_iilPS4_lS8_il15rocblas_direct_15rocblas_storev_b.num_named_barrier, 0
	.set _ZN9rocsolver6v33100L14set_triangularIdPdTnNSt9enable_ifIXnt18rocblas_is_complexIT_EEiE4typeELi0EEEviiT0_iilPS4_lS8_il15rocblas_direct_15rocblas_storev_b.private_seg_size, 0
	.set _ZN9rocsolver6v33100L14set_triangularIdPdTnNSt9enable_ifIXnt18rocblas_is_complexIT_EEiE4typeELi0EEEviiT0_iilPS4_lS8_il15rocblas_direct_15rocblas_storev_b.uses_vcc, 1
	.set _ZN9rocsolver6v33100L14set_triangularIdPdTnNSt9enable_ifIXnt18rocblas_is_complexIT_EEiE4typeELi0EEEviiT0_iilPS4_lS8_il15rocblas_direct_15rocblas_storev_b.uses_flat_scratch, 0
	.set _ZN9rocsolver6v33100L14set_triangularIdPdTnNSt9enable_ifIXnt18rocblas_is_complexIT_EEiE4typeELi0EEEviiT0_iilPS4_lS8_il15rocblas_direct_15rocblas_storev_b.has_dyn_sized_stack, 0
	.set _ZN9rocsolver6v33100L14set_triangularIdPdTnNSt9enable_ifIXnt18rocblas_is_complexIT_EEiE4typeELi0EEEviiT0_iilPS4_lS8_il15rocblas_direct_15rocblas_storev_b.has_recursion, 0
	.set _ZN9rocsolver6v33100L14set_triangularIdPdTnNSt9enable_ifIXnt18rocblas_is_complexIT_EEiE4typeELi0EEEviiT0_iilPS4_lS8_il15rocblas_direct_15rocblas_storev_b.has_indirect_call, 0
	.section	.AMDGPU.csdata,"",@progbits
; Kernel info:
; codeLenInByte = 1804
; TotalNumSgprs: 24
; NumVgprs: 14
; ScratchSize: 0
; MemoryBound: 0
; FloatMode: 240
; IeeeMode: 1
; LDSByteSize: 0 bytes/workgroup (compile time only)
; SGPRBlocks: 0
; VGPRBlocks: 0
; NumSGPRsForWavesPerEU: 24
; NumVGPRsForWavesPerEU: 14
; NamedBarCnt: 0
; Occupancy: 16
; WaveLimiterHint : 0
; COMPUTE_PGM_RSRC2:SCRATCH_EN: 0
; COMPUTE_PGM_RSRC2:USER_SGPR: 2
; COMPUTE_PGM_RSRC2:TRAP_HANDLER: 0
; COMPUTE_PGM_RSRC2:TGID_X_EN: 1
; COMPUTE_PGM_RSRC2:TGID_Y_EN: 1
; COMPUTE_PGM_RSRC2:TGID_Z_EN: 1
; COMPUTE_PGM_RSRC2:TIDIG_COMP_CNT: 1
	.section	.text._ZN9rocsolver6v33100L7set_tauIdEEviPT_l,"axG",@progbits,_ZN9rocsolver6v33100L7set_tauIdEEviPT_l,comdat
	.globl	_ZN9rocsolver6v33100L7set_tauIdEEviPT_l ; -- Begin function _ZN9rocsolver6v33100L7set_tauIdEEviPT_l
	.p2align	8
	.type	_ZN9rocsolver6v33100L7set_tauIdEEviPT_l,@function
_ZN9rocsolver6v33100L7set_tauIdEEviPT_l: ; @_ZN9rocsolver6v33100L7set_tauIdEEviPT_l
; %bb.0:
	s_clause 0x1
	s_load_b32 s3, s[0:1], 0x24
	s_load_b32 s4, s[0:1], 0x0
	s_bfe_u32 s2, ttmp6, 0x4000c
	s_and_b32 s5, ttmp6, 15
	s_add_co_i32 s6, s2, 1
	s_getreg_b32 s2, hwreg(HW_REG_IB_STS2, 6, 4)
	s_mul_i32 s6, ttmp9, s6
	s_delay_alu instid0(SALU_CYCLE_1) | instskip(SKIP_4) | instid1(SALU_CYCLE_1)
	s_add_co_i32 s5, s5, s6
	s_wait_kmcnt 0x0
	s_and_b32 s3, s3, 0xffff
	s_cmp_eq_u32 s2, 0
	s_cselect_b32 s5, ttmp9, s5
	v_mad_u32 v0, s5, s3, v0
	s_mov_b32 s3, 0
	s_delay_alu instid0(VALU_DEP_1)
	v_cmp_gt_u32_e32 vcc_lo, s4, v0
	s_and_saveexec_b32 s4, vcc_lo
	s_cbranch_execz .LBB71_2
; %bb.1:
	s_load_b128 s[4:7], s[0:1], 0x8
	s_wait_xcnt 0x0
	s_bfe_u32 s0, ttmp6, 0x40010
	s_bfe_u32 s1, ttmp6, 0x40004
	s_add_co_i32 s0, s0, 1
	s_delay_alu instid0(SALU_CYCLE_1) | instskip(NEXT) | instid1(SALU_CYCLE_1)
	s_mul_i32 s0, ttmp7, s0
	s_add_co_i32 s1, s1, s0
	s_cmp_eq_u32 s2, 0
	s_cselect_b32 s2, ttmp7, s1
	s_wait_kmcnt 0x0
	s_mul_u64 s[0:1], s[6:7], s[2:3]
	s_delay_alu instid0(SALU_CYCLE_1) | instskip(NEXT) | instid1(SALU_CYCLE_1)
	s_lshl_b64 s[0:1], s[0:1], 3
	s_add_nc_u64 s[0:1], s[4:5], s[0:1]
	global_load_b64 v[2:3], v0, s[0:1] scale_offset
	s_wait_loadcnt 0x0
	v_xor_b32_e32 v3, 0x80000000, v3
	global_store_b64 v0, v[2:3], s[0:1] scale_offset
.LBB71_2:
	s_endpgm
	.section	.rodata,"a",@progbits
	.p2align	6, 0x0
	.amdhsa_kernel _ZN9rocsolver6v33100L7set_tauIdEEviPT_l
		.amdhsa_group_segment_fixed_size 0
		.amdhsa_private_segment_fixed_size 0
		.amdhsa_kernarg_size 280
		.amdhsa_user_sgpr_count 2
		.amdhsa_user_sgpr_dispatch_ptr 0
		.amdhsa_user_sgpr_queue_ptr 0
		.amdhsa_user_sgpr_kernarg_segment_ptr 1
		.amdhsa_user_sgpr_dispatch_id 0
		.amdhsa_user_sgpr_kernarg_preload_length 0
		.amdhsa_user_sgpr_kernarg_preload_offset 0
		.amdhsa_user_sgpr_private_segment_size 0
		.amdhsa_wavefront_size32 1
		.amdhsa_uses_dynamic_stack 0
		.amdhsa_enable_private_segment 0
		.amdhsa_system_sgpr_workgroup_id_x 1
		.amdhsa_system_sgpr_workgroup_id_y 1
		.amdhsa_system_sgpr_workgroup_id_z 0
		.amdhsa_system_sgpr_workgroup_info 0
		.amdhsa_system_vgpr_workitem_id 0
		.amdhsa_next_free_vgpr 4
		.amdhsa_next_free_sgpr 8
		.amdhsa_named_barrier_count 0
		.amdhsa_reserve_vcc 1
		.amdhsa_float_round_mode_32 0
		.amdhsa_float_round_mode_16_64 0
		.amdhsa_float_denorm_mode_32 3
		.amdhsa_float_denorm_mode_16_64 3
		.amdhsa_fp16_overflow 0
		.amdhsa_memory_ordered 1
		.amdhsa_forward_progress 1
		.amdhsa_inst_pref_size 2
		.amdhsa_round_robin_scheduling 0
		.amdhsa_exception_fp_ieee_invalid_op 0
		.amdhsa_exception_fp_denorm_src 0
		.amdhsa_exception_fp_ieee_div_zero 0
		.amdhsa_exception_fp_ieee_overflow 0
		.amdhsa_exception_fp_ieee_underflow 0
		.amdhsa_exception_fp_ieee_inexact 0
		.amdhsa_exception_int_div_zero 0
	.end_amdhsa_kernel
	.section	.text._ZN9rocsolver6v33100L7set_tauIdEEviPT_l,"axG",@progbits,_ZN9rocsolver6v33100L7set_tauIdEEviPT_l,comdat
.Lfunc_end71:
	.size	_ZN9rocsolver6v33100L7set_tauIdEEviPT_l, .Lfunc_end71-_ZN9rocsolver6v33100L7set_tauIdEEviPT_l
                                        ; -- End function
	.set _ZN9rocsolver6v33100L7set_tauIdEEviPT_l.num_vgpr, 4
	.set _ZN9rocsolver6v33100L7set_tauIdEEviPT_l.num_agpr, 0
	.set _ZN9rocsolver6v33100L7set_tauIdEEviPT_l.numbered_sgpr, 8
	.set _ZN9rocsolver6v33100L7set_tauIdEEviPT_l.num_named_barrier, 0
	.set _ZN9rocsolver6v33100L7set_tauIdEEviPT_l.private_seg_size, 0
	.set _ZN9rocsolver6v33100L7set_tauIdEEviPT_l.uses_vcc, 1
	.set _ZN9rocsolver6v33100L7set_tauIdEEviPT_l.uses_flat_scratch, 0
	.set _ZN9rocsolver6v33100L7set_tauIdEEviPT_l.has_dyn_sized_stack, 0
	.set _ZN9rocsolver6v33100L7set_tauIdEEviPT_l.has_recursion, 0
	.set _ZN9rocsolver6v33100L7set_tauIdEEviPT_l.has_indirect_call, 0
	.section	.AMDGPU.csdata,"",@progbits
; Kernel info:
; codeLenInByte = 212
; TotalNumSgprs: 10
; NumVgprs: 4
; ScratchSize: 0
; MemoryBound: 0
; FloatMode: 240
; IeeeMode: 1
; LDSByteSize: 0 bytes/workgroup (compile time only)
; SGPRBlocks: 0
; VGPRBlocks: 0
; NumSGPRsForWavesPerEU: 10
; NumVGPRsForWavesPerEU: 4
; NamedBarCnt: 0
; Occupancy: 16
; WaveLimiterHint : 0
; COMPUTE_PGM_RSRC2:SCRATCH_EN: 0
; COMPUTE_PGM_RSRC2:USER_SGPR: 2
; COMPUTE_PGM_RSRC2:TRAP_HANDLER: 0
; COMPUTE_PGM_RSRC2:TGID_X_EN: 1
; COMPUTE_PGM_RSRC2:TGID_Y_EN: 1
; COMPUTE_PGM_RSRC2:TGID_Z_EN: 0
; COMPUTE_PGM_RSRC2:TIDIG_COMP_CNT: 0
	.section	.text._ZN9rocsolver6v33100L20larft_kernel_forwardIdPdEEv15rocblas_storev_iiT0_iilPT_lS6_il,"axG",@progbits,_ZN9rocsolver6v33100L20larft_kernel_forwardIdPdEEv15rocblas_storev_iiT0_iilPT_lS6_il,comdat
	.globl	_ZN9rocsolver6v33100L20larft_kernel_forwardIdPdEEv15rocblas_storev_iiT0_iilPT_lS6_il ; -- Begin function _ZN9rocsolver6v33100L20larft_kernel_forwardIdPdEEv15rocblas_storev_iiT0_iilPT_lS6_il
	.p2align	8
	.type	_ZN9rocsolver6v33100L20larft_kernel_forwardIdPdEEv15rocblas_storev_iiT0_iilPT_lS6_il,@function
_ZN9rocsolver6v33100L20larft_kernel_forwardIdPdEEv15rocblas_storev_iiT0_iilPT_lS6_il: ; @_ZN9rocsolver6v33100L20larft_kernel_forwardIdPdEEv15rocblas_storev_iiT0_iilPT_lS6_il
; %bb.0:
	s_clause 0x4
	s_load_b32 s2, s[0:1], 0x5c
	s_load_b32 s3, s[0:1], 0x40
	s_load_b64 s[12:13], s[0:1], 0x48
	s_load_b96 s[16:18], s[0:1], 0x0
	s_load_b256 s[4:11], s[0:1], 0x20
	s_bfe_u32 s14, ttmp6, 0x40010
	s_bfe_u32 s15, ttmp6, 0x40004
	s_add_co_i32 s14, s14, 1
	s_getreg_b32 s20, hwreg(HW_REG_IB_STS2, 6, 4)
	s_mul_i32 s14, ttmp7, s14
	v_lshlrev_b32_e32 v2, 3, v0
	s_add_co_i32 s15, s15, s14
	s_wait_kmcnt 0x0
	s_and_b32 s19, s2, 0xffff
	s_cmp_eq_u32 s20, 0
	v_mad_u32 v1, v0, s3, v0
	s_cselect_b32 s20, ttmp7, s15
	v_cmp_gt_i32_e64 s2, s18, v0
	s_ashr_i32 s21, s20, 31
	s_delay_alu instid0(SALU_CYCLE_1) | instskip(NEXT) | instid1(SALU_CYCLE_1)
	s_mul_u64 s[12:13], s[12:13], s[20:21]
	s_lshl_b64 s[14:15], s[12:13], 3
	s_mov_b32 s12, 0
	s_add_nc_u64 s[10:11], s[10:11], s[14:15]
	s_and_saveexec_b32 s13, s2
	s_cbranch_execz .LBB72_5
; %bb.1:
	v_dual_add_nc_u32 v3, 8, v2 :: v_dual_mov_b32 v5, v0
	s_lshl_b32 s14, s18, 3
	s_add_co_i32 s22, s3, 1
	s_add_co_i32 s15, s14, 8
	s_delay_alu instid0(VALU_DEP_1) | instskip(SKIP_3) | instid1(VALU_DEP_2)
	v_mul_lo_u32 v4, s18, v3
	v_mad_u32 v3, v0, s3, v0
	s_mul_i32 s15, s15, s19
	s_mul_i32 s22, s22, s19
	v_add3_u32 v4, v4, v2, 0
.LBB72_2:                               ; =>This Loop Header: Depth=1
                                        ;     Child Loop BB72_3 Depth 2
	s_delay_alu instid0(VALU_DEP_1)
	v_dual_mov_b32 v6, v3 :: v_dual_mov_b32 v7, v4
	v_mov_b32_e32 v8, v5
	s_mov_b32 s23, 0
.LBB72_3:                               ;   Parent Loop BB72_2 Depth=1
                                        ; =>  This Inner Loop Header: Depth=2
	global_load_b64 v[10:11], v6, s[10:11] scale_offset
	s_wait_xcnt 0x0
	v_dual_add_nc_u32 v8, 1, v8 :: v_dual_add_nc_u32 v6, s3, v6
	s_delay_alu instid0(VALU_DEP_1)
	v_cmp_le_i32_e32 vcc_lo, s18, v8
	s_or_b32 s23, vcc_lo, s23
	s_wait_loadcnt 0x0
	ds_store_b64 v7, v[10:11]
	v_add_nc_u32_e32 v7, s14, v7
	s_and_not1_b32 exec_lo, exec_lo, s23
	s_cbranch_execnz .LBB72_3
; %bb.4:                                ;   in Loop: Header=BB72_2 Depth=1
	s_or_b32 exec_lo, exec_lo, s23
	v_dual_add_nc_u32 v5, s19, v5 :: v_dual_add_nc_u32 v4, s15, v4
	v_add_nc_u32_e32 v3, s22, v3
	s_delay_alu instid0(VALU_DEP_2) | instskip(SKIP_1) | instid1(SALU_CYCLE_1)
	v_cmp_le_i32_e32 vcc_lo, s18, v5
	s_or_b32 s12, vcc_lo, s12
	s_and_not1_b32 exec_lo, exec_lo, s12
	s_cbranch_execnz .LBB72_2
.LBB72_5:
	s_or_b32 exec_lo, exec_lo, s13
	s_cmp_lt_i32 s18, 2
	s_wait_dscnt 0x0
	s_barrier_signal -1
	s_barrier_wait -1
	s_cbranch_scc1 .LBB72_30
; %bb.6:
	s_load_b128 s[12:15], s[0:1], 0x10
	v_dual_mov_b32 v3, 0 :: v_dual_add_nc_u32 v4, 8, v2
	s_wait_xcnt 0x0
	s_mul_u64 s[0:1], s[8:9], s[20:21]
	s_lshl_b32 s33, s18, 3
	s_lshl_b64 s[0:1], s[0:1], 3
	s_mul_u64 s[20:21], s[4:5], s[20:21]
	s_add_co_i32 s35, s33, 0
	s_add_nc_u64 s[4:5], s[6:7], s[0:1]
	v_mul_lo_u32 v6, s18, v4
	v_add_nc_u32_e32 v13, 0, v2
	s_mov_b32 s9, 0
	s_mov_b32 s34, 1
	s_delay_alu instid0(VALU_DEP_2)
	v_add3_u32 v12, v6, v2, 0
	s_wait_kmcnt 0x0
	s_ashr_i32 s1, s14, 31
	s_cmp_lg_u32 s16, 0xb5
	s_mov_b32 s0, s14
	s_cselect_b32 s14, -1, 0
	s_lshl_b64 s[26:27], s[20:21], 3
	s_lshl_b64 s[0:1], s[0:1], 3
	v_add_nc_u64_e32 v[4:5], s[26:27], v[2:3]
	v_mul_lo_u32 v3, v0, s15
	s_add_nc_u64 s[22:23], s[12:13], s[0:1]
	s_add_nc_u64 s[0:1], s[26:27], s[0:1]
	s_mov_b32 s24, s15
	s_ashr_i32 s25, s15, 31
	s_add_nc_u64 s[0:1], s[12:13], s[0:1]
	s_add_co_i32 s37, s33, 8
	s_add_co_i32 s16, s17, -2
	s_lshl_b32 s6, s15, 1
	s_add_nc_u64 s[20:21], s[26:27], 8
	s_lshl_b64 s[24:25], s[24:25], 3
	s_lshl_b32 s8, s19, 3
	s_add_nc_u64 s[12:13], s[0:1], 16
	s_mul_i32 s36, s15, s19
	s_mul_i32 s37, s37, s19
	s_mov_b32 s26, s15
	s_branch .LBB72_8
.LBB72_7:                               ;   in Loop: Header=BB72_8 Depth=1
	s_or_b32 exec_lo, exec_lo, s0
	s_add_co_i32 s34, s34, 1
	s_add_co_i32 s16, s16, -1
	s_add_co_i32 s6, s6, s15
	s_add_co_i32 s26, s26, s15
	s_add_nc_u64 s[20:21], s[20:21], 8
	s_cmp_eq_u32 s34, s18
	s_add_nc_u64 s[12:13], s[12:13], 8
	s_wait_dscnt 0x0
	s_barrier_signal -1
	s_barrier_wait -1
	s_cbranch_scc1 .LBB72_30
.LBB72_8:                               ; =>This Loop Header: Depth=1
                                        ;     Child Loop BB72_12 Depth 2
                                        ;       Child Loop BB72_14 Depth 3
                                        ;     Child Loop BB72_21 Depth 2
                                        ;       Child Loop BB72_23 Depth 3
	;; [unrolled: 2-line block ×3, first 2 shown]
	s_mul_i32 s0, s34, s18
	s_not_b32 s1, s34
	s_lshl_b32 s0, s0, 3
	s_add_co_i32 s39, s17, s1
	s_add_co_i32 s38, s35, s0
	v_cmp_gt_u32_e64 s0, s34, v0
	s_and_b32 vcc_lo, exec_lo, s14
	s_mov_b32 s1, -1
	s_cbranch_vccz .LBB72_16
; %bb.9:                                ;   in Loop: Header=BB72_8 Depth=1
	s_and_saveexec_b32 s27, s0
	s_cbranch_execz .LBB72_15
; %bb.10:                               ;   in Loop: Header=BB72_8 Depth=1
	s_load_b64 s[0:1], s[4:5], s34 offset:0x0 scale_offset
	s_ashr_i32 s7, s6, 31
	v_mov_b64_e32 v[6:7], v[4:5]
	s_lshl_b64 s[28:29], s[6:7], 3
	v_mov_b32_e32 v10, v0
	s_cmp_gt_i32 s39, 0
	s_add_nc_u64 s[28:29], s[22:23], s[28:29]
	s_cselect_b32 s7, -1, 0
	s_mov_b32 s40, 0
	s_branch .LBB72_12
.LBB72_11:                              ;   in Loop: Header=BB72_12 Depth=2
	v_dual_lshlrev_b32 v11, 3, v10 :: v_dual_add_nc_u32 v10, s19, v10
	v_add_nc_u64_e32 v[6:7], s[8:9], v[6:7]
	s_wait_xcnt 0x0
	s_delay_alu instid0(VALU_DEP_2) | instskip(NEXT) | instid1(VALU_DEP_3)
	v_add_nc_u32_e32 v14, s38, v11
	v_cmp_le_u32_e32 vcc_lo, s34, v10
	ds_load_b64 v[14:15], v14
	s_or_b32 s40, vcc_lo, s40
	s_wait_dscnt 0x0
	s_wait_kmcnt 0x0
	v_fmac_f64_e32 v[14:15], s[0:1], v[8:9]
	v_add_nc_u32_e32 v8, 0, v11
	ds_store_b64 v8, v[14:15]
	s_and_not1_b32 exec_lo, exec_lo, s40
	s_cbranch_execz .LBB72_15
.LBB72_12:                              ;   Parent Loop BB72_8 Depth=1
                                        ; =>  This Loop Header: Depth=2
                                        ;       Child Loop BB72_14 Depth 3
	v_mov_b64_e32 v[8:9], 0
	s_and_not1_b32 vcc_lo, exec_lo, s7
	s_cbranch_vccnz .LBB72_11
; %bb.13:                               ;   in Loop: Header=BB72_12 Depth=2
	s_mov_b32 s41, 0
	s_mov_b64 s[30:31], s[28:29]
.LBB72_14:                              ;   Parent Loop BB72_8 Depth=1
                                        ;     Parent Loop BB72_12 Depth=2
                                        ; =>    This Inner Loop Header: Depth=3
	s_wait_xcnt 0x0
	v_add_nc_u64_e32 v[14:15], s[30:31], v[6:7]
	s_add_nc_u64 s[42:43], s[30:31], s[20:21]
	s_add_co_i32 s41, s41, 1
	s_add_nc_u64 s[30:31], s[30:31], s[24:25]
	s_cmp_eq_u32 s16, s41
	s_load_b64 s[42:43], s[42:43], 0x0
	global_load_b64 v[14:15], v[14:15], off
	s_wait_loadcnt 0x0
	s_wait_kmcnt 0x0
	v_fmac_f64_e32 v[8:9], s[42:43], v[14:15]
	s_cbranch_scc0 .LBB72_14
	s_branch .LBB72_11
.LBB72_15:                              ;   in Loop: Header=BB72_8 Depth=1
	s_or_b32 exec_lo, exec_lo, s27
	s_mov_b32 s1, 0
.LBB72_16:                              ;   in Loop: Header=BB72_8 Depth=1
	s_delay_alu instid0(SALU_CYCLE_1)
	s_and_not1_b32 vcc_lo, exec_lo, s1
	s_cbranch_vccnz .LBB72_25
; %bb.17:                               ;   in Loop: Header=BB72_8 Depth=1
	s_mov_b32 s7, exec_lo
	v_cmpx_gt_u32_e64 s34, v0
	s_cbranch_execz .LBB72_24
; %bb.18:                               ;   in Loop: Header=BB72_8 Depth=1
	s_load_b64 s[0:1], s[4:5], s34 offset:0x0 scale_offset
	s_ashr_i32 s27, s26, 31
	v_dual_mov_b32 v6, v3 :: v_dual_mov_b32 v14, v0
	s_lshl_b64 s[28:29], s[26:27], 3
	s_cmp_gt_i32 s39, 0
	s_add_nc_u64 s[28:29], s[12:13], s[28:29]
	s_cselect_b32 s27, -1, 0
	s_mov_b32 s39, 0
	s_branch .LBB72_21
.LBB72_19:                              ;   in Loop: Header=BB72_21 Depth=2
	v_mov_b64_e32 v[8:9], 0
.LBB72_20:                              ;   in Loop: Header=BB72_21 Depth=2
	v_dual_lshlrev_b32 v7, 3, v14 :: v_dual_add_nc_u32 v14, s19, v14
	s_delay_alu instid0(VALU_DEP_1) | instskip(SKIP_1) | instid1(VALU_DEP_3)
	v_dual_add_nc_u32 v6, s36, v6 :: v_dual_add_nc_u32 v10, s38, v7
	v_add_nc_u32_e32 v7, 0, v7
	v_cmp_le_u32_e32 vcc_lo, s34, v14
	ds_load_b64 v[10:11], v10
	s_or_b32 s39, vcc_lo, s39
	s_wait_dscnt 0x0
	s_wait_kmcnt 0x0
	v_fmac_f64_e32 v[10:11], s[0:1], v[8:9]
	ds_store_b64 v7, v[10:11]
	s_and_not1_b32 exec_lo, exec_lo, s39
	s_cbranch_execz .LBB72_24
.LBB72_21:                              ;   Parent Loop BB72_8 Depth=1
                                        ; =>  This Loop Header: Depth=2
                                        ;       Child Loop BB72_23 Depth 3
	s_and_not1_b32 vcc_lo, exec_lo, s27
	s_cbranch_vccnz .LBB72_19
; %bb.22:                               ;   in Loop: Header=BB72_21 Depth=2
	v_ashrrev_i32_e32 v7, 31, v6
	v_mov_b64_e32 v[8:9], 0
	s_mov_b32 s40, 0
	s_mov_b64 s[30:31], s[28:29]
	s_delay_alu instid0(VALU_DEP_2)
	v_lshl_add_u64 v[10:11], v[6:7], 3, s[12:13]
.LBB72_23:                              ;   Parent Loop BB72_8 Depth=1
                                        ;     Parent Loop BB72_21 Depth=2
                                        ; =>    This Inner Loop Header: Depth=3
	global_load_b64 v[16:17], v[10:11], off
	s_load_b64 s[42:43], s[30:31], 0x0
	v_add_nc_u64_e32 v[10:11], 8, v[10:11]
	s_add_co_i32 s40, s40, 1
	s_wait_xcnt 0x0
	s_add_nc_u64 s[30:31], s[30:31], 8
	s_cmp_eq_u32 s16, s40
	s_wait_loadcnt 0x0
	s_wait_kmcnt 0x0
	v_fmac_f64_e32 v[8:9], s[42:43], v[16:17]
	s_cbranch_scc0 .LBB72_23
	s_branch .LBB72_20
.LBB72_24:                              ;   in Loop: Header=BB72_8 Depth=1
	s_or_b32 exec_lo, exec_lo, s7
.LBB72_25:                              ;   in Loop: Header=BB72_8 Depth=1
	s_delay_alu instid0(SALU_CYCLE_1)
	s_mov_b32 s0, exec_lo
	s_wait_dscnt 0x0
	s_barrier_signal -1
	s_barrier_wait -1
	v_cmpx_gt_u32_e64 s34, v0
	s_cbranch_execz .LBB72_7
; %bb.26:                               ;   in Loop: Header=BB72_8 Depth=1
	v_dual_mov_b32 v8, v13 :: v_dual_mov_b32 v9, v12
	v_mov_b32_e32 v10, v0
	s_mov_b32 s1, 0
.LBB72_27:                              ;   Parent Loop BB72_8 Depth=1
                                        ; =>  This Loop Header: Depth=2
                                        ;       Child Loop BB72_28 Depth 3
	v_mov_b64_e32 v[6:7], 0
	s_delay_alu instid0(VALU_DEP_3) | instskip(NEXT) | instid1(VALU_DEP_3)
	v_dual_mov_b32 v11, v8 :: v_dual_mov_b32 v14, v9
	v_mov_b32_e32 v15, v10
	s_mov_b32 s7, 0
.LBB72_28:                              ;   Parent Loop BB72_8 Depth=1
                                        ;     Parent Loop BB72_27 Depth=2
                                        ; =>    This Inner Loop Header: Depth=3
	ds_load_b64 v[16:17], v14
	ds_load_b64 v[18:19], v11
	v_dual_add_nc_u32 v15, 1, v15 :: v_dual_add_nc_u32 v14, s33, v14
	v_add_nc_u32_e32 v11, 8, v11
	s_delay_alu instid0(VALU_DEP_2)
	v_cmp_le_u32_e32 vcc_lo, s34, v15
	s_or_b32 s7, vcc_lo, s7
	s_wait_dscnt 0x0
	v_fmac_f64_e32 v[6:7], v[16:17], v[18:19]
	s_and_not1_b32 exec_lo, exec_lo, s7
	s_cbranch_execnz .LBB72_28
; %bb.29:                               ;   in Loop: Header=BB72_27 Depth=2
	s_or_b32 exec_lo, exec_lo, s7
	v_lshl_add_u32 v11, v10, 3, s38
	v_dual_add_nc_u32 v10, s19, v10 :: v_dual_add_nc_u32 v9, s37, v9
	v_add_nc_u32_e32 v8, s8, v8
	ds_store_b64 v11, v[6:7]
	v_cmp_le_u32_e32 vcc_lo, s34, v10
	s_or_b32 s1, vcc_lo, s1
	s_delay_alu instid0(SALU_CYCLE_1)
	s_and_not1_b32 exec_lo, exec_lo, s1
	s_cbranch_execnz .LBB72_27
	s_branch .LBB72_7
.LBB72_30:
	s_and_saveexec_b32 s0, s2
	s_cbranch_execz .LBB72_35
; %bb.31:
	v_add_nc_u32_e32 v3, 8, v2
	s_lshl_b32 s1, s18, 3
	s_add_co_i32 s0, s3, 1
	s_add_co_i32 s4, s1, 8
	s_mul_i32 s0, s0, s19
	v_mul_lo_u32 v3, s18, v3
	s_mov_b32 s2, 0
	s_mul_i32 s4, s4, s19
	s_delay_alu instid0(VALU_DEP_1)
	v_add3_u32 v2, v3, v2, 0
.LBB72_32:                              ; =>This Loop Header: Depth=1
                                        ;     Child Loop BB72_33 Depth 2
	s_delay_alu instid0(VALU_DEP_1)
	v_dual_mov_b32 v3, v2 :: v_dual_mov_b32 v4, v1
	v_mov_b32_e32 v5, v0
	s_mov_b32 s5, 0
.LBB72_33:                              ;   Parent Loop BB72_32 Depth=1
                                        ; =>  This Inner Loop Header: Depth=2
	ds_load_b64 v[6:7], v3
	v_dual_add_nc_u32 v5, 1, v5 :: v_dual_add_nc_u32 v3, s1, v3
	s_delay_alu instid0(VALU_DEP_1)
	v_cmp_le_i32_e32 vcc_lo, s18, v5
	s_or_b32 s5, vcc_lo, s5
	s_wait_dscnt 0x0
	global_store_b64 v4, v[6:7], s[10:11] scale_offset
	s_wait_xcnt 0x0
	v_add_nc_u32_e32 v4, s3, v4
	s_and_not1_b32 exec_lo, exec_lo, s5
	s_cbranch_execnz .LBB72_33
; %bb.34:                               ;   in Loop: Header=BB72_32 Depth=1
	s_or_b32 exec_lo, exec_lo, s5
	v_dual_add_nc_u32 v0, s19, v0 :: v_dual_add_nc_u32 v1, s0, v1
	v_add_nc_u32_e32 v2, s4, v2
	s_delay_alu instid0(VALU_DEP_2) | instskip(SKIP_1) | instid1(SALU_CYCLE_1)
	v_cmp_le_i32_e32 vcc_lo, s18, v0
	s_or_b32 s2, vcc_lo, s2
	s_and_not1_b32 exec_lo, exec_lo, s2
	s_cbranch_execnz .LBB72_32
.LBB72_35:
	s_endpgm
	.section	.rodata,"a",@progbits
	.p2align	6, 0x0
	.amdhsa_kernel _ZN9rocsolver6v33100L20larft_kernel_forwardIdPdEEv15rocblas_storev_iiT0_iilPT_lS6_il
		.amdhsa_group_segment_fixed_size 0
		.amdhsa_private_segment_fixed_size 0
		.amdhsa_kernarg_size 336
		.amdhsa_user_sgpr_count 2
		.amdhsa_user_sgpr_dispatch_ptr 0
		.amdhsa_user_sgpr_queue_ptr 0
		.amdhsa_user_sgpr_kernarg_segment_ptr 1
		.amdhsa_user_sgpr_dispatch_id 0
		.amdhsa_user_sgpr_kernarg_preload_length 0
		.amdhsa_user_sgpr_kernarg_preload_offset 0
		.amdhsa_user_sgpr_private_segment_size 0
		.amdhsa_wavefront_size32 1
		.amdhsa_uses_dynamic_stack 0
		.amdhsa_enable_private_segment 0
		.amdhsa_system_sgpr_workgroup_id_x 1
		.amdhsa_system_sgpr_workgroup_id_y 1
		.amdhsa_system_sgpr_workgroup_id_z 0
		.amdhsa_system_sgpr_workgroup_info 0
		.amdhsa_system_vgpr_workitem_id 0
		.amdhsa_next_free_vgpr 20
		.amdhsa_next_free_sgpr 44
		.amdhsa_named_barrier_count 0
		.amdhsa_reserve_vcc 1
		.amdhsa_float_round_mode_32 0
		.amdhsa_float_round_mode_16_64 0
		.amdhsa_float_denorm_mode_32 3
		.amdhsa_float_denorm_mode_16_64 3
		.amdhsa_fp16_overflow 0
		.amdhsa_memory_ordered 1
		.amdhsa_forward_progress 1
		.amdhsa_inst_pref_size 12
		.amdhsa_round_robin_scheduling 0
		.amdhsa_exception_fp_ieee_invalid_op 0
		.amdhsa_exception_fp_denorm_src 0
		.amdhsa_exception_fp_ieee_div_zero 0
		.amdhsa_exception_fp_ieee_overflow 0
		.amdhsa_exception_fp_ieee_underflow 0
		.amdhsa_exception_fp_ieee_inexact 0
		.amdhsa_exception_int_div_zero 0
	.end_amdhsa_kernel
	.section	.text._ZN9rocsolver6v33100L20larft_kernel_forwardIdPdEEv15rocblas_storev_iiT0_iilPT_lS6_il,"axG",@progbits,_ZN9rocsolver6v33100L20larft_kernel_forwardIdPdEEv15rocblas_storev_iiT0_iilPT_lS6_il,comdat
.Lfunc_end72:
	.size	_ZN9rocsolver6v33100L20larft_kernel_forwardIdPdEEv15rocblas_storev_iiT0_iilPT_lS6_il, .Lfunc_end72-_ZN9rocsolver6v33100L20larft_kernel_forwardIdPdEEv15rocblas_storev_iiT0_iilPT_lS6_il
                                        ; -- End function
	.set _ZN9rocsolver6v33100L20larft_kernel_forwardIdPdEEv15rocblas_storev_iiT0_iilPT_lS6_il.num_vgpr, 20
	.set _ZN9rocsolver6v33100L20larft_kernel_forwardIdPdEEv15rocblas_storev_iiT0_iilPT_lS6_il.num_agpr, 0
	.set _ZN9rocsolver6v33100L20larft_kernel_forwardIdPdEEv15rocblas_storev_iiT0_iilPT_lS6_il.numbered_sgpr, 44
	.set _ZN9rocsolver6v33100L20larft_kernel_forwardIdPdEEv15rocblas_storev_iiT0_iilPT_lS6_il.num_named_barrier, 0
	.set _ZN9rocsolver6v33100L20larft_kernel_forwardIdPdEEv15rocblas_storev_iiT0_iilPT_lS6_il.private_seg_size, 0
	.set _ZN9rocsolver6v33100L20larft_kernel_forwardIdPdEEv15rocblas_storev_iiT0_iilPT_lS6_il.uses_vcc, 1
	.set _ZN9rocsolver6v33100L20larft_kernel_forwardIdPdEEv15rocblas_storev_iiT0_iilPT_lS6_il.uses_flat_scratch, 0
	.set _ZN9rocsolver6v33100L20larft_kernel_forwardIdPdEEv15rocblas_storev_iiT0_iilPT_lS6_il.has_dyn_sized_stack, 0
	.set _ZN9rocsolver6v33100L20larft_kernel_forwardIdPdEEv15rocblas_storev_iiT0_iilPT_lS6_il.has_recursion, 0
	.set _ZN9rocsolver6v33100L20larft_kernel_forwardIdPdEEv15rocblas_storev_iiT0_iilPT_lS6_il.has_indirect_call, 0
	.section	.AMDGPU.csdata,"",@progbits
; Kernel info:
; codeLenInByte = 1480
; TotalNumSgprs: 46
; NumVgprs: 20
; ScratchSize: 0
; MemoryBound: 0
; FloatMode: 240
; IeeeMode: 1
; LDSByteSize: 0 bytes/workgroup (compile time only)
; SGPRBlocks: 0
; VGPRBlocks: 1
; NumSGPRsForWavesPerEU: 46
; NumVGPRsForWavesPerEU: 20
; NamedBarCnt: 0
; Occupancy: 16
; WaveLimiterHint : 0
; COMPUTE_PGM_RSRC2:SCRATCH_EN: 0
; COMPUTE_PGM_RSRC2:USER_SGPR: 2
; COMPUTE_PGM_RSRC2:TRAP_HANDLER: 0
; COMPUTE_PGM_RSRC2:TGID_X_EN: 1
; COMPUTE_PGM_RSRC2:TGID_Y_EN: 1
; COMPUTE_PGM_RSRC2:TGID_Z_EN: 0
; COMPUTE_PGM_RSRC2:TIDIG_COMP_CNT: 0
	.section	.text._ZN9rocsolver6v33100L21larft_kernel_backwardIdPdEEv15rocblas_storev_iiT0_iilPT_lS6_il,"axG",@progbits,_ZN9rocsolver6v33100L21larft_kernel_backwardIdPdEEv15rocblas_storev_iiT0_iilPT_lS6_il,comdat
	.globl	_ZN9rocsolver6v33100L21larft_kernel_backwardIdPdEEv15rocblas_storev_iiT0_iilPT_lS6_il ; -- Begin function _ZN9rocsolver6v33100L21larft_kernel_backwardIdPdEEv15rocblas_storev_iiT0_iilPT_lS6_il
	.p2align	8
	.type	_ZN9rocsolver6v33100L21larft_kernel_backwardIdPdEEv15rocblas_storev_iiT0_iilPT_lS6_il,@function
_ZN9rocsolver6v33100L21larft_kernel_backwardIdPdEEv15rocblas_storev_iiT0_iilPT_lS6_il: ; @_ZN9rocsolver6v33100L21larft_kernel_backwardIdPdEEv15rocblas_storev_iiT0_iilPT_lS6_il
; %bb.0:
	s_clause 0x4
	s_load_b32 s2, s[0:1], 0x5c
	s_load_b96 s[16:18], s[0:1], 0x0
	s_load_b64 s[12:13], s[0:1], 0x48
	s_load_b256 s[4:11], s[0:1], 0x20
	s_load_b32 s3, s[0:1], 0x40
	s_bfe_u32 s14, ttmp6, 0x40010
	s_bfe_u32 s15, ttmp6, 0x40004
	s_add_co_i32 s14, s14, 1
	s_getreg_b32 s20, hwreg(HW_REG_IB_STS2, 6, 4)
	s_mul_i32 s14, ttmp7, s14
	v_dual_add_nc_u32 v1, 1, v0 :: v_dual_lshlrev_b32 v2, 3, v0
	s_add_co_i32 s15, s15, s14
	s_wait_kmcnt 0x0
	s_and_b32 s19, s2, 0xffff
	s_cmp_eq_u32 s20, 0
	v_cmp_gt_i32_e64 s2, s18, v0
	s_cselect_b32 s20, ttmp7, s15
	s_delay_alu instid0(SALU_CYCLE_1) | instskip(NEXT) | instid1(SALU_CYCLE_1)
	s_ashr_i32 s21, s20, 31
	s_mul_u64 s[12:13], s[12:13], s[20:21]
	s_delay_alu instid0(SALU_CYCLE_1)
	s_lshl_b64 s[14:15], s[12:13], 3
	s_mov_b32 s12, 0
	s_add_nc_u64 s[10:11], s[10:11], s[14:15]
	s_and_saveexec_b32 s13, s2
	s_cbranch_execz .LBB73_5
; %bb.1:
	s_lshl_b32 s14, s18, 3
	v_dual_add_nc_u32 v3, 1, v0 :: v_dual_mov_b32 v5, v0
	v_add3_u32 v4, 0, s14, v2
	s_lshl_b32 s15, s19, 3
.LBB73_2:                               ; =>This Loop Header: Depth=1
                                        ;     Child Loop BB73_3 Depth 2
	s_delay_alu instid0(VALU_DEP_1)
	v_dual_mov_b32 v6, v5 :: v_dual_mov_b32 v7, v4
	s_mov_b32 s22, 0
	s_mov_b32 s23, 0
.LBB73_3:                               ;   Parent Loop BB73_2 Depth=1
                                        ; =>  This Inner Loop Header: Depth=2
	global_load_b64 v[8:9], v6, s[10:11] scale_offset
	s_add_co_i32 s23, s23, 1
	s_wait_xcnt 0x0
	v_add_nc_u32_e32 v6, s3, v6
	v_cmp_eq_u32_e32 vcc_lo, s23, v3
	s_or_b32 s22, vcc_lo, s22
	s_wait_loadcnt 0x0
	ds_store_b64 v7, v[8:9]
	v_add_nc_u32_e32 v7, s14, v7
	s_and_not1_b32 exec_lo, exec_lo, s22
	s_cbranch_execnz .LBB73_3
; %bb.4:                                ;   in Loop: Header=BB73_2 Depth=1
	s_or_b32 exec_lo, exec_lo, s22
	v_dual_add_nc_u32 v5, s19, v5 :: v_dual_add_nc_u32 v3, s19, v3
	v_add_nc_u32_e32 v4, s15, v4
	s_delay_alu instid0(VALU_DEP_2) | instskip(SKIP_1) | instid1(SALU_CYCLE_1)
	v_cmp_le_i32_e32 vcc_lo, s18, v5
	s_or_b32 s12, vcc_lo, s12
	s_and_not1_b32 exec_lo, exec_lo, s12
	s_cbranch_execnz .LBB73_2
.LBB73_5:
	s_or_b32 exec_lo, exec_lo, s13
	s_cmp_lt_i32 s18, 2
	s_wait_dscnt 0x0
	s_barrier_signal -1
	s_barrier_wait -1
	s_cbranch_scc1 .LBB73_30
; %bb.6:
	s_load_b128 s[12:15], s[0:1], 0x10
	s_wait_xcnt 0x0
	s_mul_u64 s[0:1], s[8:9], s[20:21]
	s_lshl_b32 s33, s18, 3
	s_lshl_b64 s[0:1], s[0:1], 3
	s_add_co_i32 s8, s18, -2
	s_sub_co_i32 s34, s17, s18
	s_add_co_i32 s35, s33, 0
	s_add_nc_u64 s[6:7], s[6:7], s[0:1]
	s_mov_b32 s9, 0
	s_mul_u64 s[20:21], s[4:5], s[20:21]
	v_mov_b32_e32 v3, 0
	s_mov_b32 s5, s9
	s_wait_kmcnt 0x0
	s_ashr_i32 s1, s14, 31
	s_mov_b32 s0, s14
	s_cmp_lg_u32 s16, 0xb5
	v_mul_lo_u32 v12, v0, s15
	s_cselect_b32 s14, -1, 0
	s_add_co_i32 s36, s17, -2
	s_lshl_b64 s[16:17], s[20:21], 3
	s_lshl_b64 s[0:1], s[0:1], 3
	s_lshl_b64 s[20:21], s[8:9], 3
	s_add_nc_u64 s[0:1], s[16:17], s[0:1]
	s_add_nc_u64 s[16:17], s[12:13], s[20:21]
	s_add_co_i32 s24, s33, 8
	s_add_nc_u64 s[16:17], s[16:17], s[0:1]
	s_mov_b32 s22, s15
	v_add_nc_u64_e32 v[4:5], s[16:17], v[2:3]
	s_ashr_i32 s23, s15, 31
	s_mul_i32 s24, s18, s24
	s_lshl_b64 s[16:17], s[22:23], 3
	s_add_nc_u64 s[22:23], s[0:1], s[20:21]
	s_add_nc_u64 s[20:21], s[12:13], s[0:1]
	s_add_co_i32 s0, s24, 0
	v_add_nc_u64_e32 v[4:5], 8, v[4:5]
	v_add3_u32 v3, s0, v2, -8
	s_add_co_i32 s9, s18, -1
	s_lshl_b32 s4, s19, 3
	s_add_nc_u64 s[12:13], s[12:13], s[22:23]
	s_mul_i32 s22, s15, s9
	s_mul_i32 s9, s15, s19
	;; [unrolled: 1-line block ×3, first 2 shown]
	s_xor_b32 s37, s33, -8
	s_branch .LBB73_8
.LBB73_7:                               ;   in Loop: Header=BB73_8 Depth=1
	s_or_b32 exec_lo, exec_lo, s0
	v_add_nc_u64_e32 v[4:5], -8, v[4:5]
	v_add_nc_u32_e32 v3, s37, v3
	s_add_co_i32 s0, s8, -1
	s_add_co_i32 s36, s36, -1
	s_sub_co_i32 s22, s22, s15
	s_sub_co_i32 s24, s24, s15
	s_add_nc_u64 s[12:13], s[12:13], -8
	s_cmp_lt_i32 s8, 1
	s_mov_b32 s8, s0
	s_wait_dscnt 0x0
	s_barrier_signal -1
	s_barrier_wait -1
	s_cbranch_scc1 .LBB73_30
.LBB73_8:                               ; =>This Loop Header: Depth=1
                                        ;     Child Loop BB73_12 Depth 2
                                        ;       Child Loop BB73_14 Depth 3
                                        ;     Child Loop BB73_21 Depth 2
                                        ;       Child Loop BB73_23 Depth 3
	;; [unrolled: 2-line block ×3, first 2 shown]
	s_not_b32 s0, s8
	s_lshl_b32 s1, s8, 3
	s_add_co_i32 s38, s18, s0
	s_mul_i32 s0, s8, s18
	s_add_co_i32 s39, s35, s1
	s_lshl_b32 s0, s0, 3
	s_add_co_i32 s28, s8, s34
	s_add_co_i32 s39, s39, s0
	v_cmp_gt_i32_e64 s0, s38, v0
	s_and_b32 vcc_lo, exec_lo, s14
	s_mov_b32 s1, -1
	s_cbranch_vccz .LBB73_16
; %bb.9:                                ;   in Loop: Header=BB73_8 Depth=1
	s_and_saveexec_b32 s23, s0
	s_cbranch_execz .LBB73_15
; %bb.10:                               ;   in Loop: Header=BB73_8 Depth=1
	s_load_b64 s[0:1], s[6:7], s8 offset:0x0 scale_offset
	v_mov_b64_e32 v[6:7], v[4:5]
	v_mov_b32_e32 v10, v0
	s_cmp_gt_i32 s28, 0
	s_mov_b32 s29, 0
	s_cselect_b32 s25, -1, 0
	s_branch .LBB73_12
.LBB73_11:                              ;   in Loop: Header=BB73_12 Depth=2
	v_dual_lshlrev_b32 v11, 3, v10 :: v_dual_add_nc_u32 v10, s19, v10
	v_add_nc_u64_e32 v[6:7], s[4:5], v[6:7]
	s_delay_alu instid0(VALU_DEP_2) | instskip(NEXT) | instid1(VALU_DEP_3)
	v_add_nc_u32_e32 v13, s39, v11
	v_cmp_le_i32_e32 vcc_lo, s38, v10
	s_wait_xcnt 0x0
	ds_load_b64 v[14:15], v13 offset:8
	s_or_b32 s29, vcc_lo, s29
	s_wait_dscnt 0x0
	s_wait_kmcnt 0x0
	v_fmac_f64_e32 v[14:15], s[0:1], v[8:9]
	v_add_nc_u32_e32 v8, 0, v11
	ds_store_b64 v8, v[14:15]
	s_and_not1_b32 exec_lo, exec_lo, s29
	s_cbranch_execz .LBB73_15
.LBB73_12:                              ;   Parent Loop BB73_8 Depth=1
                                        ; =>  This Loop Header: Depth=2
                                        ;       Child Loop BB73_14 Depth 3
	v_mov_b64_e32 v[8:9], 0
	s_and_not1_b32 vcc_lo, exec_lo, s25
	s_cbranch_vccnz .LBB73_11
; %bb.13:                               ;   in Loop: Header=BB73_12 Depth=2
	s_mov_b32 s30, 0
	s_mov_b64 s[26:27], 0
.LBB73_14:                              ;   Parent Loop BB73_8 Depth=1
                                        ;     Parent Loop BB73_12 Depth=2
                                        ; =>    This Inner Loop Header: Depth=3
	s_wait_xcnt 0x0
	v_add_nc_u64_e32 v[14:15], s[26:27], v[6:7]
	s_add_nc_u64 s[40:41], s[12:13], s[26:27]
	s_add_co_i32 s30, s30, 1
	s_load_b64 s[40:41], s[40:41], 0x0
	s_cmp_eq_u32 s36, s30
	s_add_nc_u64 s[26:27], s[26:27], s[16:17]
	global_load_b64 v[14:15], v[14:15], off
	s_wait_loadcnt 0x0
	s_wait_kmcnt 0x0
	v_fmac_f64_e32 v[8:9], s[40:41], v[14:15]
	s_cbranch_scc0 .LBB73_14
	s_branch .LBB73_11
.LBB73_15:                              ;   in Loop: Header=BB73_8 Depth=1
	s_or_b32 exec_lo, exec_lo, s23
	s_mov_b32 s1, 0
.LBB73_16:                              ;   in Loop: Header=BB73_8 Depth=1
	s_delay_alu instid0(SALU_CYCLE_1)
	s_and_not1_b32 vcc_lo, exec_lo, s1
	s_cbranch_vccnz .LBB73_25
; %bb.17:                               ;   in Loop: Header=BB73_8 Depth=1
	s_mov_b32 s40, exec_lo
	v_cmpx_gt_i32_e64 s38, v0
	s_cbranch_execz .LBB73_24
; %bb.18:                               ;   in Loop: Header=BB73_8 Depth=1
	s_load_b64 s[0:1], s[6:7], s8 offset:0x0 scale_offset
	s_ashr_i32 s23, s22, 31
	s_ashr_i32 s25, s24, 31
	s_lshl_b64 s[30:31], s[22:23], 3
	s_lshl_b64 s[26:27], s[24:25], 3
	v_dual_mov_b32 v6, v12 :: v_dual_mov_b32 v13, v0
	s_cmp_gt_i32 s28, 0
	s_add_nc_u64 s[26:27], s[20:21], s[26:27]
	s_cselect_b32 s23, -1, 0
	s_mov_b32 s25, 0
	s_add_nc_u64 s[28:29], s[20:21], s[30:31]
	s_branch .LBB73_21
.LBB73_19:                              ;   in Loop: Header=BB73_21 Depth=2
	v_mov_b64_e32 v[8:9], 0
.LBB73_20:                              ;   in Loop: Header=BB73_21 Depth=2
	v_dual_lshlrev_b32 v7, 3, v13 :: v_dual_add_nc_u32 v13, s19, v13
	s_delay_alu instid0(VALU_DEP_1) | instskip(SKIP_1) | instid1(VALU_DEP_3)
	v_dual_add_nc_u32 v6, s9, v6 :: v_dual_add_nc_u32 v10, s39, v7
	v_add_nc_u32_e32 v7, 0, v7
	v_cmp_le_i32_e32 vcc_lo, s38, v13
	ds_load_b64 v[10:11], v10 offset:8
	s_or_b32 s25, vcc_lo, s25
	s_wait_dscnt 0x0
	s_wait_kmcnt 0x0
	v_fmac_f64_e32 v[10:11], s[0:1], v[8:9]
	ds_store_b64 v7, v[10:11]
	s_and_not1_b32 exec_lo, exec_lo, s25
	s_cbranch_execz .LBB73_24
.LBB73_21:                              ;   Parent Loop BB73_8 Depth=1
                                        ; =>  This Loop Header: Depth=2
                                        ;       Child Loop BB73_23 Depth 3
	s_and_not1_b32 vcc_lo, exec_lo, s23
	s_cbranch_vccnz .LBB73_19
; %bb.22:                               ;   in Loop: Header=BB73_21 Depth=2
	v_ashrrev_i32_e32 v7, 31, v6
	v_mov_b64_e32 v[8:9], 0
	s_mov_b32 s41, 0
	s_mov_b64 s[30:31], s[26:27]
	s_delay_alu instid0(VALU_DEP_2)
	v_lshl_add_u64 v[10:11], v[6:7], 3, s[28:29]
.LBB73_23:                              ;   Parent Loop BB73_8 Depth=1
                                        ;     Parent Loop BB73_21 Depth=2
                                        ; =>    This Inner Loop Header: Depth=3
	global_load_b64 v[14:15], v[10:11], off
	s_load_b64 s[42:43], s[30:31], 0x0
	v_add_nc_u64_e32 v[10:11], 8, v[10:11]
	s_add_co_i32 s41, s41, 1
	s_wait_xcnt 0x0
	s_add_nc_u64 s[30:31], s[30:31], 8
	s_cmp_eq_u32 s36, s41
	s_wait_loadcnt 0x0
	s_wait_kmcnt 0x0
	v_fmac_f64_e32 v[8:9], s[42:43], v[14:15]
	s_cbranch_scc0 .LBB73_23
	s_branch .LBB73_20
.LBB73_24:                              ;   in Loop: Header=BB73_8 Depth=1
	s_or_b32 exec_lo, exec_lo, s40
.LBB73_25:                              ;   in Loop: Header=BB73_8 Depth=1
	s_delay_alu instid0(SALU_CYCLE_1)
	s_mov_b32 s0, exec_lo
	s_wait_dscnt 0x0
	s_barrier_signal -1
	s_barrier_wait -1
	v_cmpx_gt_i32_e64 s38, v0
	s_cbranch_execz .LBB73_7
; %bb.26:                               ;   in Loop: Header=BB73_8 Depth=1
	v_dual_mov_b32 v8, v3 :: v_dual_mov_b32 v9, v0
	s_mov_b32 s1, 0
.LBB73_27:                              ;   Parent Loop BB73_8 Depth=1
                                        ; =>  This Loop Header: Depth=2
                                        ;       Child Loop BB73_28 Depth 3
	v_mov_b64_e32 v[6:7], 0
	s_delay_alu instid0(VALU_DEP_2)
	v_mov_b32_e32 v10, v8
	s_mov_b32 s25, -1
	s_mov_b32 s23, 0
	s_mov_b32 s26, 0
.LBB73_28:                              ;   Parent Loop BB73_8 Depth=1
                                        ;     Parent Loop BB73_27 Depth=2
                                        ; =>    This Inner Loop Header: Depth=3
	s_delay_alu instid0(SALU_CYCLE_1)
	v_mov_b32_e32 v11, s26
	s_add_co_i32 s25, s25, 1
	s_add_co_i32 s26, s26, 8
	v_cmp_eq_u32_e32 vcc_lo, s25, v9
	ds_load_b64 v[14:15], v10
	ds_load_b64 v[16:17], v11
	v_add_nc_u32_e32 v10, s33, v10
	s_or_b32 s23, vcc_lo, s23
	s_wait_dscnt 0x0
	v_fmac_f64_e32 v[6:7], v[14:15], v[16:17]
	s_and_not1_b32 exec_lo, exec_lo, s23
	s_cbranch_execnz .LBB73_28
; %bb.29:                               ;   in Loop: Header=BB73_27 Depth=2
	s_or_b32 exec_lo, exec_lo, s23
	v_lshl_add_u32 v10, v9, 3, s39
	v_dual_add_nc_u32 v9, s19, v9 :: v_dual_add_nc_u32 v8, s4, v8
	ds_store_b64 v10, v[6:7] offset:8
	v_cmp_le_i32_e32 vcc_lo, s38, v9
	s_or_b32 s1, vcc_lo, s1
	s_delay_alu instid0(SALU_CYCLE_1)
	s_and_not1_b32 exec_lo, exec_lo, s1
	s_cbranch_execnz .LBB73_27
	s_branch .LBB73_7
.LBB73_30:
	s_and_saveexec_b32 s0, s2
	s_cbranch_execz .LBB73_35
; %bb.31:
	s_lshl_b32 s0, s18, 3
	s_mov_b32 s1, 0
	v_add3_u32 v2, 0, s0, v2
	s_lshl_b32 s2, s19, 3
.LBB73_32:                              ; =>This Loop Header: Depth=1
                                        ;     Child Loop BB73_33 Depth 2
	s_delay_alu instid0(VALU_DEP_1)
	v_dual_mov_b32 v3, v2 :: v_dual_mov_b32 v4, v0
	s_mov_b32 s4, 0
	s_mov_b32 s5, 0
.LBB73_33:                              ;   Parent Loop BB73_32 Depth=1
                                        ; =>  This Inner Loop Header: Depth=2
	ds_load_b64 v[6:7], v3
	s_add_co_i32 s5, s5, 1
	v_add_nc_u32_e32 v3, s0, v3
	v_cmp_eq_u32_e32 vcc_lo, s5, v1
	s_or_b32 s4, vcc_lo, s4
	s_wait_dscnt 0x0
	global_store_b64 v4, v[6:7], s[10:11] scale_offset
	s_wait_xcnt 0x0
	v_add_nc_u32_e32 v4, s3, v4
	s_and_not1_b32 exec_lo, exec_lo, s4
	s_cbranch_execnz .LBB73_33
; %bb.34:                               ;   in Loop: Header=BB73_32 Depth=1
	s_or_b32 exec_lo, exec_lo, s4
	v_dual_add_nc_u32 v0, s19, v0 :: v_dual_add_nc_u32 v1, s19, v1
	v_add_nc_u32_e32 v2, s2, v2
	s_delay_alu instid0(VALU_DEP_2) | instskip(SKIP_1) | instid1(SALU_CYCLE_1)
	v_cmp_le_i32_e32 vcc_lo, s18, v0
	s_or_b32 s1, vcc_lo, s1
	s_and_not1_b32 exec_lo, exec_lo, s1
	s_cbranch_execnz .LBB73_32
.LBB73_35:
	s_endpgm
	.section	.rodata,"a",@progbits
	.p2align	6, 0x0
	.amdhsa_kernel _ZN9rocsolver6v33100L21larft_kernel_backwardIdPdEEv15rocblas_storev_iiT0_iilPT_lS6_il
		.amdhsa_group_segment_fixed_size 0
		.amdhsa_private_segment_fixed_size 0
		.amdhsa_kernarg_size 336
		.amdhsa_user_sgpr_count 2
		.amdhsa_user_sgpr_dispatch_ptr 0
		.amdhsa_user_sgpr_queue_ptr 0
		.amdhsa_user_sgpr_kernarg_segment_ptr 1
		.amdhsa_user_sgpr_dispatch_id 0
		.amdhsa_user_sgpr_kernarg_preload_length 0
		.amdhsa_user_sgpr_kernarg_preload_offset 0
		.amdhsa_user_sgpr_private_segment_size 0
		.amdhsa_wavefront_size32 1
		.amdhsa_uses_dynamic_stack 0
		.amdhsa_enable_private_segment 0
		.amdhsa_system_sgpr_workgroup_id_x 1
		.amdhsa_system_sgpr_workgroup_id_y 1
		.amdhsa_system_sgpr_workgroup_id_z 0
		.amdhsa_system_sgpr_workgroup_info 0
		.amdhsa_system_vgpr_workitem_id 0
		.amdhsa_next_free_vgpr 18
		.amdhsa_next_free_sgpr 44
		.amdhsa_named_barrier_count 0
		.amdhsa_reserve_vcc 1
		.amdhsa_float_round_mode_32 0
		.amdhsa_float_round_mode_16_64 0
		.amdhsa_float_denorm_mode_32 3
		.amdhsa_float_denorm_mode_16_64 3
		.amdhsa_fp16_overflow 0
		.amdhsa_memory_ordered 1
		.amdhsa_forward_progress 1
		.amdhsa_inst_pref_size 12
		.amdhsa_round_robin_scheduling 0
		.amdhsa_exception_fp_ieee_invalid_op 0
		.amdhsa_exception_fp_denorm_src 0
		.amdhsa_exception_fp_ieee_div_zero 0
		.amdhsa_exception_fp_ieee_overflow 0
		.amdhsa_exception_fp_ieee_underflow 0
		.amdhsa_exception_fp_ieee_inexact 0
		.amdhsa_exception_int_div_zero 0
	.end_amdhsa_kernel
	.section	.text._ZN9rocsolver6v33100L21larft_kernel_backwardIdPdEEv15rocblas_storev_iiT0_iilPT_lS6_il,"axG",@progbits,_ZN9rocsolver6v33100L21larft_kernel_backwardIdPdEEv15rocblas_storev_iiT0_iilPT_lS6_il,comdat
.Lfunc_end73:
	.size	_ZN9rocsolver6v33100L21larft_kernel_backwardIdPdEEv15rocblas_storev_iiT0_iilPT_lS6_il, .Lfunc_end73-_ZN9rocsolver6v33100L21larft_kernel_backwardIdPdEEv15rocblas_storev_iiT0_iilPT_lS6_il
                                        ; -- End function
	.set _ZN9rocsolver6v33100L21larft_kernel_backwardIdPdEEv15rocblas_storev_iiT0_iilPT_lS6_il.num_vgpr, 18
	.set _ZN9rocsolver6v33100L21larft_kernel_backwardIdPdEEv15rocblas_storev_iiT0_iilPT_lS6_il.num_agpr, 0
	.set _ZN9rocsolver6v33100L21larft_kernel_backwardIdPdEEv15rocblas_storev_iiT0_iilPT_lS6_il.numbered_sgpr, 44
	.set _ZN9rocsolver6v33100L21larft_kernel_backwardIdPdEEv15rocblas_storev_iiT0_iilPT_lS6_il.num_named_barrier, 0
	.set _ZN9rocsolver6v33100L21larft_kernel_backwardIdPdEEv15rocblas_storev_iiT0_iilPT_lS6_il.private_seg_size, 0
	.set _ZN9rocsolver6v33100L21larft_kernel_backwardIdPdEEv15rocblas_storev_iiT0_iilPT_lS6_il.uses_vcc, 1
	.set _ZN9rocsolver6v33100L21larft_kernel_backwardIdPdEEv15rocblas_storev_iiT0_iilPT_lS6_il.uses_flat_scratch, 0
	.set _ZN9rocsolver6v33100L21larft_kernel_backwardIdPdEEv15rocblas_storev_iiT0_iilPT_lS6_il.has_dyn_sized_stack, 0
	.set _ZN9rocsolver6v33100L21larft_kernel_backwardIdPdEEv15rocblas_storev_iiT0_iilPT_lS6_il.has_recursion, 0
	.set _ZN9rocsolver6v33100L21larft_kernel_backwardIdPdEEv15rocblas_storev_iiT0_iilPT_lS6_il.has_indirect_call, 0
	.section	.AMDGPU.csdata,"",@progbits
; Kernel info:
; codeLenInByte = 1428
; TotalNumSgprs: 46
; NumVgprs: 18
; ScratchSize: 0
; MemoryBound: 0
; FloatMode: 240
; IeeeMode: 1
; LDSByteSize: 0 bytes/workgroup (compile time only)
; SGPRBlocks: 0
; VGPRBlocks: 1
; NumSGPRsForWavesPerEU: 46
; NumVGPRsForWavesPerEU: 18
; NamedBarCnt: 0
; Occupancy: 16
; WaveLimiterHint : 0
; COMPUTE_PGM_RSRC2:SCRATCH_EN: 0
; COMPUTE_PGM_RSRC2:USER_SGPR: 2
; COMPUTE_PGM_RSRC2:TRAP_HANDLER: 0
; COMPUTE_PGM_RSRC2:TGID_X_EN: 1
; COMPUTE_PGM_RSRC2:TGID_Y_EN: 1
; COMPUTE_PGM_RSRC2:TGID_Z_EN: 0
; COMPUTE_PGM_RSRC2:TIDIG_COMP_CNT: 0
	.section	.text._ZN9rocsolver6v33100L9copymatA1IdPdEEviiT0_iilPT_,"axG",@progbits,_ZN9rocsolver6v33100L9copymatA1IdPdEEviiT0_iilPT_,comdat
	.globl	_ZN9rocsolver6v33100L9copymatA1IdPdEEviiT0_iilPT_ ; -- Begin function _ZN9rocsolver6v33100L9copymatA1IdPdEEviiT0_iilPT_
	.p2align	8
	.type	_ZN9rocsolver6v33100L9copymatA1IdPdEEviiT0_iilPT_,@function
_ZN9rocsolver6v33100L9copymatA1IdPdEEviiT0_iilPT_: ; @_ZN9rocsolver6v33100L9copymatA1IdPdEEviiT0_iilPT_
; %bb.0:
	s_clause 0x1
	s_load_b32 s2, s[0:1], 0x34
	s_load_b64 s[12:13], s[0:1], 0x0
	s_bfe_u32 s4, ttmp6, 0x40010
	s_bfe_u32 s7, ttmp6, 0x4000c
	s_and_b32 s3, ttmp7, 0xffff
	s_add_co_i32 s4, s4, 1
	s_add_co_i32 s7, s7, 1
	s_bfe_u32 s5, ttmp6, 0x40004
	s_and_b32 s6, ttmp6, 15
	s_mul_i32 s4, s3, s4
	s_mul_i32 s7, ttmp9, s7
	s_getreg_b32 s14, hwreg(HW_REG_IB_STS2, 6, 4)
	v_and_b32_e32 v1, 0x3ff, v0
	v_bfe_u32 v0, v0, 10, 10
	s_add_co_i32 s5, s5, s4
	s_add_co_i32 s6, s6, s7
	s_wait_kmcnt 0x0
	s_lshr_b32 s4, s2, 16
	s_and_b32 s2, s2, 0xffff
	s_cmp_eq_u32 s14, 0
	s_cselect_b32 s3, s3, s5
	s_cselect_b32 s5, ttmp9, s6
	v_mad_u32 v0, s3, s4, v0
	v_mad_u32 v1, s5, s2, v1
	s_mov_b32 s3, 0
	s_delay_alu instid0(VALU_DEP_2) | instskip(NEXT) | instid1(VALU_DEP_2)
	v_cmp_gt_u32_e32 vcc_lo, s12, v0
	v_cmp_gt_u32_e64 s2, s13, v1
	s_and_b32 s2, s2, vcc_lo
	s_delay_alu instid0(SALU_CYCLE_1)
	s_and_saveexec_b32 s4, s2
	s_cbranch_execz .LBB74_2
; %bb.1:
	s_load_b256 s[4:11], s[0:1], 0x8
	s_wait_xcnt 0x0
	s_bfe_u32 s0, ttmp6, 0x40014
	s_lshr_b32 s2, ttmp7, 16
	s_add_co_i32 s0, s0, 1
	s_bfe_u32 s16, ttmp6, 0x40008
	s_mul_i32 s0, s2, s0
	s_ashr_i32 s1, s12, 31
	s_ashr_i32 s15, s13, 31
	s_add_co_i32 s16, s16, s0
	s_cmp_eq_u32 s14, 0
	s_mov_b32 s0, s12
	s_cselect_b32 s2, s2, s16
	s_mov_b32 s14, s13
	s_mul_u64 s[0:1], s[0:1], s[2:3]
	s_delay_alu instid0(SALU_CYCLE_1) | instskip(NEXT) | instid1(SALU_CYCLE_1)
	s_mul_u64 s[0:1], s[0:1], s[14:15]
	s_lshl_b64 s[0:1], s[0:1], 3
	s_wait_kmcnt 0x0
	v_mad_u32 v2, v1, s7, v0
	s_mul_u64 s[8:9], s[8:9], s[2:3]
	s_ashr_i32 s7, s6, 31
	s_lshl_b64 s[8:9], s[8:9], 3
	s_lshl_b64 s[6:7], s[6:7], 3
	s_add_nc_u64 s[4:5], s[4:5], s[8:9]
	v_mad_u32 v0, v1, s12, v0
	s_add_nc_u64 s[4:5], s[4:5], s[6:7]
	s_add_nc_u64 s[0:1], s[10:11], s[0:1]
	global_load_b64 v[2:3], v2, s[4:5] scale_offset
	s_wait_loadcnt 0x0
	global_store_b64 v0, v[2:3], s[0:1] scale_offset
.LBB74_2:
	s_endpgm
	.section	.rodata,"a",@progbits
	.p2align	6, 0x0
	.amdhsa_kernel _ZN9rocsolver6v33100L9copymatA1IdPdEEviiT0_iilPT_
		.amdhsa_group_segment_fixed_size 0
		.amdhsa_private_segment_fixed_size 0
		.amdhsa_kernarg_size 296
		.amdhsa_user_sgpr_count 2
		.amdhsa_user_sgpr_dispatch_ptr 0
		.amdhsa_user_sgpr_queue_ptr 0
		.amdhsa_user_sgpr_kernarg_segment_ptr 1
		.amdhsa_user_sgpr_dispatch_id 0
		.amdhsa_user_sgpr_kernarg_preload_length 0
		.amdhsa_user_sgpr_kernarg_preload_offset 0
		.amdhsa_user_sgpr_private_segment_size 0
		.amdhsa_wavefront_size32 1
		.amdhsa_uses_dynamic_stack 0
		.amdhsa_enable_private_segment 0
		.amdhsa_system_sgpr_workgroup_id_x 1
		.amdhsa_system_sgpr_workgroup_id_y 1
		.amdhsa_system_sgpr_workgroup_id_z 1
		.amdhsa_system_sgpr_workgroup_info 0
		.amdhsa_system_vgpr_workitem_id 1
		.amdhsa_next_free_vgpr 4
		.amdhsa_next_free_sgpr 17
		.amdhsa_named_barrier_count 0
		.amdhsa_reserve_vcc 1
		.amdhsa_float_round_mode_32 0
		.amdhsa_float_round_mode_16_64 0
		.amdhsa_float_denorm_mode_32 3
		.amdhsa_float_denorm_mode_16_64 3
		.amdhsa_fp16_overflow 0
		.amdhsa_memory_ordered 1
		.amdhsa_forward_progress 1
		.amdhsa_inst_pref_size 3
		.amdhsa_round_robin_scheduling 0
		.amdhsa_exception_fp_ieee_invalid_op 0
		.amdhsa_exception_fp_denorm_src 0
		.amdhsa_exception_fp_ieee_div_zero 0
		.amdhsa_exception_fp_ieee_overflow 0
		.amdhsa_exception_fp_ieee_underflow 0
		.amdhsa_exception_fp_ieee_inexact 0
		.amdhsa_exception_int_div_zero 0
	.end_amdhsa_kernel
	.section	.text._ZN9rocsolver6v33100L9copymatA1IdPdEEviiT0_iilPT_,"axG",@progbits,_ZN9rocsolver6v33100L9copymatA1IdPdEEviiT0_iilPT_,comdat
.Lfunc_end74:
	.size	_ZN9rocsolver6v33100L9copymatA1IdPdEEviiT0_iilPT_, .Lfunc_end74-_ZN9rocsolver6v33100L9copymatA1IdPdEEviiT0_iilPT_
                                        ; -- End function
	.set _ZN9rocsolver6v33100L9copymatA1IdPdEEviiT0_iilPT_.num_vgpr, 4
	.set _ZN9rocsolver6v33100L9copymatA1IdPdEEviiT0_iilPT_.num_agpr, 0
	.set _ZN9rocsolver6v33100L9copymatA1IdPdEEviiT0_iilPT_.numbered_sgpr, 17
	.set _ZN9rocsolver6v33100L9copymatA1IdPdEEviiT0_iilPT_.num_named_barrier, 0
	.set _ZN9rocsolver6v33100L9copymatA1IdPdEEviiT0_iilPT_.private_seg_size, 0
	.set _ZN9rocsolver6v33100L9copymatA1IdPdEEviiT0_iilPT_.uses_vcc, 1
	.set _ZN9rocsolver6v33100L9copymatA1IdPdEEviiT0_iilPT_.uses_flat_scratch, 0
	.set _ZN9rocsolver6v33100L9copymatA1IdPdEEviiT0_iilPT_.has_dyn_sized_stack, 0
	.set _ZN9rocsolver6v33100L9copymatA1IdPdEEviiT0_iilPT_.has_recursion, 0
	.set _ZN9rocsolver6v33100L9copymatA1IdPdEEviiT0_iilPT_.has_indirect_call, 0
	.section	.AMDGPU.csdata,"",@progbits
; Kernel info:
; codeLenInByte = 344
; TotalNumSgprs: 19
; NumVgprs: 4
; ScratchSize: 0
; MemoryBound: 0
; FloatMode: 240
; IeeeMode: 1
; LDSByteSize: 0 bytes/workgroup (compile time only)
; SGPRBlocks: 0
; VGPRBlocks: 0
; NumSGPRsForWavesPerEU: 19
; NumVGPRsForWavesPerEU: 4
; NamedBarCnt: 0
; Occupancy: 16
; WaveLimiterHint : 0
; COMPUTE_PGM_RSRC2:SCRATCH_EN: 0
; COMPUTE_PGM_RSRC2:USER_SGPR: 2
; COMPUTE_PGM_RSRC2:TRAP_HANDLER: 0
; COMPUTE_PGM_RSRC2:TGID_X_EN: 1
; COMPUTE_PGM_RSRC2:TGID_Y_EN: 1
; COMPUTE_PGM_RSRC2:TGID_Z_EN: 1
; COMPUTE_PGM_RSRC2:TIDIG_COMP_CNT: 1
	.section	.text._ZN9rocsolver6v33100L8addmatA1IdPdEEviiT0_iilPT_,"axG",@progbits,_ZN9rocsolver6v33100L8addmatA1IdPdEEviiT0_iilPT_,comdat
	.globl	_ZN9rocsolver6v33100L8addmatA1IdPdEEviiT0_iilPT_ ; -- Begin function _ZN9rocsolver6v33100L8addmatA1IdPdEEviiT0_iilPT_
	.p2align	8
	.type	_ZN9rocsolver6v33100L8addmatA1IdPdEEviiT0_iilPT_,@function
_ZN9rocsolver6v33100L8addmatA1IdPdEEviiT0_iilPT_: ; @_ZN9rocsolver6v33100L8addmatA1IdPdEEviiT0_iilPT_
; %bb.0:
	s_clause 0x1
	s_load_b32 s2, s[0:1], 0x34
	s_load_b64 s[12:13], s[0:1], 0x0
	s_bfe_u32 s4, ttmp6, 0x40010
	s_bfe_u32 s7, ttmp6, 0x4000c
	s_and_b32 s3, ttmp7, 0xffff
	s_add_co_i32 s4, s4, 1
	s_add_co_i32 s7, s7, 1
	s_bfe_u32 s5, ttmp6, 0x40004
	s_and_b32 s6, ttmp6, 15
	s_mul_i32 s4, s3, s4
	s_mul_i32 s7, ttmp9, s7
	s_getreg_b32 s14, hwreg(HW_REG_IB_STS2, 6, 4)
	v_and_b32_e32 v1, 0x3ff, v0
	v_bfe_u32 v0, v0, 10, 10
	s_add_co_i32 s5, s5, s4
	s_add_co_i32 s6, s6, s7
	s_wait_kmcnt 0x0
	s_lshr_b32 s4, s2, 16
	s_and_b32 s2, s2, 0xffff
	s_cmp_eq_u32 s14, 0
	s_cselect_b32 s3, s3, s5
	s_cselect_b32 s5, ttmp9, s6
	v_mad_u32 v0, s3, s4, v0
	v_mad_u32 v1, s5, s2, v1
	s_mov_b32 s3, 0
	s_delay_alu instid0(VALU_DEP_2) | instskip(NEXT) | instid1(VALU_DEP_2)
	v_cmp_gt_u32_e32 vcc_lo, s12, v0
	v_cmp_gt_u32_e64 s2, s13, v1
	s_and_b32 s2, s2, vcc_lo
	s_delay_alu instid0(SALU_CYCLE_1)
	s_and_saveexec_b32 s4, s2
	s_cbranch_execz .LBB75_2
; %bb.1:
	s_load_b256 s[4:11], s[0:1], 0x8
	s_wait_xcnt 0x0
	s_bfe_u32 s0, ttmp6, 0x40014
	s_lshr_b32 s2, ttmp7, 16
	s_add_co_i32 s0, s0, 1
	s_bfe_u32 s16, ttmp6, 0x40008
	s_mul_i32 s0, s2, s0
	s_ashr_i32 s1, s12, 31
	s_ashr_i32 s15, s13, 31
	s_add_co_i32 s16, s16, s0
	s_cmp_eq_u32 s14, 0
	v_mad_u32 v4, v1, s12, v0
	s_mov_b32 s0, s12
	s_cselect_b32 s2, s2, s16
	s_mov_b32 s14, s13
	s_mul_u64 s[0:1], s[0:1], s[2:3]
	s_delay_alu instid0(SALU_CYCLE_1) | instskip(NEXT) | instid1(SALU_CYCLE_1)
	s_mul_u64 s[0:1], s[0:1], s[14:15]
	s_lshl_b64 s[0:1], s[0:1], 3
	s_wait_kmcnt 0x0
	v_mad_u32 v5, v1, s7, v0
	s_mul_u64 s[2:3], s[8:9], s[2:3]
	s_ashr_i32 s7, s6, 31
	s_lshl_b64 s[2:3], s[2:3], 3
	s_add_nc_u64 s[0:1], s[10:11], s[0:1]
	s_add_nc_u64 s[2:3], s[4:5], s[2:3]
	s_lshl_b64 s[4:5], s[6:7], 3
	s_delay_alu instid0(SALU_CYCLE_1)
	s_add_nc_u64 s[2:3], s[2:3], s[4:5]
	global_load_b64 v[0:1], v4, s[0:1] scale_offset
	global_load_b64 v[2:3], v5, s[2:3] scale_offset
	s_wait_loadcnt 0x0
	v_add_f64_e64 v[0:1], v[2:3], -v[0:1]
	global_store_b64 v5, v[0:1], s[2:3] scale_offset
.LBB75_2:
	s_endpgm
	.section	.rodata,"a",@progbits
	.p2align	6, 0x0
	.amdhsa_kernel _ZN9rocsolver6v33100L8addmatA1IdPdEEviiT0_iilPT_
		.amdhsa_group_segment_fixed_size 0
		.amdhsa_private_segment_fixed_size 0
		.amdhsa_kernarg_size 296
		.amdhsa_user_sgpr_count 2
		.amdhsa_user_sgpr_dispatch_ptr 0
		.amdhsa_user_sgpr_queue_ptr 0
		.amdhsa_user_sgpr_kernarg_segment_ptr 1
		.amdhsa_user_sgpr_dispatch_id 0
		.amdhsa_user_sgpr_kernarg_preload_length 0
		.amdhsa_user_sgpr_kernarg_preload_offset 0
		.amdhsa_user_sgpr_private_segment_size 0
		.amdhsa_wavefront_size32 1
		.amdhsa_uses_dynamic_stack 0
		.amdhsa_enable_private_segment 0
		.amdhsa_system_sgpr_workgroup_id_x 1
		.amdhsa_system_sgpr_workgroup_id_y 1
		.amdhsa_system_sgpr_workgroup_id_z 1
		.amdhsa_system_sgpr_workgroup_info 0
		.amdhsa_system_vgpr_workitem_id 1
		.amdhsa_next_free_vgpr 6
		.amdhsa_next_free_sgpr 17
		.amdhsa_named_barrier_count 0
		.amdhsa_reserve_vcc 1
		.amdhsa_float_round_mode_32 0
		.amdhsa_float_round_mode_16_64 0
		.amdhsa_float_denorm_mode_32 3
		.amdhsa_float_denorm_mode_16_64 3
		.amdhsa_fp16_overflow 0
		.amdhsa_memory_ordered 1
		.amdhsa_forward_progress 1
		.amdhsa_inst_pref_size 3
		.amdhsa_round_robin_scheduling 0
		.amdhsa_exception_fp_ieee_invalid_op 0
		.amdhsa_exception_fp_denorm_src 0
		.amdhsa_exception_fp_ieee_div_zero 0
		.amdhsa_exception_fp_ieee_overflow 0
		.amdhsa_exception_fp_ieee_underflow 0
		.amdhsa_exception_fp_ieee_inexact 0
		.amdhsa_exception_int_div_zero 0
	.end_amdhsa_kernel
	.section	.text._ZN9rocsolver6v33100L8addmatA1IdPdEEviiT0_iilPT_,"axG",@progbits,_ZN9rocsolver6v33100L8addmatA1IdPdEEviiT0_iilPT_,comdat
.Lfunc_end75:
	.size	_ZN9rocsolver6v33100L8addmatA1IdPdEEviiT0_iilPT_, .Lfunc_end75-_ZN9rocsolver6v33100L8addmatA1IdPdEEviiT0_iilPT_
                                        ; -- End function
	.set _ZN9rocsolver6v33100L8addmatA1IdPdEEviiT0_iilPT_.num_vgpr, 6
	.set _ZN9rocsolver6v33100L8addmatA1IdPdEEviiT0_iilPT_.num_agpr, 0
	.set _ZN9rocsolver6v33100L8addmatA1IdPdEEviiT0_iilPT_.numbered_sgpr, 17
	.set _ZN9rocsolver6v33100L8addmatA1IdPdEEviiT0_iilPT_.num_named_barrier, 0
	.set _ZN9rocsolver6v33100L8addmatA1IdPdEEviiT0_iilPT_.private_seg_size, 0
	.set _ZN9rocsolver6v33100L8addmatA1IdPdEEviiT0_iilPT_.uses_vcc, 1
	.set _ZN9rocsolver6v33100L8addmatA1IdPdEEviiT0_iilPT_.uses_flat_scratch, 0
	.set _ZN9rocsolver6v33100L8addmatA1IdPdEEviiT0_iilPT_.has_dyn_sized_stack, 0
	.set _ZN9rocsolver6v33100L8addmatA1IdPdEEviiT0_iilPT_.has_recursion, 0
	.set _ZN9rocsolver6v33100L8addmatA1IdPdEEviiT0_iilPT_.has_indirect_call, 0
	.section	.AMDGPU.csdata,"",@progbits
; Kernel info:
; codeLenInByte = 368
; TotalNumSgprs: 19
; NumVgprs: 6
; ScratchSize: 0
; MemoryBound: 0
; FloatMode: 240
; IeeeMode: 1
; LDSByteSize: 0 bytes/workgroup (compile time only)
; SGPRBlocks: 0
; VGPRBlocks: 0
; NumSGPRsForWavesPerEU: 19
; NumVGPRsForWavesPerEU: 6
; NamedBarCnt: 0
; Occupancy: 16
; WaveLimiterHint : 0
; COMPUTE_PGM_RSRC2:SCRATCH_EN: 0
; COMPUTE_PGM_RSRC2:USER_SGPR: 2
; COMPUTE_PGM_RSRC2:TRAP_HANDLER: 0
; COMPUTE_PGM_RSRC2:TGID_X_EN: 1
; COMPUTE_PGM_RSRC2:TGID_Y_EN: 1
; COMPUTE_PGM_RSRC2:TGID_Z_EN: 1
; COMPUTE_PGM_RSRC2:TIDIG_COMP_CNT: 1
	.section	.text._ZN9rocsolver6v33100L15gesvdj_finalizeIddEEviPT0_lPT_ilS5_il,"axG",@progbits,_ZN9rocsolver6v33100L15gesvdj_finalizeIddEEviPT0_lPT_ilS5_il,comdat
	.globl	_ZN9rocsolver6v33100L15gesvdj_finalizeIddEEviPT0_lPT_ilS5_il ; -- Begin function _ZN9rocsolver6v33100L15gesvdj_finalizeIddEEviPT0_lPT_ilS5_il
	.p2align	8
	.type	_ZN9rocsolver6v33100L15gesvdj_finalizeIddEEviPT0_lPT_ilS5_il,@function
_ZN9rocsolver6v33100L15gesvdj_finalizeIddEEviPT0_lPT_ilS5_il: ; @_ZN9rocsolver6v33100L15gesvdj_finalizeIddEEviPT0_lPT_ilS5_il
; %bb.0:
	s_clause 0x1
	s_load_b32 s3, s[0:1], 0x54
	s_load_b32 s8, s[0:1], 0x0
	s_bfe_u32 s2, ttmp6, 0x4000c
	s_and_b32 s4, ttmp6, 15
	s_add_co_i32 s5, s2, 1
	s_getreg_b32 s2, hwreg(HW_REG_IB_STS2, 6, 4)
	s_mul_i32 s5, ttmp9, s5
	s_mov_b32 s9, 0
	s_add_co_i32 s4, s4, s5
	s_wait_kmcnt 0x0
	s_and_b32 s3, s3, 0xffff
	s_cmp_eq_u32 s2, 0
	s_cselect_b32 s4, ttmp9, s4
	s_delay_alu instid0(SALU_CYCLE_1) | instskip(SKIP_1) | instid1(VALU_DEP_1)
	v_mad_u32 v2, s4, s3, v0
	s_mov_b32 s3, exec_lo
	v_max_i32_e32 v0, 0, v2
	s_delay_alu instid0(VALU_DEP_1)
	v_cmpx_gt_i32_e64 s8, v0
	s_cbranch_execz .LBB76_7
; %bb.1:
	s_clause 0x3
	s_load_b128 s[4:7], s[0:1], 0x8
	s_load_b128 s[12:15], s[0:1], 0x28
	s_load_b64 s[10:11], s[0:1], 0x40
	s_load_b96 s[16:18], s[0:1], 0x18
	s_bfe_u32 s3, ttmp6, 0x40010
	s_wait_xcnt 0x0
	s_load_b32 s1, s[0:1], 0x38
	s_add_co_i32 s3, s3, 1
	s_wait_xcnt 0x0
	s_bfe_u32 s0, ttmp6, 0x40004
	s_mul_i32 s3, ttmp7, s3
	v_mov_b32_e32 v3, 0
	s_add_co_i32 s0, s0, s3
	s_cmp_eq_u32 s2, 0
	s_cselect_b32 s2, ttmp7, s0
	v_cmp_eq_u32_e64 s0, 0, v2
	s_ashr_i32 s3, s2, 31
	s_wait_kmcnt 0x0
	s_mul_u64 s[6:7], s[6:7], s[2:3]
	s_mul_u64 s[12:13], s[12:13], s[2:3]
	;; [unrolled: 1-line block ×3, first 2 shown]
	s_lshl_b64 s[6:7], s[6:7], 3
	s_lshl_b64 s[10:11], s[12:13], 3
	;; [unrolled: 1-line block ×3, first 2 shown]
	s_add_nc_u64 s[2:3], s[4:5], s[6:7]
	s_add_nc_u64 s[4:5], s[16:17], s[10:11]
	s_add_nc_u64 s[6:7], s[14:15], s[12:13]
	s_add_co_i32 s10, s18, 1
	s_branch .LBB76_3
.LBB76_2:                               ;   in Loop: Header=BB76_3 Depth=1
	s_wait_xcnt 0x0
	v_add_nc_u32_e32 v2, s1, v2
	s_add_co_i32 s8, s8, -1
	s_add_co_i32 s9, s9, s10
	s_cmp_lg_u32 s8, 0
	s_add_nc_u64 s[2:3], s[2:3], 8
	s_cbranch_scc0 .LBB76_7
.LBB76_3:                               ; =>This Inner Loop Header: Depth=1
	v_mov_b32_e32 v0, s9
	global_load_b64 v[0:1], v0, s[4:5] scale_offset
	s_wait_xcnt 0x0
	s_and_saveexec_b32 s11, s0
	s_cbranch_execz .LBB76_5
; %bb.4:                                ;   in Loop: Header=BB76_3 Depth=1
	s_wait_loadcnt 0x0
	v_and_b32_e32 v5, 0x7fffffff, v1
	v_mov_b32_e32 v4, v0
	global_store_b64 v3, v[4:5], s[2:3]
.LBB76_5:                               ;   in Loop: Header=BB76_3 Depth=1
	s_wait_xcnt 0x0
	s_or_b32 exec_lo, exec_lo, s11
	s_wait_loadcnt 0x0
	v_cmp_ngt_f64_e32 vcc_lo, 0, v[0:1]
	s_cbranch_vccnz .LBB76_2
; %bb.6:                                ;   in Loop: Header=BB76_3 Depth=1
	global_load_b64 v[0:1], v2, s[6:7] scale_offset
	s_wait_loadcnt 0x0
	v_xor_b32_e32 v1, 0x80000000, v1
	global_store_b64 v2, v[0:1], s[6:7] scale_offset
	s_branch .LBB76_2
.LBB76_7:
	s_endpgm
	.section	.rodata,"a",@progbits
	.p2align	6, 0x0
	.amdhsa_kernel _ZN9rocsolver6v33100L15gesvdj_finalizeIddEEviPT0_lPT_ilS5_il
		.amdhsa_group_segment_fixed_size 0
		.amdhsa_private_segment_fixed_size 0
		.amdhsa_kernarg_size 328
		.amdhsa_user_sgpr_count 2
		.amdhsa_user_sgpr_dispatch_ptr 0
		.amdhsa_user_sgpr_queue_ptr 0
		.amdhsa_user_sgpr_kernarg_segment_ptr 1
		.amdhsa_user_sgpr_dispatch_id 0
		.amdhsa_user_sgpr_kernarg_preload_length 0
		.amdhsa_user_sgpr_kernarg_preload_offset 0
		.amdhsa_user_sgpr_private_segment_size 0
		.amdhsa_wavefront_size32 1
		.amdhsa_uses_dynamic_stack 0
		.amdhsa_enable_private_segment 0
		.amdhsa_system_sgpr_workgroup_id_x 1
		.amdhsa_system_sgpr_workgroup_id_y 1
		.amdhsa_system_sgpr_workgroup_id_z 0
		.amdhsa_system_sgpr_workgroup_info 0
		.amdhsa_system_vgpr_workitem_id 0
		.amdhsa_next_free_vgpr 6
		.amdhsa_next_free_sgpr 19
		.amdhsa_named_barrier_count 0
		.amdhsa_reserve_vcc 1
		.amdhsa_float_round_mode_32 0
		.amdhsa_float_round_mode_16_64 0
		.amdhsa_float_denorm_mode_32 3
		.amdhsa_float_denorm_mode_16_64 3
		.amdhsa_fp16_overflow 0
		.amdhsa_memory_ordered 1
		.amdhsa_forward_progress 1
		.amdhsa_inst_pref_size 4
		.amdhsa_round_robin_scheduling 0
		.amdhsa_exception_fp_ieee_invalid_op 0
		.amdhsa_exception_fp_denorm_src 0
		.amdhsa_exception_fp_ieee_div_zero 0
		.amdhsa_exception_fp_ieee_overflow 0
		.amdhsa_exception_fp_ieee_underflow 0
		.amdhsa_exception_fp_ieee_inexact 0
		.amdhsa_exception_int_div_zero 0
	.end_amdhsa_kernel
	.section	.text._ZN9rocsolver6v33100L15gesvdj_finalizeIddEEviPT0_lPT_ilS5_il,"axG",@progbits,_ZN9rocsolver6v33100L15gesvdj_finalizeIddEEviPT0_lPT_ilS5_il,comdat
.Lfunc_end76:
	.size	_ZN9rocsolver6v33100L15gesvdj_finalizeIddEEviPT0_lPT_ilS5_il, .Lfunc_end76-_ZN9rocsolver6v33100L15gesvdj_finalizeIddEEviPT0_lPT_ilS5_il
                                        ; -- End function
	.set _ZN9rocsolver6v33100L15gesvdj_finalizeIddEEviPT0_lPT_ilS5_il.num_vgpr, 6
	.set _ZN9rocsolver6v33100L15gesvdj_finalizeIddEEviPT0_lPT_ilS5_il.num_agpr, 0
	.set _ZN9rocsolver6v33100L15gesvdj_finalizeIddEEviPT0_lPT_ilS5_il.numbered_sgpr, 19
	.set _ZN9rocsolver6v33100L15gesvdj_finalizeIddEEviPT0_lPT_ilS5_il.num_named_barrier, 0
	.set _ZN9rocsolver6v33100L15gesvdj_finalizeIddEEviPT0_lPT_ilS5_il.private_seg_size, 0
	.set _ZN9rocsolver6v33100L15gesvdj_finalizeIddEEviPT0_lPT_ilS5_il.uses_vcc, 1
	.set _ZN9rocsolver6v33100L15gesvdj_finalizeIddEEviPT0_lPT_ilS5_il.uses_flat_scratch, 0
	.set _ZN9rocsolver6v33100L15gesvdj_finalizeIddEEviPT0_lPT_ilS5_il.has_dyn_sized_stack, 0
	.set _ZN9rocsolver6v33100L15gesvdj_finalizeIddEEviPT0_lPT_ilS5_il.has_recursion, 0
	.set _ZN9rocsolver6v33100L15gesvdj_finalizeIddEEviPT0_lPT_ilS5_il.has_indirect_call, 0
	.section	.AMDGPU.csdata,"",@progbits
; Kernel info:
; codeLenInByte = 408
; TotalNumSgprs: 21
; NumVgprs: 6
; ScratchSize: 0
; MemoryBound: 0
; FloatMode: 240
; IeeeMode: 1
; LDSByteSize: 0 bytes/workgroup (compile time only)
; SGPRBlocks: 0
; VGPRBlocks: 0
; NumSGPRsForWavesPerEU: 21
; NumVGPRsForWavesPerEU: 6
; NamedBarCnt: 0
; Occupancy: 16
; WaveLimiterHint : 0
; COMPUTE_PGM_RSRC2:SCRATCH_EN: 0
; COMPUTE_PGM_RSRC2:USER_SGPR: 2
; COMPUTE_PGM_RSRC2:TRAP_HANDLER: 0
; COMPUTE_PGM_RSRC2:TGID_X_EN: 1
; COMPUTE_PGM_RSRC2:TGID_Y_EN: 1
; COMPUTE_PGM_RSRC2:TGID_Z_EN: 0
; COMPUTE_PGM_RSRC2:TIDIG_COMP_CNT: 0
	.section	.text._ZN9rocsolver6v33100L16org2r_init_identIdPdEEviiiT0_iil,"axG",@progbits,_ZN9rocsolver6v33100L16org2r_init_identIdPdEEviiiT0_iil,comdat
	.globl	_ZN9rocsolver6v33100L16org2r_init_identIdPdEEviiiT0_iil ; -- Begin function _ZN9rocsolver6v33100L16org2r_init_identIdPdEEviiiT0_iil
	.p2align	8
	.type	_ZN9rocsolver6v33100L16org2r_init_identIdPdEEviiiT0_iil,@function
_ZN9rocsolver6v33100L16org2r_init_identIdPdEEviiiT0_iil: ; @_ZN9rocsolver6v33100L16org2r_init_identIdPdEEviiiT0_iil
; %bb.0:
	s_clause 0x1
	s_load_b32 s2, s[0:1], 0x34
	s_load_b96 s[4:6], s[0:1], 0x0
	s_bfe_u32 s8, ttmp6, 0x4000c
	s_bfe_u32 s10, ttmp6, 0x40010
	s_and_b32 s9, ttmp7, 0xffff
	s_add_co_i32 s8, s8, 1
	s_add_co_i32 s10, s10, 1
	s_and_b32 s3, ttmp6, 15
	s_bfe_u32 s11, ttmp6, 0x40004
	s_mul_i32 s8, ttmp9, s8
	s_mul_i32 s10, s9, s10
	s_getreg_b32 s7, hwreg(HW_REG_IB_STS2, 6, 4)
	v_bfe_u32 v1, v0, 10, 10
	v_and_b32_e32 v0, 0x3ff, v0
	s_add_co_i32 s3, s3, s8
	s_add_co_i32 s11, s11, s10
	s_wait_kmcnt 0x0
	s_lshr_b32 s8, s2, 16
	s_and_b32 s2, s2, 0xffff
	s_cmp_eq_u32 s7, 0
	s_cselect_b32 s3, ttmp9, s3
	s_cselect_b32 s9, s9, s11
	v_mad_u32 v0, s3, s2, v0
	v_mad_u32 v3, s9, s8, v1
	s_delay_alu instid0(VALU_DEP_2) | instskip(NEXT) | instid1(VALU_DEP_2)
	v_cmp_gt_u32_e32 vcc_lo, s4, v0
	v_cmp_gt_u32_e64 s2, s5, v3
	s_mov_b32 s5, 0
	s_and_b32 s2, vcc_lo, s2
	s_delay_alu instid0(SALU_CYCLE_1)
	s_and_saveexec_b32 s3, s2
	s_cbranch_execz .LBB77_5
; %bb.1:
	s_load_b64 s[2:3], s[0:1], 0x18
	s_mov_b32 s4, exec_lo
                                        ; implicit-def: $vgpr2
	v_cmpx_ne_u32_e64 v0, v3
	s_xor_b32 s4, exec_lo, s4
	s_cbranch_execnz .LBB77_6
; %bb.2:
	s_or_saveexec_b32 s4, s4
	v_mov_b64_e32 v[0:1], 0
	s_xor_b32 exec_lo, exec_lo, s4
	s_cbranch_execnz .LBB77_13
.LBB77_3:
	s_or_b32 exec_lo, exec_lo, s4
	s_delay_alu instid0(SALU_CYCLE_1)
	s_and_b32 exec_lo, exec_lo, s5
	s_cbranch_execz .LBB77_5
.LBB77_4:
	s_clause 0x1
	s_load_b64 s[4:5], s[0:1], 0x20
	s_load_b64 s[8:9], s[0:1], 0x10
	s_wait_xcnt 0x0
	s_bfe_u32 s0, ttmp6, 0x40014
	s_lshr_b32 s6, ttmp7, 16
	s_add_co_i32 s0, s0, 1
	s_bfe_u32 s1, ttmp6, 0x40008
	s_mul_i32 s0, s6, s0
	s_wait_kmcnt 0x0
	s_ashr_i32 s3, s2, 31
	s_add_co_i32 s0, s1, s0
	s_cmp_eq_u32 s7, 0
	s_mov_b32 s1, 0
	s_cselect_b32 s0, s6, s0
	s_lshl_b64 s[2:3], s[2:3], 3
	s_mul_u64 s[0:1], s[4:5], s[0:1]
	s_delay_alu instid0(SALU_CYCLE_1) | instskip(NEXT) | instid1(SALU_CYCLE_1)
	s_lshl_b64 s[0:1], s[0:1], 3
	s_add_nc_u64 s[0:1], s[8:9], s[0:1]
	s_delay_alu instid0(SALU_CYCLE_1)
	s_add_nc_u64 s[0:1], s[0:1], s[2:3]
	global_store_b64 v2, v[0:1], s[0:1] scale_offset
.LBB77_5:
	s_endpgm
.LBB77_6:
	s_mov_b32 s8, exec_lo
                                        ; implicit-def: $vgpr2
	v_cmpx_le_u32_e64 v3, v0
	s_xor_b32 s8, exec_lo, s8
	s_cbranch_execz .LBB77_10
; %bb.7:
	v_cmp_le_u32_e32 vcc_lo, s6, v3
                                        ; implicit-def: $vgpr2
	s_and_saveexec_b32 s6, vcc_lo
	s_delay_alu instid0(SALU_CYCLE_1)
	s_xor_b32 s6, exec_lo, s6
	s_cbranch_execz .LBB77_9
; %bb.8:
	s_wait_kmcnt 0x0
	v_mad_u32 v2, v3, s3, v0
	s_mov_b32 s5, exec_lo
.LBB77_9:
	s_or_b32 exec_lo, exec_lo, s6
	s_delay_alu instid0(SALU_CYCLE_1)
	s_and_b32 s5, s5, exec_lo
                                        ; implicit-def: $vgpr3
                                        ; implicit-def: $vgpr0
.LBB77_10:
	s_and_not1_saveexec_b32 s6, s8
	s_cbranch_execz .LBB77_12
; %bb.11:
	s_wait_kmcnt 0x0
	v_mad_u32 v2, v3, s3, v0
	s_or_b32 s5, s5, exec_lo
.LBB77_12:
	s_or_b32 exec_lo, exec_lo, s6
	s_delay_alu instid0(SALU_CYCLE_1)
	s_and_b32 s5, s5, exec_lo
                                        ; implicit-def: $vgpr3
	s_or_saveexec_b32 s4, s4
	v_mov_b64_e32 v[0:1], 0
	s_xor_b32 exec_lo, exec_lo, s4
	s_cbranch_execz .LBB77_3
.LBB77_13:
	s_wait_kmcnt 0x0
	v_mad_u32 v2, v3, s3, v3
	v_mov_b64_e32 v[0:1], 1.0
	s_or_b32 s5, s5, exec_lo
	s_or_b32 exec_lo, exec_lo, s4
	s_delay_alu instid0(SALU_CYCLE_1)
	s_and_b32 exec_lo, exec_lo, s5
	s_cbranch_execnz .LBB77_4
	s_branch .LBB77_5
	.section	.rodata,"a",@progbits
	.p2align	6, 0x0
	.amdhsa_kernel _ZN9rocsolver6v33100L16org2r_init_identIdPdEEviiiT0_iil
		.amdhsa_group_segment_fixed_size 0
		.amdhsa_private_segment_fixed_size 0
		.amdhsa_kernarg_size 296
		.amdhsa_user_sgpr_count 2
		.amdhsa_user_sgpr_dispatch_ptr 0
		.amdhsa_user_sgpr_queue_ptr 0
		.amdhsa_user_sgpr_kernarg_segment_ptr 1
		.amdhsa_user_sgpr_dispatch_id 0
		.amdhsa_user_sgpr_kernarg_preload_length 0
		.amdhsa_user_sgpr_kernarg_preload_offset 0
		.amdhsa_user_sgpr_private_segment_size 0
		.amdhsa_wavefront_size32 1
		.amdhsa_uses_dynamic_stack 0
		.amdhsa_enable_private_segment 0
		.amdhsa_system_sgpr_workgroup_id_x 1
		.amdhsa_system_sgpr_workgroup_id_y 1
		.amdhsa_system_sgpr_workgroup_id_z 1
		.amdhsa_system_sgpr_workgroup_info 0
		.amdhsa_system_vgpr_workitem_id 1
		.amdhsa_next_free_vgpr 4
		.amdhsa_next_free_sgpr 12
		.amdhsa_named_barrier_count 0
		.amdhsa_reserve_vcc 1
		.amdhsa_float_round_mode_32 0
		.amdhsa_float_round_mode_16_64 0
		.amdhsa_float_denorm_mode_32 3
		.amdhsa_float_denorm_mode_16_64 3
		.amdhsa_fp16_overflow 0
		.amdhsa_memory_ordered 1
		.amdhsa_forward_progress 1
		.amdhsa_inst_pref_size 5
		.amdhsa_round_robin_scheduling 0
		.amdhsa_exception_fp_ieee_invalid_op 0
		.amdhsa_exception_fp_denorm_src 0
		.amdhsa_exception_fp_ieee_div_zero 0
		.amdhsa_exception_fp_ieee_overflow 0
		.amdhsa_exception_fp_ieee_underflow 0
		.amdhsa_exception_fp_ieee_inexact 0
		.amdhsa_exception_int_div_zero 0
	.end_amdhsa_kernel
	.section	.text._ZN9rocsolver6v33100L16org2r_init_identIdPdEEviiiT0_iil,"axG",@progbits,_ZN9rocsolver6v33100L16org2r_init_identIdPdEEviiiT0_iil,comdat
.Lfunc_end77:
	.size	_ZN9rocsolver6v33100L16org2r_init_identIdPdEEviiiT0_iil, .Lfunc_end77-_ZN9rocsolver6v33100L16org2r_init_identIdPdEEviiiT0_iil
                                        ; -- End function
	.set _ZN9rocsolver6v33100L16org2r_init_identIdPdEEviiiT0_iil.num_vgpr, 4
	.set _ZN9rocsolver6v33100L16org2r_init_identIdPdEEviiiT0_iil.num_agpr, 0
	.set _ZN9rocsolver6v33100L16org2r_init_identIdPdEEviiiT0_iil.numbered_sgpr, 12
	.set _ZN9rocsolver6v33100L16org2r_init_identIdPdEEviiiT0_iil.num_named_barrier, 0
	.set _ZN9rocsolver6v33100L16org2r_init_identIdPdEEviiiT0_iil.private_seg_size, 0
	.set _ZN9rocsolver6v33100L16org2r_init_identIdPdEEviiiT0_iil.uses_vcc, 1
	.set _ZN9rocsolver6v33100L16org2r_init_identIdPdEEviiiT0_iil.uses_flat_scratch, 0
	.set _ZN9rocsolver6v33100L16org2r_init_identIdPdEEviiiT0_iil.has_dyn_sized_stack, 0
	.set _ZN9rocsolver6v33100L16org2r_init_identIdPdEEviiiT0_iil.has_recursion, 0
	.set _ZN9rocsolver6v33100L16org2r_init_identIdPdEEviiiT0_iil.has_indirect_call, 0
	.section	.AMDGPU.csdata,"",@progbits
; Kernel info:
; codeLenInByte = 520
; TotalNumSgprs: 14
; NumVgprs: 4
; ScratchSize: 0
; MemoryBound: 0
; FloatMode: 240
; IeeeMode: 1
; LDSByteSize: 0 bytes/workgroup (compile time only)
; SGPRBlocks: 0
; VGPRBlocks: 0
; NumSGPRsForWavesPerEU: 14
; NumVGPRsForWavesPerEU: 4
; NamedBarCnt: 0
; Occupancy: 16
; WaveLimiterHint : 0
; COMPUTE_PGM_RSRC2:SCRATCH_EN: 0
; COMPUTE_PGM_RSRC2:USER_SGPR: 2
; COMPUTE_PGM_RSRC2:TRAP_HANDLER: 0
; COMPUTE_PGM_RSRC2:TGID_X_EN: 1
; COMPUTE_PGM_RSRC2:TGID_Y_EN: 1
; COMPUTE_PGM_RSRC2:TGID_Z_EN: 1
; COMPUTE_PGM_RSRC2:TIDIG_COMP_CNT: 1
	.section	.text._ZN9rocsolver6v33100L12subtract_tauIdPdEEviiT0_iilPT_l,"axG",@progbits,_ZN9rocsolver6v33100L12subtract_tauIdPdEEviiT0_iilPT_l,comdat
	.globl	_ZN9rocsolver6v33100L12subtract_tauIdPdEEviiT0_iilPT_l ; -- Begin function _ZN9rocsolver6v33100L12subtract_tauIdPdEEviiT0_iilPT_l
	.p2align	8
	.type	_ZN9rocsolver6v33100L12subtract_tauIdPdEEviiT0_iilPT_l,@function
_ZN9rocsolver6v33100L12subtract_tauIdPdEEviiT0_iilPT_l: ; @_ZN9rocsolver6v33100L12subtract_tauIdPdEEviiT0_iilPT_l
; %bb.0:
	s_clause 0x2
	s_load_b64 s[2:3], s[0:1], 0x10
	s_load_b64 s[8:9], s[0:1], 0x28
	s_load_b128 s[4:7], s[0:1], 0x18
	s_bfe_u32 s10, ttmp6, 0x4000c
	s_and_b32 s11, ttmp6, 15
	s_add_co_i32 s10, s10, 1
	s_getreg_b32 s12, hwreg(HW_REG_IB_STS2, 6, 4)
	s_mul_i32 s10, ttmp9, s10
	s_mov_b32 s15, 0
	s_add_co_i32 s11, s11, s10
	s_wait_kmcnt 0x0
	s_ashr_i32 s13, s2, 31
	s_cmp_eq_u32 s12, 0
	s_mov_b32 s12, s2
	s_cselect_b32 s14, ttmp9, s11
	s_delay_alu instid0(SALU_CYCLE_1) | instskip(NEXT) | instid1(SALU_CYCLE_1)
	s_mul_u64 s[8:9], s[8:9], s[14:15]
	s_lshl_b64 s[8:9], s[8:9], 3
	s_delay_alu instid0(SALU_CYCLE_1)
	s_add_nc_u64 s[6:7], s[6:7], s[8:9]
	s_load_b64 s[16:17], s[6:7], 0x0
	s_load_b128 s[8:11], s[0:1], 0x0
	s_wait_xcnt 0x0
	s_mul_u64 s[0:1], s[4:5], s[14:15]
	v_mov_b32_e32 v4, 0
	s_lshl_b64 s[0:1], s[0:1], 3
	s_wait_kmcnt 0x0
	v_add_f64_e64 v[0:1], -s[16:17], 1.0
	s_mul_i32 s3, s3, s9
	s_xor_b32 s2, s17, 0x80000000
	s_add_co_i32 s3, s3, s8
	v_dual_mov_b32 v2, s16 :: v_dual_mov_b32 v3, s2
	v_mov_b32_e32 v5, s3
	s_add_nc_u64 s[0:1], s[10:11], s[0:1]
	s_lshl_b64 s[2:3], s[12:13], 3
	s_delay_alu instid0(SALU_CYCLE_1)
	s_add_nc_u64 s[0:1], s[0:1], s[2:3]
	global_store_b64 v4, v[2:3], s[6:7]
	global_store_b64 v5, v[0:1], s[0:1] scale_offset
	s_endpgm
	.section	.rodata,"a",@progbits
	.p2align	6, 0x0
	.amdhsa_kernel _ZN9rocsolver6v33100L12subtract_tauIdPdEEviiT0_iilPT_l
		.amdhsa_group_segment_fixed_size 0
		.amdhsa_private_segment_fixed_size 0
		.amdhsa_kernarg_size 48
		.amdhsa_user_sgpr_count 2
		.amdhsa_user_sgpr_dispatch_ptr 0
		.amdhsa_user_sgpr_queue_ptr 0
		.amdhsa_user_sgpr_kernarg_segment_ptr 1
		.amdhsa_user_sgpr_dispatch_id 0
		.amdhsa_user_sgpr_kernarg_preload_length 0
		.amdhsa_user_sgpr_kernarg_preload_offset 0
		.amdhsa_user_sgpr_private_segment_size 0
		.amdhsa_wavefront_size32 1
		.amdhsa_uses_dynamic_stack 0
		.amdhsa_enable_private_segment 0
		.amdhsa_system_sgpr_workgroup_id_x 1
		.amdhsa_system_sgpr_workgroup_id_y 0
		.amdhsa_system_sgpr_workgroup_id_z 0
		.amdhsa_system_sgpr_workgroup_info 0
		.amdhsa_system_vgpr_workitem_id 0
		.amdhsa_next_free_vgpr 6
		.amdhsa_next_free_sgpr 18
		.amdhsa_named_barrier_count 0
		.amdhsa_reserve_vcc 0
		.amdhsa_float_round_mode_32 0
		.amdhsa_float_round_mode_16_64 0
		.amdhsa_float_denorm_mode_32 3
		.amdhsa_float_denorm_mode_16_64 3
		.amdhsa_fp16_overflow 0
		.amdhsa_memory_ordered 1
		.amdhsa_forward_progress 1
		.amdhsa_inst_pref_size 2
		.amdhsa_round_robin_scheduling 0
		.amdhsa_exception_fp_ieee_invalid_op 0
		.amdhsa_exception_fp_denorm_src 0
		.amdhsa_exception_fp_ieee_div_zero 0
		.amdhsa_exception_fp_ieee_overflow 0
		.amdhsa_exception_fp_ieee_underflow 0
		.amdhsa_exception_fp_ieee_inexact 0
		.amdhsa_exception_int_div_zero 0
	.end_amdhsa_kernel
	.section	.text._ZN9rocsolver6v33100L12subtract_tauIdPdEEviiT0_iilPT_l,"axG",@progbits,_ZN9rocsolver6v33100L12subtract_tauIdPdEEviiT0_iilPT_l,comdat
.Lfunc_end78:
	.size	_ZN9rocsolver6v33100L12subtract_tauIdPdEEviiT0_iilPT_l, .Lfunc_end78-_ZN9rocsolver6v33100L12subtract_tauIdPdEEviiT0_iilPT_l
                                        ; -- End function
	.set _ZN9rocsolver6v33100L12subtract_tauIdPdEEviiT0_iilPT_l.num_vgpr, 6
	.set _ZN9rocsolver6v33100L12subtract_tauIdPdEEviiT0_iilPT_l.num_agpr, 0
	.set _ZN9rocsolver6v33100L12subtract_tauIdPdEEviiT0_iilPT_l.numbered_sgpr, 18
	.set _ZN9rocsolver6v33100L12subtract_tauIdPdEEviiT0_iilPT_l.num_named_barrier, 0
	.set _ZN9rocsolver6v33100L12subtract_tauIdPdEEviiT0_iilPT_l.private_seg_size, 0
	.set _ZN9rocsolver6v33100L12subtract_tauIdPdEEviiT0_iilPT_l.uses_vcc, 0
	.set _ZN9rocsolver6v33100L12subtract_tauIdPdEEviiT0_iilPT_l.uses_flat_scratch, 0
	.set _ZN9rocsolver6v33100L12subtract_tauIdPdEEviiT0_iilPT_l.has_dyn_sized_stack, 0
	.set _ZN9rocsolver6v33100L12subtract_tauIdPdEEviiT0_iilPT_l.has_recursion, 0
	.set _ZN9rocsolver6v33100L12subtract_tauIdPdEEviiT0_iilPT_l.has_indirect_call, 0
	.section	.AMDGPU.csdata,"",@progbits
; Kernel info:
; codeLenInByte = 216
; TotalNumSgprs: 18
; NumVgprs: 6
; ScratchSize: 0
; MemoryBound: 0
; FloatMode: 240
; IeeeMode: 1
; LDSByteSize: 0 bytes/workgroup (compile time only)
; SGPRBlocks: 0
; VGPRBlocks: 0
; NumSGPRsForWavesPerEU: 18
; NumVGPRsForWavesPerEU: 6
; NamedBarCnt: 0
; Occupancy: 16
; WaveLimiterHint : 0
; COMPUTE_PGM_RSRC2:SCRATCH_EN: 0
; COMPUTE_PGM_RSRC2:USER_SGPR: 2
; COMPUTE_PGM_RSRC2:TRAP_HANDLER: 0
; COMPUTE_PGM_RSRC2:TGID_X_EN: 1
; COMPUTE_PGM_RSRC2:TGID_Y_EN: 0
; COMPUTE_PGM_RSRC2:TGID_Z_EN: 0
; COMPUTE_PGM_RSRC2:TIDIG_COMP_CNT: 0
	.section	.text._ZN9rocsolver6v33100L6restauIdEEviPT_l,"axG",@progbits,_ZN9rocsolver6v33100L6restauIdEEviPT_l,comdat
	.globl	_ZN9rocsolver6v33100L6restauIdEEviPT_l ; -- Begin function _ZN9rocsolver6v33100L6restauIdEEviPT_l
	.p2align	8
	.type	_ZN9rocsolver6v33100L6restauIdEEviPT_l,@function
_ZN9rocsolver6v33100L6restauIdEEviPT_l: ; @_ZN9rocsolver6v33100L6restauIdEEviPT_l
; %bb.0:
	s_clause 0x1
	s_load_b32 s3, s[0:1], 0x24
	s_load_b32 s4, s[0:1], 0x0
	s_bfe_u32 s2, ttmp6, 0x4000c
	s_and_b32 s5, ttmp6, 15
	s_add_co_i32 s6, s2, 1
	s_getreg_b32 s2, hwreg(HW_REG_IB_STS2, 6, 4)
	s_mul_i32 s6, ttmp9, s6
	s_delay_alu instid0(SALU_CYCLE_1) | instskip(SKIP_4) | instid1(SALU_CYCLE_1)
	s_add_co_i32 s5, s5, s6
	s_wait_kmcnt 0x0
	s_and_b32 s3, s3, 0xffff
	s_cmp_eq_u32 s2, 0
	s_cselect_b32 s5, ttmp9, s5
	v_mad_u32 v0, s5, s3, v0
	s_mov_b32 s3, 0
	s_delay_alu instid0(VALU_DEP_1)
	v_cmp_gt_u32_e32 vcc_lo, s4, v0
	s_and_saveexec_b32 s4, vcc_lo
	s_cbranch_execz .LBB79_2
; %bb.1:
	s_load_b128 s[4:7], s[0:1], 0x8
	s_wait_xcnt 0x0
	s_bfe_u32 s0, ttmp6, 0x40010
	s_bfe_u32 s1, ttmp6, 0x40004
	s_add_co_i32 s0, s0, 1
	s_delay_alu instid0(SALU_CYCLE_1) | instskip(NEXT) | instid1(SALU_CYCLE_1)
	s_mul_i32 s0, ttmp7, s0
	s_add_co_i32 s1, s1, s0
	s_cmp_eq_u32 s2, 0
	s_cselect_b32 s2, ttmp7, s1
	s_wait_kmcnt 0x0
	s_mul_u64 s[0:1], s[6:7], s[2:3]
	s_delay_alu instid0(SALU_CYCLE_1) | instskip(NEXT) | instid1(SALU_CYCLE_1)
	s_lshl_b64 s[0:1], s[0:1], 3
	s_add_nc_u64 s[0:1], s[4:5], s[0:1]
	global_load_b64 v[2:3], v0, s[0:1] scale_offset
	s_wait_loadcnt 0x0
	v_xor_b32_e32 v3, 0x80000000, v3
	global_store_b64 v0, v[2:3], s[0:1] scale_offset
.LBB79_2:
	s_endpgm
	.section	.rodata,"a",@progbits
	.p2align	6, 0x0
	.amdhsa_kernel _ZN9rocsolver6v33100L6restauIdEEviPT_l
		.amdhsa_group_segment_fixed_size 0
		.amdhsa_private_segment_fixed_size 0
		.amdhsa_kernarg_size 280
		.amdhsa_user_sgpr_count 2
		.amdhsa_user_sgpr_dispatch_ptr 0
		.amdhsa_user_sgpr_queue_ptr 0
		.amdhsa_user_sgpr_kernarg_segment_ptr 1
		.amdhsa_user_sgpr_dispatch_id 0
		.amdhsa_user_sgpr_kernarg_preload_length 0
		.amdhsa_user_sgpr_kernarg_preload_offset 0
		.amdhsa_user_sgpr_private_segment_size 0
		.amdhsa_wavefront_size32 1
		.amdhsa_uses_dynamic_stack 0
		.amdhsa_enable_private_segment 0
		.amdhsa_system_sgpr_workgroup_id_x 1
		.amdhsa_system_sgpr_workgroup_id_y 1
		.amdhsa_system_sgpr_workgroup_id_z 0
		.amdhsa_system_sgpr_workgroup_info 0
		.amdhsa_system_vgpr_workitem_id 0
		.amdhsa_next_free_vgpr 4
		.amdhsa_next_free_sgpr 8
		.amdhsa_named_barrier_count 0
		.amdhsa_reserve_vcc 1
		.amdhsa_float_round_mode_32 0
		.amdhsa_float_round_mode_16_64 0
		.amdhsa_float_denorm_mode_32 3
		.amdhsa_float_denorm_mode_16_64 3
		.amdhsa_fp16_overflow 0
		.amdhsa_memory_ordered 1
		.amdhsa_forward_progress 1
		.amdhsa_inst_pref_size 2
		.amdhsa_round_robin_scheduling 0
		.amdhsa_exception_fp_ieee_invalid_op 0
		.amdhsa_exception_fp_denorm_src 0
		.amdhsa_exception_fp_ieee_div_zero 0
		.amdhsa_exception_fp_ieee_overflow 0
		.amdhsa_exception_fp_ieee_underflow 0
		.amdhsa_exception_fp_ieee_inexact 0
		.amdhsa_exception_int_div_zero 0
	.end_amdhsa_kernel
	.section	.text._ZN9rocsolver6v33100L6restauIdEEviPT_l,"axG",@progbits,_ZN9rocsolver6v33100L6restauIdEEviPT_l,comdat
.Lfunc_end79:
	.size	_ZN9rocsolver6v33100L6restauIdEEviPT_l, .Lfunc_end79-_ZN9rocsolver6v33100L6restauIdEEviPT_l
                                        ; -- End function
	.set _ZN9rocsolver6v33100L6restauIdEEviPT_l.num_vgpr, 4
	.set _ZN9rocsolver6v33100L6restauIdEEviPT_l.num_agpr, 0
	.set _ZN9rocsolver6v33100L6restauIdEEviPT_l.numbered_sgpr, 8
	.set _ZN9rocsolver6v33100L6restauIdEEviPT_l.num_named_barrier, 0
	.set _ZN9rocsolver6v33100L6restauIdEEviPT_l.private_seg_size, 0
	.set _ZN9rocsolver6v33100L6restauIdEEviPT_l.uses_vcc, 1
	.set _ZN9rocsolver6v33100L6restauIdEEviPT_l.uses_flat_scratch, 0
	.set _ZN9rocsolver6v33100L6restauIdEEviPT_l.has_dyn_sized_stack, 0
	.set _ZN9rocsolver6v33100L6restauIdEEviPT_l.has_recursion, 0
	.set _ZN9rocsolver6v33100L6restauIdEEviPT_l.has_indirect_call, 0
	.section	.AMDGPU.csdata,"",@progbits
; Kernel info:
; codeLenInByte = 212
; TotalNumSgprs: 10
; NumVgprs: 4
; ScratchSize: 0
; MemoryBound: 0
; FloatMode: 240
; IeeeMode: 1
; LDSByteSize: 0 bytes/workgroup (compile time only)
; SGPRBlocks: 0
; VGPRBlocks: 0
; NumSGPRsForWavesPerEU: 10
; NumVGPRsForWavesPerEU: 4
; NamedBarCnt: 0
; Occupancy: 16
; WaveLimiterHint : 0
; COMPUTE_PGM_RSRC2:SCRATCH_EN: 0
; COMPUTE_PGM_RSRC2:USER_SGPR: 2
; COMPUTE_PGM_RSRC2:TRAP_HANDLER: 0
; COMPUTE_PGM_RSRC2:TGID_X_EN: 1
; COMPUTE_PGM_RSRC2:TGID_Y_EN: 1
; COMPUTE_PGM_RSRC2:TGID_Z_EN: 0
; COMPUTE_PGM_RSRC2:TIDIG_COMP_CNT: 0
	.section	.text._ZN9rocsolver6v33100L8set_zeroIdPdEEviiT0_iil13rocblas_fill_,"axG",@progbits,_ZN9rocsolver6v33100L8set_zeroIdPdEEviiT0_iil13rocblas_fill_,comdat
	.globl	_ZN9rocsolver6v33100L8set_zeroIdPdEEviiT0_iil13rocblas_fill_ ; -- Begin function _ZN9rocsolver6v33100L8set_zeroIdPdEEviiT0_iil13rocblas_fill_
	.p2align	8
	.type	_ZN9rocsolver6v33100L8set_zeroIdPdEEviiT0_iil13rocblas_fill_,@function
_ZN9rocsolver6v33100L8set_zeroIdPdEEviiT0_iil13rocblas_fill_: ; @_ZN9rocsolver6v33100L8set_zeroIdPdEEviiT0_iil13rocblas_fill_
; %bb.0:
	s_clause 0x1
	s_load_b32 s2, s[0:1], 0x34
	s_load_b64 s[4:5], s[0:1], 0x0
	s_bfe_u32 s7, ttmp6, 0x40010
	s_bfe_u32 s10, ttmp6, 0x4000c
	s_and_b32 s6, ttmp7, 0xffff
	s_add_co_i32 s7, s7, 1
	s_add_co_i32 s10, s10, 1
	s_bfe_u32 s8, ttmp6, 0x40004
	s_and_b32 s9, ttmp6, 15
	s_mul_i32 s7, s6, s7
	s_mul_i32 s10, ttmp9, s10
	s_getreg_b32 s3, hwreg(HW_REG_IB_STS2, 6, 4)
	v_and_b32_e32 v1, 0x3ff, v0
	v_bfe_u32 v2, v0, 10, 10
	s_add_co_i32 s8, s8, s7
	s_add_co_i32 s9, s9, s10
	s_wait_kmcnt 0x0
	s_lshr_b32 s7, s2, 16
	s_and_b32 s2, s2, 0xffff
	s_cmp_eq_u32 s3, 0
	s_cselect_b32 s9, ttmp9, s9
	s_cselect_b32 s6, s6, s8
	v_mad_u32 v0, s9, s2, v1
	v_mad_u32 v1, s6, s7, v2
	s_delay_alu instid0(VALU_DEP_2) | instskip(NEXT) | instid1(VALU_DEP_2)
	v_cmp_gt_u32_e32 vcc_lo, s4, v0
	v_cmp_gt_u32_e64 s2, s5, v1
	s_and_b32 s2, vcc_lo, s2
	s_delay_alu instid0(SALU_CYCLE_1)
	s_and_saveexec_b32 s4, s2
	s_cbranch_execz .LBB80_12
; %bb.1:
	s_load_b32 s4, s[0:1], 0x20
	s_wait_kmcnt 0x0
	s_cmp_lt_i32 s4, 0x7a
	s_cbranch_scc1 .LBB80_4
; %bb.2:
	s_cmp_gt_i32 s4, 0x7a
	s_cbranch_scc0 .LBB80_5
; %bb.3:
	s_cmp_eq_u32 s4, 0x7b
	s_cselect_b32 s2, -1, 0
	s_cbranch_execz .LBB80_6
	s_branch .LBB80_7
.LBB80_4:
	s_mov_b32 s2, 0
	s_cbranch_execnz .LBB80_8
	s_branch .LBB80_10
.LBB80_5:
	s_mov_b32 s2, 0
.LBB80_6:
	v_cmp_gt_u32_e32 vcc_lo, v1, v0
	s_and_not1_b32 s2, s2, exec_lo
	s_and_b32 s5, vcc_lo, exec_lo
	s_delay_alu instid0(SALU_CYCLE_1)
	s_or_b32 s2, s2, s5
.LBB80_7:
	s_branch .LBB80_10
.LBB80_8:
	s_cmp_eq_u32 s4, 0x79
	s_cbranch_scc0 .LBB80_10
; %bb.9:
	v_cmp_gt_u32_e32 vcc_lo, v0, v1
	s_and_not1_b32 s2, s2, exec_lo
	s_and_b32 s4, vcc_lo, exec_lo
	s_delay_alu instid0(SALU_CYCLE_1)
	s_or_b32 s2, s2, s4
.LBB80_10:
	s_delay_alu instid0(SALU_CYCLE_1)
	s_and_b32 exec_lo, exec_lo, s2
	s_cbranch_execz .LBB80_12
; %bb.11:
	s_clause 0x1
	s_load_b128 s[4:7], s[0:1], 0x8
	s_load_b64 s[8:9], s[0:1], 0x18
	s_wait_xcnt 0x0
	s_bfe_u32 s0, ttmp6, 0x40014
	s_lshr_b32 s2, ttmp7, 16
	s_add_co_i32 s0, s0, 1
	s_bfe_u32 s10, ttmp6, 0x40008
	s_mul_i32 s0, s2, s0
	s_mov_b32 s1, 0
	s_add_co_i32 s10, s10, s0
	s_wait_kmcnt 0x0
	s_ashr_i32 s11, s6, 31
	s_cmp_eq_u32 s3, 0
	v_mad_u32 v2, v1, s7, v0
	s_cselect_b32 s0, s2, s10
	v_mov_b64_e32 v[0:1], 0
	s_mul_u64 s[0:1], s[8:9], s[0:1]
	s_mov_b32 s10, s6
	s_lshl_b64 s[0:1], s[0:1], 3
	s_lshl_b64 s[2:3], s[10:11], 3
	s_add_nc_u64 s[0:1], s[4:5], s[0:1]
	s_delay_alu instid0(SALU_CYCLE_1)
	s_add_nc_u64 s[0:1], s[0:1], s[2:3]
	global_store_b64 v2, v[0:1], s[0:1] scale_offset
.LBB80_12:
	s_endpgm
	.section	.rodata,"a",@progbits
	.p2align	6, 0x0
	.amdhsa_kernel _ZN9rocsolver6v33100L8set_zeroIdPdEEviiT0_iil13rocblas_fill_
		.amdhsa_group_segment_fixed_size 0
		.amdhsa_private_segment_fixed_size 0
		.amdhsa_kernarg_size 296
		.amdhsa_user_sgpr_count 2
		.amdhsa_user_sgpr_dispatch_ptr 0
		.amdhsa_user_sgpr_queue_ptr 0
		.amdhsa_user_sgpr_kernarg_segment_ptr 1
		.amdhsa_user_sgpr_dispatch_id 0
		.amdhsa_user_sgpr_kernarg_preload_length 0
		.amdhsa_user_sgpr_kernarg_preload_offset 0
		.amdhsa_user_sgpr_private_segment_size 0
		.amdhsa_wavefront_size32 1
		.amdhsa_uses_dynamic_stack 0
		.amdhsa_enable_private_segment 0
		.amdhsa_system_sgpr_workgroup_id_x 1
		.amdhsa_system_sgpr_workgroup_id_y 1
		.amdhsa_system_sgpr_workgroup_id_z 1
		.amdhsa_system_sgpr_workgroup_info 0
		.amdhsa_system_vgpr_workitem_id 1
		.amdhsa_next_free_vgpr 3
		.amdhsa_next_free_sgpr 12
		.amdhsa_named_barrier_count 0
		.amdhsa_reserve_vcc 1
		.amdhsa_float_round_mode_32 0
		.amdhsa_float_round_mode_16_64 0
		.amdhsa_float_denorm_mode_32 3
		.amdhsa_float_denorm_mode_16_64 3
		.amdhsa_fp16_overflow 0
		.amdhsa_memory_ordered 1
		.amdhsa_forward_progress 1
		.amdhsa_inst_pref_size 4
		.amdhsa_round_robin_scheduling 0
		.amdhsa_exception_fp_ieee_invalid_op 0
		.amdhsa_exception_fp_denorm_src 0
		.amdhsa_exception_fp_ieee_div_zero 0
		.amdhsa_exception_fp_ieee_overflow 0
		.amdhsa_exception_fp_ieee_underflow 0
		.amdhsa_exception_fp_ieee_inexact 0
		.amdhsa_exception_int_div_zero 0
	.end_amdhsa_kernel
	.section	.text._ZN9rocsolver6v33100L8set_zeroIdPdEEviiT0_iil13rocblas_fill_,"axG",@progbits,_ZN9rocsolver6v33100L8set_zeroIdPdEEviiT0_iil13rocblas_fill_,comdat
.Lfunc_end80:
	.size	_ZN9rocsolver6v33100L8set_zeroIdPdEEviiT0_iil13rocblas_fill_, .Lfunc_end80-_ZN9rocsolver6v33100L8set_zeroIdPdEEviiT0_iil13rocblas_fill_
                                        ; -- End function
	.set _ZN9rocsolver6v33100L8set_zeroIdPdEEviiT0_iil13rocblas_fill_.num_vgpr, 3
	.set _ZN9rocsolver6v33100L8set_zeroIdPdEEviiT0_iil13rocblas_fill_.num_agpr, 0
	.set _ZN9rocsolver6v33100L8set_zeroIdPdEEviiT0_iil13rocblas_fill_.numbered_sgpr, 12
	.set _ZN9rocsolver6v33100L8set_zeroIdPdEEviiT0_iil13rocblas_fill_.num_named_barrier, 0
	.set _ZN9rocsolver6v33100L8set_zeroIdPdEEviiT0_iil13rocblas_fill_.private_seg_size, 0
	.set _ZN9rocsolver6v33100L8set_zeroIdPdEEviiT0_iil13rocblas_fill_.uses_vcc, 1
	.set _ZN9rocsolver6v33100L8set_zeroIdPdEEviiT0_iil13rocblas_fill_.uses_flat_scratch, 0
	.set _ZN9rocsolver6v33100L8set_zeroIdPdEEviiT0_iil13rocblas_fill_.has_dyn_sized_stack, 0
	.set _ZN9rocsolver6v33100L8set_zeroIdPdEEviiT0_iil13rocblas_fill_.has_recursion, 0
	.set _ZN9rocsolver6v33100L8set_zeroIdPdEEviiT0_iil13rocblas_fill_.has_indirect_call, 0
	.section	.AMDGPU.csdata,"",@progbits
; Kernel info:
; codeLenInByte = 448
; TotalNumSgprs: 14
; NumVgprs: 3
; ScratchSize: 0
; MemoryBound: 0
; FloatMode: 240
; IeeeMode: 1
; LDSByteSize: 0 bytes/workgroup (compile time only)
; SGPRBlocks: 0
; VGPRBlocks: 0
; NumSGPRsForWavesPerEU: 14
; NumVGPRsForWavesPerEU: 3
; NamedBarCnt: 0
; Occupancy: 16
; WaveLimiterHint : 0
; COMPUTE_PGM_RSRC2:SCRATCH_EN: 0
; COMPUTE_PGM_RSRC2:USER_SGPR: 2
; COMPUTE_PGM_RSRC2:TRAP_HANDLER: 0
; COMPUTE_PGM_RSRC2:TGID_X_EN: 1
; COMPUTE_PGM_RSRC2:TGID_Y_EN: 1
; COMPUTE_PGM_RSRC2:TGID_Z_EN: 1
; COMPUTE_PGM_RSRC2:TIDIG_COMP_CNT: 1
	.section	.text._ZN9rocsolver6v33100L14copy_trans_matIddPdS2_NS0_7no_maskEEEv18rocblas_operation_iiT1_iilT2_iilT3_13rocblas_fill_17rocblas_diagonal_,"axG",@progbits,_ZN9rocsolver6v33100L14copy_trans_matIddPdS2_NS0_7no_maskEEEv18rocblas_operation_iiT1_iilT2_iilT3_13rocblas_fill_17rocblas_diagonal_,comdat
	.globl	_ZN9rocsolver6v33100L14copy_trans_matIddPdS2_NS0_7no_maskEEEv18rocblas_operation_iiT1_iilT2_iilT3_13rocblas_fill_17rocblas_diagonal_ ; -- Begin function _ZN9rocsolver6v33100L14copy_trans_matIddPdS2_NS0_7no_maskEEEv18rocblas_operation_iiT1_iilT2_iilT3_13rocblas_fill_17rocblas_diagonal_
	.p2align	8
	.type	_ZN9rocsolver6v33100L14copy_trans_matIddPdS2_NS0_7no_maskEEEv18rocblas_operation_iiT1_iilT2_iilT3_13rocblas_fill_17rocblas_diagonal_,@function
_ZN9rocsolver6v33100L14copy_trans_matIddPdS2_NS0_7no_maskEEEv18rocblas_operation_iiT1_iilT2_iilT3_13rocblas_fill_17rocblas_diagonal_: ; @_ZN9rocsolver6v33100L14copy_trans_matIddPdS2_NS0_7no_maskEEEv18rocblas_operation_iiT1_iilT2_iilT3_13rocblas_fill_17rocblas_diagonal_
; %bb.0:
	s_clause 0x1
	s_load_b32 s2, s[0:1], 0x5c
	s_load_b96 s[12:14], s[0:1], 0x0
	s_bfe_u32 s4, ttmp6, 0x4000c
	s_bfe_u32 s6, ttmp6, 0x40010
	s_and_b32 s5, ttmp7, 0xffff
	s_add_co_i32 s4, s4, 1
	s_add_co_i32 s6, s6, 1
	s_and_b32 s3, ttmp6, 15
	s_bfe_u32 s7, ttmp6, 0x40004
	s_mul_i32 s4, ttmp9, s4
	s_mul_i32 s6, s5, s6
	s_getreg_b32 s15, hwreg(HW_REG_IB_STS2, 6, 4)
	v_bfe_u32 v1, v0, 10, 10
	v_and_b32_e32 v0, 0x3ff, v0
	s_add_co_i32 s3, s3, s4
	s_add_co_i32 s7, s7, s6
	s_wait_kmcnt 0x0
	s_lshr_b32 s4, s2, 16
	s_and_b32 s2, s2, 0xffff
	s_cmp_eq_u32 s15, 0
	s_cselect_b32 s3, ttmp9, s3
	s_cselect_b32 s5, s5, s7
	v_mad_u32 v2, s3, s2, v0
	v_mad_u32 v3, s5, s4, v1
	s_delay_alu instid0(VALU_DEP_2) | instskip(NEXT) | instid1(VALU_DEP_2)
	v_cmp_gt_u32_e32 vcc_lo, s13, v2
	v_cmp_gt_u32_e64 s2, s14, v3
	s_and_b32 s2, s2, vcc_lo
	s_delay_alu instid0(SALU_CYCLE_1)
	s_and_saveexec_b32 s3, s2
	s_cbranch_execz .LBB81_24
; %bb.1:
	s_load_b64 s[4:5], s[0:1], 0x44
	s_wait_kmcnt 0x0
	s_cmp_lt_i32 s4, 0x7a
	s_cbranch_scc1 .LBB81_4
; %bb.2:
	s_cmp_gt_i32 s4, 0x7a
	s_cbranch_scc0 .LBB81_5
; %bb.3:
	s_cmp_lg_u32 s4, 0x7b
	s_mov_b32 s3, -1
	s_cselect_b32 s6, -1, 0
	s_cbranch_execz .LBB81_6
	s_branch .LBB81_7
.LBB81_4:
	s_mov_b32 s6, 0
	s_mov_b32 s3, 0
	s_cbranch_execnz .LBB81_8
	s_branch .LBB81_10
.LBB81_5:
	s_mov_b32 s3, 0
	s_mov_b32 s6, 0
.LBB81_6:
	v_cmp_gt_u32_e32 vcc_lo, v2, v3
	v_cmp_le_u32_e64 s2, v2, v3
	s_and_not1_b32 s3, s3, exec_lo
	s_and_not1_b32 s6, s6, exec_lo
	s_and_b32 s7, vcc_lo, exec_lo
	s_and_b32 s2, s2, exec_lo
	s_or_b32 s3, s3, s7
	s_or_b32 s6, s6, s2
.LBB81_7:
	s_branch .LBB81_10
.LBB81_8:
	s_cmp_eq_u32 s4, 0x79
	s_mov_b32 s6, -1
	s_cbranch_scc0 .LBB81_10
; %bb.9:
	v_cmp_gt_u32_e32 vcc_lo, v3, v2
	v_cmp_le_u32_e64 s2, v3, v2
	s_and_not1_b32 s3, s3, exec_lo
	s_and_b32 s4, vcc_lo, exec_lo
	s_or_not1_b32 s6, s2, exec_lo
	s_or_b32 s3, s3, s4
.LBB81_10:
	s_and_saveexec_b32 s2, s6
; %bb.11:
	v_cmp_eq_u32_e32 vcc_lo, v2, v3
	s_cmp_eq_u32 s5, 0x83
	s_cselect_b32 s4, -1, 0
	s_and_not1_b32 s3, s3, exec_lo
	s_and_b32 s4, s4, vcc_lo
	s_delay_alu instid0(SALU_CYCLE_1) | instskip(NEXT) | instid1(SALU_CYCLE_1)
	s_and_b32 s4, s4, exec_lo
	s_or_b32 s3, s3, s4
; %bb.12:
	s_or_b32 exec_lo, exec_lo, s2
	s_delay_alu instid0(SALU_CYCLE_1)
	s_and_b32 exec_lo, exec_lo, s3
	s_cbranch_execz .LBB81_24
; %bb.13:
	s_load_b256 s[4:11], s[0:1], 0x10
	s_bfe_u32 s2, ttmp6, 0x40014
	s_lshr_b32 s14, ttmp7, 16
	s_add_co_i32 s2, s2, 1
	s_bfe_u32 s16, ttmp6, 0x40008
	s_mul_i32 s2, s14, s2
	s_mov_b32 s13, 0
	s_add_co_i32 s16, s16, s2
	s_mov_b32 s3, s13
	s_wait_kmcnt 0x0
	s_ashr_i32 s17, s6, 31
	s_cmp_eq_u32 s15, 0
	v_mad_u32 v0, v3, s7, v2
	s_cselect_b32 s2, s14, s16
	s_mov_b32 s16, s6
	s_mul_u64 s[8:9], s[8:9], s[2:3]
	s_lshl_b64 s[6:7], s[16:17], 3
	s_lshl_b64 s[8:9], s[8:9], 3
	s_cmp_lt_i32 s12, 0x71
	s_add_nc_u64 s[4:5], s[4:5], s[8:9]
	s_delay_alu instid0(SALU_CYCLE_1)
	s_add_nc_u64 s[4:5], s[4:5], s[6:7]
	global_load_b64 v[0:1], v0, s[4:5] scale_offset
	s_wait_xcnt 0x0
	s_load_b64 s[4:5], s[0:1], 0x30
	s_cbranch_scc1 .LBB81_16
; %bb.14:
	s_cmp_eq_u32 s12, 0x71
	s_cbranch_scc0 .LBB81_17
; %bb.15:
	s_wait_kmcnt 0x0
	v_mad_u32 v4, v2, s5, v3
	s_mov_b32 s6, 0
	s_branch .LBB81_18
.LBB81_16:
	s_mov_b32 s6, 0
                                        ; implicit-def: $vgpr4
	s_cbranch_execnz .LBB81_19
	s_branch .LBB81_20
.LBB81_17:
	s_mov_b32 s6, -1
                                        ; implicit-def: $vgpr4
.LBB81_18:
	s_branch .LBB81_20
.LBB81_19:
	s_cmp_lg_u32 s12, 0x70
	s_mov_b32 s13, -1
	s_cselect_b32 s6, -1, 0
.LBB81_20:
	s_delay_alu instid0(SALU_CYCLE_1)
	s_and_not1_b32 vcc_lo, exec_lo, s6
	s_cbranch_vccz .LBB81_25
; %bb.21:
	s_and_not1_b32 vcc_lo, exec_lo, s13
	s_cbranch_vccnz .LBB81_23
.LBB81_22:
	s_wait_kmcnt 0x0
	v_mad_u32 v4, v2, s5, v3
.LBB81_23:
	s_wait_xcnt 0x0
	s_load_b64 s[0:1], s[0:1], 0x38
	s_wait_kmcnt 0x0
	s_ashr_i32 s5, s4, 31
	s_mul_u64 s[0:1], s[0:1], s[2:3]
	s_lshl_b64 s[2:3], s[4:5], 3
	s_lshl_b64 s[0:1], s[0:1], 3
	s_delay_alu instid0(SALU_CYCLE_1) | instskip(NEXT) | instid1(SALU_CYCLE_1)
	s_add_nc_u64 s[0:1], s[10:11], s[0:1]
	s_add_nc_u64 s[0:1], s[0:1], s[2:3]
	s_wait_loadcnt 0x0
	global_store_b64 v4, v[0:1], s[0:1] scale_offset
.LBB81_24:
	s_endpgm
.LBB81_25:
	s_wait_kmcnt 0x0
	v_mad_u32 v4, v3, s5, v2
	s_cbranch_execz .LBB81_22
	s_branch .LBB81_23
	.section	.rodata,"a",@progbits
	.p2align	6, 0x0
	.amdhsa_kernel _ZN9rocsolver6v33100L14copy_trans_matIddPdS2_NS0_7no_maskEEEv18rocblas_operation_iiT1_iilT2_iilT3_13rocblas_fill_17rocblas_diagonal_
		.amdhsa_group_segment_fixed_size 0
		.amdhsa_private_segment_fixed_size 0
		.amdhsa_kernarg_size 336
		.amdhsa_user_sgpr_count 2
		.amdhsa_user_sgpr_dispatch_ptr 0
		.amdhsa_user_sgpr_queue_ptr 0
		.amdhsa_user_sgpr_kernarg_segment_ptr 1
		.amdhsa_user_sgpr_dispatch_id 0
		.amdhsa_user_sgpr_kernarg_preload_length 0
		.amdhsa_user_sgpr_kernarg_preload_offset 0
		.amdhsa_user_sgpr_private_segment_size 0
		.amdhsa_wavefront_size32 1
		.amdhsa_uses_dynamic_stack 0
		.amdhsa_enable_private_segment 0
		.amdhsa_system_sgpr_workgroup_id_x 1
		.amdhsa_system_sgpr_workgroup_id_y 1
		.amdhsa_system_sgpr_workgroup_id_z 1
		.amdhsa_system_sgpr_workgroup_info 0
		.amdhsa_system_vgpr_workitem_id 1
		.amdhsa_next_free_vgpr 5
		.amdhsa_next_free_sgpr 18
		.amdhsa_named_barrier_count 0
		.amdhsa_reserve_vcc 1
		.amdhsa_float_round_mode_32 0
		.amdhsa_float_round_mode_16_64 0
		.amdhsa_float_denorm_mode_32 3
		.amdhsa_float_denorm_mode_16_64 3
		.amdhsa_fp16_overflow 0
		.amdhsa_memory_ordered 1
		.amdhsa_forward_progress 1
		.amdhsa_inst_pref_size 6
		.amdhsa_round_robin_scheduling 0
		.amdhsa_exception_fp_ieee_invalid_op 0
		.amdhsa_exception_fp_denorm_src 0
		.amdhsa_exception_fp_ieee_div_zero 0
		.amdhsa_exception_fp_ieee_overflow 0
		.amdhsa_exception_fp_ieee_underflow 0
		.amdhsa_exception_fp_ieee_inexact 0
		.amdhsa_exception_int_div_zero 0
	.end_amdhsa_kernel
	.section	.text._ZN9rocsolver6v33100L14copy_trans_matIddPdS2_NS0_7no_maskEEEv18rocblas_operation_iiT1_iilT2_iilT3_13rocblas_fill_17rocblas_diagonal_,"axG",@progbits,_ZN9rocsolver6v33100L14copy_trans_matIddPdS2_NS0_7no_maskEEEv18rocblas_operation_iiT1_iilT2_iilT3_13rocblas_fill_17rocblas_diagonal_,comdat
.Lfunc_end81:
	.size	_ZN9rocsolver6v33100L14copy_trans_matIddPdS2_NS0_7no_maskEEEv18rocblas_operation_iiT1_iilT2_iilT3_13rocblas_fill_17rocblas_diagonal_, .Lfunc_end81-_ZN9rocsolver6v33100L14copy_trans_matIddPdS2_NS0_7no_maskEEEv18rocblas_operation_iiT1_iilT2_iilT3_13rocblas_fill_17rocblas_diagonal_
                                        ; -- End function
	.set _ZN9rocsolver6v33100L14copy_trans_matIddPdS2_NS0_7no_maskEEEv18rocblas_operation_iiT1_iilT2_iilT3_13rocblas_fill_17rocblas_diagonal_.num_vgpr, 5
	.set _ZN9rocsolver6v33100L14copy_trans_matIddPdS2_NS0_7no_maskEEEv18rocblas_operation_iiT1_iilT2_iilT3_13rocblas_fill_17rocblas_diagonal_.num_agpr, 0
	.set _ZN9rocsolver6v33100L14copy_trans_matIddPdS2_NS0_7no_maskEEEv18rocblas_operation_iiT1_iilT2_iilT3_13rocblas_fill_17rocblas_diagonal_.numbered_sgpr, 18
	.set _ZN9rocsolver6v33100L14copy_trans_matIddPdS2_NS0_7no_maskEEEv18rocblas_operation_iiT1_iilT2_iilT3_13rocblas_fill_17rocblas_diagonal_.num_named_barrier, 0
	.set _ZN9rocsolver6v33100L14copy_trans_matIddPdS2_NS0_7no_maskEEEv18rocblas_operation_iiT1_iilT2_iilT3_13rocblas_fill_17rocblas_diagonal_.private_seg_size, 0
	.set _ZN9rocsolver6v33100L14copy_trans_matIddPdS2_NS0_7no_maskEEEv18rocblas_operation_iiT1_iilT2_iilT3_13rocblas_fill_17rocblas_diagonal_.uses_vcc, 1
	.set _ZN9rocsolver6v33100L14copy_trans_matIddPdS2_NS0_7no_maskEEEv18rocblas_operation_iiT1_iilT2_iilT3_13rocblas_fill_17rocblas_diagonal_.uses_flat_scratch, 0
	.set _ZN9rocsolver6v33100L14copy_trans_matIddPdS2_NS0_7no_maskEEEv18rocblas_operation_iiT1_iilT2_iilT3_13rocblas_fill_17rocblas_diagonal_.has_dyn_sized_stack, 0
	.set _ZN9rocsolver6v33100L14copy_trans_matIddPdS2_NS0_7no_maskEEEv18rocblas_operation_iiT1_iilT2_iilT3_13rocblas_fill_17rocblas_diagonal_.has_recursion, 0
	.set _ZN9rocsolver6v33100L14copy_trans_matIddPdS2_NS0_7no_maskEEEv18rocblas_operation_iiT1_iilT2_iilT3_13rocblas_fill_17rocblas_diagonal_.has_indirect_call, 0
	.section	.AMDGPU.csdata,"",@progbits
; Kernel info:
; codeLenInByte = 720
; TotalNumSgprs: 20
; NumVgprs: 5
; ScratchSize: 0
; MemoryBound: 0
; FloatMode: 240
; IeeeMode: 1
; LDSByteSize: 0 bytes/workgroup (compile time only)
; SGPRBlocks: 0
; VGPRBlocks: 0
; NumSGPRsForWavesPerEU: 20
; NumVGPRsForWavesPerEU: 5
; NamedBarCnt: 0
; Occupancy: 16
; WaveLimiterHint : 0
; COMPUTE_PGM_RSRC2:SCRATCH_EN: 0
; COMPUTE_PGM_RSRC2:USER_SGPR: 2
; COMPUTE_PGM_RSRC2:TRAP_HANDLER: 0
; COMPUTE_PGM_RSRC2:TGID_X_EN: 1
; COMPUTE_PGM_RSRC2:TGID_Y_EN: 1
; COMPUTE_PGM_RSRC2:TGID_Z_EN: 1
; COMPUTE_PGM_RSRC2:TIDIG_COMP_CNT: 1
	.section	.text._ZN9rocsolver6v33100L16orgl2_init_identIdPdEEviiiT0_iil,"axG",@progbits,_ZN9rocsolver6v33100L16orgl2_init_identIdPdEEviiiT0_iil,comdat
	.globl	_ZN9rocsolver6v33100L16orgl2_init_identIdPdEEviiiT0_iil ; -- Begin function _ZN9rocsolver6v33100L16orgl2_init_identIdPdEEviiiT0_iil
	.p2align	8
	.type	_ZN9rocsolver6v33100L16orgl2_init_identIdPdEEviiiT0_iil,@function
_ZN9rocsolver6v33100L16orgl2_init_identIdPdEEviiiT0_iil: ; @_ZN9rocsolver6v33100L16orgl2_init_identIdPdEEviiiT0_iil
; %bb.0:
	s_clause 0x1
	s_load_b32 s2, s[0:1], 0x34
	s_load_b96 s[4:6], s[0:1], 0x0
	s_bfe_u32 s8, ttmp6, 0x4000c
	s_bfe_u32 s10, ttmp6, 0x40010
	s_and_b32 s9, ttmp7, 0xffff
	s_add_co_i32 s8, s8, 1
	s_add_co_i32 s10, s10, 1
	s_and_b32 s3, ttmp6, 15
	s_bfe_u32 s11, ttmp6, 0x40004
	s_mul_i32 s8, ttmp9, s8
	s_mul_i32 s10, s9, s10
	s_getreg_b32 s7, hwreg(HW_REG_IB_STS2, 6, 4)
	v_bfe_u32 v1, v0, 10, 10
	v_and_b32_e32 v0, 0x3ff, v0
	s_add_co_i32 s3, s3, s8
	s_add_co_i32 s11, s11, s10
	s_wait_kmcnt 0x0
	s_lshr_b32 s8, s2, 16
	s_and_b32 s2, s2, 0xffff
	s_cmp_eq_u32 s7, 0
	s_cselect_b32 s3, ttmp9, s3
	s_cselect_b32 s9, s9, s11
	v_mad_u32 v0, s3, s2, v0
	v_mad_u32 v3, s9, s8, v1
	s_delay_alu instid0(VALU_DEP_2) | instskip(NEXT) | instid1(VALU_DEP_2)
	v_cmp_gt_u32_e32 vcc_lo, s4, v0
	v_cmp_gt_u32_e64 s2, s5, v3
	s_mov_b32 s5, 0
	s_and_b32 s2, vcc_lo, s2
	s_delay_alu instid0(SALU_CYCLE_1)
	s_and_saveexec_b32 s3, s2
	s_cbranch_execz .LBB82_5
; %bb.1:
	s_load_b64 s[2:3], s[0:1], 0x18
	s_mov_b32 s4, exec_lo
                                        ; implicit-def: $vgpr2
	v_cmpx_ne_u32_e64 v0, v3
	s_xor_b32 s4, exec_lo, s4
	s_cbranch_execnz .LBB82_6
; %bb.2:
	s_or_saveexec_b32 s4, s4
	v_mov_b64_e32 v[0:1], 0
	s_xor_b32 exec_lo, exec_lo, s4
	s_cbranch_execnz .LBB82_13
.LBB82_3:
	s_or_b32 exec_lo, exec_lo, s4
	s_delay_alu instid0(SALU_CYCLE_1)
	s_and_b32 exec_lo, exec_lo, s5
	s_cbranch_execz .LBB82_5
.LBB82_4:
	s_clause 0x1
	s_load_b64 s[4:5], s[0:1], 0x20
	s_load_b64 s[8:9], s[0:1], 0x10
	s_wait_xcnt 0x0
	s_bfe_u32 s0, ttmp6, 0x40014
	s_lshr_b32 s6, ttmp7, 16
	s_add_co_i32 s0, s0, 1
	s_bfe_u32 s1, ttmp6, 0x40008
	s_mul_i32 s0, s6, s0
	s_wait_kmcnt 0x0
	s_ashr_i32 s3, s2, 31
	s_add_co_i32 s0, s1, s0
	s_cmp_eq_u32 s7, 0
	s_mov_b32 s1, 0
	s_cselect_b32 s0, s6, s0
	s_lshl_b64 s[2:3], s[2:3], 3
	s_mul_u64 s[0:1], s[4:5], s[0:1]
	s_delay_alu instid0(SALU_CYCLE_1) | instskip(NEXT) | instid1(SALU_CYCLE_1)
	s_lshl_b64 s[0:1], s[0:1], 3
	s_add_nc_u64 s[0:1], s[8:9], s[0:1]
	s_delay_alu instid0(SALU_CYCLE_1)
	s_add_nc_u64 s[0:1], s[0:1], s[2:3]
	global_store_b64 v2, v[0:1], s[0:1] scale_offset
.LBB82_5:
	s_endpgm
.LBB82_6:
	s_mov_b32 s8, exec_lo
                                        ; implicit-def: $vgpr2
	v_cmpx_ge_u32_e64 v3, v0
	s_xor_b32 s8, exec_lo, s8
	s_cbranch_execz .LBB82_10
; %bb.7:
	v_cmp_le_u32_e32 vcc_lo, s6, v0
                                        ; implicit-def: $vgpr2
	s_and_saveexec_b32 s6, vcc_lo
	s_delay_alu instid0(SALU_CYCLE_1)
	s_xor_b32 s6, exec_lo, s6
	s_cbranch_execz .LBB82_9
; %bb.8:
	s_wait_kmcnt 0x0
	v_mad_u32 v2, v3, s3, v0
	s_mov_b32 s5, exec_lo
.LBB82_9:
	s_or_b32 exec_lo, exec_lo, s6
	s_delay_alu instid0(SALU_CYCLE_1)
	s_and_b32 s5, s5, exec_lo
                                        ; implicit-def: $vgpr3
                                        ; implicit-def: $vgpr0
.LBB82_10:
	s_and_not1_saveexec_b32 s6, s8
	s_cbranch_execz .LBB82_12
; %bb.11:
	s_wait_kmcnt 0x0
	v_mad_u32 v2, v3, s3, v0
	s_or_b32 s5, s5, exec_lo
.LBB82_12:
	s_or_b32 exec_lo, exec_lo, s6
	s_delay_alu instid0(SALU_CYCLE_1)
	s_and_b32 s5, s5, exec_lo
                                        ; implicit-def: $vgpr3
	s_or_saveexec_b32 s4, s4
	v_mov_b64_e32 v[0:1], 0
	s_xor_b32 exec_lo, exec_lo, s4
	s_cbranch_execz .LBB82_3
.LBB82_13:
	s_wait_kmcnt 0x0
	v_mad_u32 v2, v3, s3, v3
	v_mov_b64_e32 v[0:1], 1.0
	s_or_b32 s5, s5, exec_lo
	s_or_b32 exec_lo, exec_lo, s4
	s_delay_alu instid0(SALU_CYCLE_1)
	s_and_b32 exec_lo, exec_lo, s5
	s_cbranch_execnz .LBB82_4
	s_branch .LBB82_5
	.section	.rodata,"a",@progbits
	.p2align	6, 0x0
	.amdhsa_kernel _ZN9rocsolver6v33100L16orgl2_init_identIdPdEEviiiT0_iil
		.amdhsa_group_segment_fixed_size 0
		.amdhsa_private_segment_fixed_size 0
		.amdhsa_kernarg_size 296
		.amdhsa_user_sgpr_count 2
		.amdhsa_user_sgpr_dispatch_ptr 0
		.amdhsa_user_sgpr_queue_ptr 0
		.amdhsa_user_sgpr_kernarg_segment_ptr 1
		.amdhsa_user_sgpr_dispatch_id 0
		.amdhsa_user_sgpr_kernarg_preload_length 0
		.amdhsa_user_sgpr_kernarg_preload_offset 0
		.amdhsa_user_sgpr_private_segment_size 0
		.amdhsa_wavefront_size32 1
		.amdhsa_uses_dynamic_stack 0
		.amdhsa_enable_private_segment 0
		.amdhsa_system_sgpr_workgroup_id_x 1
		.amdhsa_system_sgpr_workgroup_id_y 1
		.amdhsa_system_sgpr_workgroup_id_z 1
		.amdhsa_system_sgpr_workgroup_info 0
		.amdhsa_system_vgpr_workitem_id 1
		.amdhsa_next_free_vgpr 4
		.amdhsa_next_free_sgpr 12
		.amdhsa_named_barrier_count 0
		.amdhsa_reserve_vcc 1
		.amdhsa_float_round_mode_32 0
		.amdhsa_float_round_mode_16_64 0
		.amdhsa_float_denorm_mode_32 3
		.amdhsa_float_denorm_mode_16_64 3
		.amdhsa_fp16_overflow 0
		.amdhsa_memory_ordered 1
		.amdhsa_forward_progress 1
		.amdhsa_inst_pref_size 5
		.amdhsa_round_robin_scheduling 0
		.amdhsa_exception_fp_ieee_invalid_op 0
		.amdhsa_exception_fp_denorm_src 0
		.amdhsa_exception_fp_ieee_div_zero 0
		.amdhsa_exception_fp_ieee_overflow 0
		.amdhsa_exception_fp_ieee_underflow 0
		.amdhsa_exception_fp_ieee_inexact 0
		.amdhsa_exception_int_div_zero 0
	.end_amdhsa_kernel
	.section	.text._ZN9rocsolver6v33100L16orgl2_init_identIdPdEEviiiT0_iil,"axG",@progbits,_ZN9rocsolver6v33100L16orgl2_init_identIdPdEEviiiT0_iil,comdat
.Lfunc_end82:
	.size	_ZN9rocsolver6v33100L16orgl2_init_identIdPdEEviiiT0_iil, .Lfunc_end82-_ZN9rocsolver6v33100L16orgl2_init_identIdPdEEviiiT0_iil
                                        ; -- End function
	.set _ZN9rocsolver6v33100L16orgl2_init_identIdPdEEviiiT0_iil.num_vgpr, 4
	.set _ZN9rocsolver6v33100L16orgl2_init_identIdPdEEviiiT0_iil.num_agpr, 0
	.set _ZN9rocsolver6v33100L16orgl2_init_identIdPdEEviiiT0_iil.numbered_sgpr, 12
	.set _ZN9rocsolver6v33100L16orgl2_init_identIdPdEEviiiT0_iil.num_named_barrier, 0
	.set _ZN9rocsolver6v33100L16orgl2_init_identIdPdEEviiiT0_iil.private_seg_size, 0
	.set _ZN9rocsolver6v33100L16orgl2_init_identIdPdEEviiiT0_iil.uses_vcc, 1
	.set _ZN9rocsolver6v33100L16orgl2_init_identIdPdEEviiiT0_iil.uses_flat_scratch, 0
	.set _ZN9rocsolver6v33100L16orgl2_init_identIdPdEEviiiT0_iil.has_dyn_sized_stack, 0
	.set _ZN9rocsolver6v33100L16orgl2_init_identIdPdEEviiiT0_iil.has_recursion, 0
	.set _ZN9rocsolver6v33100L16orgl2_init_identIdPdEEviiiT0_iil.has_indirect_call, 0
	.section	.AMDGPU.csdata,"",@progbits
; Kernel info:
; codeLenInByte = 520
; TotalNumSgprs: 14
; NumVgprs: 4
; ScratchSize: 0
; MemoryBound: 0
; FloatMode: 240
; IeeeMode: 1
; LDSByteSize: 0 bytes/workgroup (compile time only)
; SGPRBlocks: 0
; VGPRBlocks: 0
; NumSGPRsForWavesPerEU: 14
; NumVGPRsForWavesPerEU: 4
; NamedBarCnt: 0
; Occupancy: 16
; WaveLimiterHint : 0
; COMPUTE_PGM_RSRC2:SCRATCH_EN: 0
; COMPUTE_PGM_RSRC2:USER_SGPR: 2
; COMPUTE_PGM_RSRC2:TRAP_HANDLER: 0
; COMPUTE_PGM_RSRC2:TGID_X_EN: 1
; COMPUTE_PGM_RSRC2:TGID_Y_EN: 1
; COMPUTE_PGM_RSRC2:TGID_Z_EN: 1
; COMPUTE_PGM_RSRC2:TIDIG_COMP_CNT: 1
	.section	.text._ZN9rocsolver6v33100L6iota_nI19rocblas_complex_numIfEEEvPT_jS4_,"axG",@progbits,_ZN9rocsolver6v33100L6iota_nI19rocblas_complex_numIfEEEvPT_jS4_,comdat
	.globl	_ZN9rocsolver6v33100L6iota_nI19rocblas_complex_numIfEEEvPT_jS4_ ; -- Begin function _ZN9rocsolver6v33100L6iota_nI19rocblas_complex_numIfEEEvPT_jS4_
	.p2align	8
	.type	_ZN9rocsolver6v33100L6iota_nI19rocblas_complex_numIfEEEvPT_jS4_,@function
_ZN9rocsolver6v33100L6iota_nI19rocblas_complex_numIfEEEvPT_jS4_: ; @_ZN9rocsolver6v33100L6iota_nI19rocblas_complex_numIfEEEvPT_jS4_
; %bb.0:
	s_load_b32 s2, s[0:1], 0x8
	s_wait_kmcnt 0x0
	v_cmp_gt_u32_e32 vcc_lo, s2, v0
	s_and_saveexec_b32 s2, vcc_lo
	s_cbranch_execz .LBB83_2
; %bb.1:
	s_clause 0x1
	s_load_b64 s[2:3], s[0:1], 0xc
	s_load_b64 s[4:5], s[0:1], 0x0
	v_cvt_f32_ubyte0_e32 v2, v0
	v_mov_b32_e32 v3, 0
	s_wait_kmcnt 0x0
	v_mov_b64_e32 v[4:5], s[2:3]
	s_delay_alu instid0(VALU_DEP_1)
	v_pk_add_f32 v[2:3], v[4:5], v[2:3]
	global_store_b64 v0, v[2:3], s[4:5] scale_offset
.LBB83_2:
	s_endpgm
	.section	.rodata,"a",@progbits
	.p2align	6, 0x0
	.amdhsa_kernel _ZN9rocsolver6v33100L6iota_nI19rocblas_complex_numIfEEEvPT_jS4_
		.amdhsa_group_segment_fixed_size 0
		.amdhsa_private_segment_fixed_size 0
		.amdhsa_kernarg_size 20
		.amdhsa_user_sgpr_count 2
		.amdhsa_user_sgpr_dispatch_ptr 0
		.amdhsa_user_sgpr_queue_ptr 0
		.amdhsa_user_sgpr_kernarg_segment_ptr 1
		.amdhsa_user_sgpr_dispatch_id 0
		.amdhsa_user_sgpr_kernarg_preload_length 0
		.amdhsa_user_sgpr_kernarg_preload_offset 0
		.amdhsa_user_sgpr_private_segment_size 0
		.amdhsa_wavefront_size32 1
		.amdhsa_uses_dynamic_stack 0
		.amdhsa_enable_private_segment 0
		.amdhsa_system_sgpr_workgroup_id_x 1
		.amdhsa_system_sgpr_workgroup_id_y 0
		.amdhsa_system_sgpr_workgroup_id_z 0
		.amdhsa_system_sgpr_workgroup_info 0
		.amdhsa_system_vgpr_workitem_id 0
		.amdhsa_next_free_vgpr 6
		.amdhsa_next_free_sgpr 6
		.amdhsa_named_barrier_count 0
		.amdhsa_reserve_vcc 1
		.amdhsa_float_round_mode_32 0
		.amdhsa_float_round_mode_16_64 0
		.amdhsa_float_denorm_mode_32 3
		.amdhsa_float_denorm_mode_16_64 3
		.amdhsa_fp16_overflow 0
		.amdhsa_memory_ordered 1
		.amdhsa_forward_progress 1
		.amdhsa_inst_pref_size 1
		.amdhsa_round_robin_scheduling 0
		.amdhsa_exception_fp_ieee_invalid_op 0
		.amdhsa_exception_fp_denorm_src 0
		.amdhsa_exception_fp_ieee_div_zero 0
		.amdhsa_exception_fp_ieee_overflow 0
		.amdhsa_exception_fp_ieee_underflow 0
		.amdhsa_exception_fp_ieee_inexact 0
		.amdhsa_exception_int_div_zero 0
	.end_amdhsa_kernel
	.section	.text._ZN9rocsolver6v33100L6iota_nI19rocblas_complex_numIfEEEvPT_jS4_,"axG",@progbits,_ZN9rocsolver6v33100L6iota_nI19rocblas_complex_numIfEEEvPT_jS4_,comdat
.Lfunc_end83:
	.size	_ZN9rocsolver6v33100L6iota_nI19rocblas_complex_numIfEEEvPT_jS4_, .Lfunc_end83-_ZN9rocsolver6v33100L6iota_nI19rocblas_complex_numIfEEEvPT_jS4_
                                        ; -- End function
	.set _ZN9rocsolver6v33100L6iota_nI19rocblas_complex_numIfEEEvPT_jS4_.num_vgpr, 6
	.set _ZN9rocsolver6v33100L6iota_nI19rocblas_complex_numIfEEEvPT_jS4_.num_agpr, 0
	.set _ZN9rocsolver6v33100L6iota_nI19rocblas_complex_numIfEEEvPT_jS4_.numbered_sgpr, 6
	.set _ZN9rocsolver6v33100L6iota_nI19rocblas_complex_numIfEEEvPT_jS4_.num_named_barrier, 0
	.set _ZN9rocsolver6v33100L6iota_nI19rocblas_complex_numIfEEEvPT_jS4_.private_seg_size, 0
	.set _ZN9rocsolver6v33100L6iota_nI19rocblas_complex_numIfEEEvPT_jS4_.uses_vcc, 1
	.set _ZN9rocsolver6v33100L6iota_nI19rocblas_complex_numIfEEEvPT_jS4_.uses_flat_scratch, 0
	.set _ZN9rocsolver6v33100L6iota_nI19rocblas_complex_numIfEEEvPT_jS4_.has_dyn_sized_stack, 0
	.set _ZN9rocsolver6v33100L6iota_nI19rocblas_complex_numIfEEEvPT_jS4_.has_recursion, 0
	.set _ZN9rocsolver6v33100L6iota_nI19rocblas_complex_numIfEEEvPT_jS4_.has_indirect_call, 0
	.section	.AMDGPU.csdata,"",@progbits
; Kernel info:
; codeLenInByte = 88
; TotalNumSgprs: 8
; NumVgprs: 6
; ScratchSize: 0
; MemoryBound: 0
; FloatMode: 240
; IeeeMode: 1
; LDSByteSize: 0 bytes/workgroup (compile time only)
; SGPRBlocks: 0
; VGPRBlocks: 0
; NumSGPRsForWavesPerEU: 8
; NumVGPRsForWavesPerEU: 6
; NamedBarCnt: 0
; Occupancy: 16
; WaveLimiterHint : 0
; COMPUTE_PGM_RSRC2:SCRATCH_EN: 0
; COMPUTE_PGM_RSRC2:USER_SGPR: 2
; COMPUTE_PGM_RSRC2:TRAP_HANDLER: 0
; COMPUTE_PGM_RSRC2:TGID_X_EN: 1
; COMPUTE_PGM_RSRC2:TGID_Y_EN: 0
; COMPUTE_PGM_RSRC2:TGID_Z_EN: 0
; COMPUTE_PGM_RSRC2:TIDIG_COMP_CNT: 0
	.section	.text._ZN9rocsolver6v33100L16syev_scalar_caseI19rocblas_complex_numIfEfPS3_TnNSt9enable_ifIX18rocblas_is_complexIT_EEiE4typeELi0EEEv14rocblas_evect_T1_lPT0_li,"axG",@progbits,_ZN9rocsolver6v33100L16syev_scalar_caseI19rocblas_complex_numIfEfPS3_TnNSt9enable_ifIX18rocblas_is_complexIT_EEiE4typeELi0EEEv14rocblas_evect_T1_lPT0_li,comdat
	.globl	_ZN9rocsolver6v33100L16syev_scalar_caseI19rocblas_complex_numIfEfPS3_TnNSt9enable_ifIX18rocblas_is_complexIT_EEiE4typeELi0EEEv14rocblas_evect_T1_lPT0_li ; -- Begin function _ZN9rocsolver6v33100L16syev_scalar_caseI19rocblas_complex_numIfEfPS3_TnNSt9enable_ifIX18rocblas_is_complexIT_EEiE4typeELi0EEEv14rocblas_evect_T1_lPT0_li
	.p2align	8
	.type	_ZN9rocsolver6v33100L16syev_scalar_caseI19rocblas_complex_numIfEfPS3_TnNSt9enable_ifIX18rocblas_is_complexIT_EEiE4typeELi0EEEv14rocblas_evect_T1_lPT0_li,@function
_ZN9rocsolver6v33100L16syev_scalar_caseI19rocblas_complex_numIfEfPS3_TnNSt9enable_ifIX18rocblas_is_complexIT_EEiE4typeELi0EEEv14rocblas_evect_T1_lPT0_li: ; @_ZN9rocsolver6v33100L16syev_scalar_caseI19rocblas_complex_numIfEfPS3_TnNSt9enable_ifIX18rocblas_is_complexIT_EEiE4typeELi0EEEv14rocblas_evect_T1_lPT0_li
; %bb.0:
	s_clause 0x1
	s_load_b32 s2, s[0:1], 0x3c
	s_load_b32 s3, s[0:1], 0x28
	s_bfe_u32 s4, ttmp6, 0x4000c
	s_and_b32 s5, ttmp6, 15
	s_add_co_i32 s4, s4, 1
	s_getreg_b32 s6, hwreg(HW_REG_IB_STS2, 6, 4)
	s_mul_i32 s4, ttmp9, s4
	s_delay_alu instid0(SALU_CYCLE_1) | instskip(SKIP_4) | instid1(SALU_CYCLE_1)
	s_add_co_i32 s5, s5, s4
	s_wait_kmcnt 0x0
	s_and_b32 s2, s2, 0xffff
	s_cmp_eq_u32 s6, 0
	s_cselect_b32 s4, ttmp9, s5
	v_mad_u32 v0, s4, s2, v0
	s_mov_b32 s2, exec_lo
	s_delay_alu instid0(VALU_DEP_1)
	v_cmpx_gt_i32_e64 s3, v0
	s_cbranch_execz .LBB84_3
; %bb.1:
	s_load_b256 s[4:11], s[0:1], 0x8
	v_ashrrev_i32_e32 v1, 31, v0
	s_wait_xcnt 0x0
	s_load_b32 s0, s[0:1], 0x0
	s_wait_kmcnt 0x0
	s_delay_alu instid0(VALU_DEP_1) | instskip(SKIP_2) | instid1(VALU_DEP_2)
	v_mul_u64_e32 v[2:3], s[6:7], v[0:1]
	v_mul_u64_e32 v[0:1], s[10:11], v[0:1]
	s_cmp_lg_u32 s0, 0xd3
	v_lshl_add_u64 v[2:3], v[2:3], 3, s[4:5]
	s_delay_alu instid0(VALU_DEP_2)
	v_lshl_add_u64 v[0:1], v[0:1], 2, s[8:9]
	global_load_b32 v4, v[2:3], off
	s_wait_loadcnt 0x0
	global_store_b32 v[0:1], v4, off
	s_cbranch_scc1 .LBB84_3
; %bb.2:
	s_wait_xcnt 0x0
	v_mov_b64_e32 v[0:1], 0x3f800000
	global_store_b64 v[2:3], v[0:1], off
.LBB84_3:
	s_endpgm
	.section	.rodata,"a",@progbits
	.p2align	6, 0x0
	.amdhsa_kernel _ZN9rocsolver6v33100L16syev_scalar_caseI19rocblas_complex_numIfEfPS3_TnNSt9enable_ifIX18rocblas_is_complexIT_EEiE4typeELi0EEEv14rocblas_evect_T1_lPT0_li
		.amdhsa_group_segment_fixed_size 0
		.amdhsa_private_segment_fixed_size 0
		.amdhsa_kernarg_size 304
		.amdhsa_user_sgpr_count 2
		.amdhsa_user_sgpr_dispatch_ptr 0
		.amdhsa_user_sgpr_queue_ptr 0
		.amdhsa_user_sgpr_kernarg_segment_ptr 1
		.amdhsa_user_sgpr_dispatch_id 0
		.amdhsa_user_sgpr_kernarg_preload_length 0
		.amdhsa_user_sgpr_kernarg_preload_offset 0
		.amdhsa_user_sgpr_private_segment_size 0
		.amdhsa_wavefront_size32 1
		.amdhsa_uses_dynamic_stack 0
		.amdhsa_enable_private_segment 0
		.amdhsa_system_sgpr_workgroup_id_x 1
		.amdhsa_system_sgpr_workgroup_id_y 0
		.amdhsa_system_sgpr_workgroup_id_z 0
		.amdhsa_system_sgpr_workgroup_info 0
		.amdhsa_system_vgpr_workitem_id 0
		.amdhsa_next_free_vgpr 5
		.amdhsa_next_free_sgpr 12
		.amdhsa_named_barrier_count 0
		.amdhsa_reserve_vcc 0
		.amdhsa_float_round_mode_32 0
		.amdhsa_float_round_mode_16_64 0
		.amdhsa_float_denorm_mode_32 3
		.amdhsa_float_denorm_mode_16_64 3
		.amdhsa_fp16_overflow 0
		.amdhsa_memory_ordered 1
		.amdhsa_forward_progress 1
		.amdhsa_inst_pref_size 2
		.amdhsa_round_robin_scheduling 0
		.amdhsa_exception_fp_ieee_invalid_op 0
		.amdhsa_exception_fp_denorm_src 0
		.amdhsa_exception_fp_ieee_div_zero 0
		.amdhsa_exception_fp_ieee_overflow 0
		.amdhsa_exception_fp_ieee_underflow 0
		.amdhsa_exception_fp_ieee_inexact 0
		.amdhsa_exception_int_div_zero 0
	.end_amdhsa_kernel
	.section	.text._ZN9rocsolver6v33100L16syev_scalar_caseI19rocblas_complex_numIfEfPS3_TnNSt9enable_ifIX18rocblas_is_complexIT_EEiE4typeELi0EEEv14rocblas_evect_T1_lPT0_li,"axG",@progbits,_ZN9rocsolver6v33100L16syev_scalar_caseI19rocblas_complex_numIfEfPS3_TnNSt9enable_ifIX18rocblas_is_complexIT_EEiE4typeELi0EEEv14rocblas_evect_T1_lPT0_li,comdat
.Lfunc_end84:
	.size	_ZN9rocsolver6v33100L16syev_scalar_caseI19rocblas_complex_numIfEfPS3_TnNSt9enable_ifIX18rocblas_is_complexIT_EEiE4typeELi0EEEv14rocblas_evect_T1_lPT0_li, .Lfunc_end84-_ZN9rocsolver6v33100L16syev_scalar_caseI19rocblas_complex_numIfEfPS3_TnNSt9enable_ifIX18rocblas_is_complexIT_EEiE4typeELi0EEEv14rocblas_evect_T1_lPT0_li
                                        ; -- End function
	.set _ZN9rocsolver6v33100L16syev_scalar_caseI19rocblas_complex_numIfEfPS3_TnNSt9enable_ifIX18rocblas_is_complexIT_EEiE4typeELi0EEEv14rocblas_evect_T1_lPT0_li.num_vgpr, 5
	.set _ZN9rocsolver6v33100L16syev_scalar_caseI19rocblas_complex_numIfEfPS3_TnNSt9enable_ifIX18rocblas_is_complexIT_EEiE4typeELi0EEEv14rocblas_evect_T1_lPT0_li.num_agpr, 0
	.set _ZN9rocsolver6v33100L16syev_scalar_caseI19rocblas_complex_numIfEfPS3_TnNSt9enable_ifIX18rocblas_is_complexIT_EEiE4typeELi0EEEv14rocblas_evect_T1_lPT0_li.numbered_sgpr, 12
	.set _ZN9rocsolver6v33100L16syev_scalar_caseI19rocblas_complex_numIfEfPS3_TnNSt9enable_ifIX18rocblas_is_complexIT_EEiE4typeELi0EEEv14rocblas_evect_T1_lPT0_li.num_named_barrier, 0
	.set _ZN9rocsolver6v33100L16syev_scalar_caseI19rocblas_complex_numIfEfPS3_TnNSt9enable_ifIX18rocblas_is_complexIT_EEiE4typeELi0EEEv14rocblas_evect_T1_lPT0_li.private_seg_size, 0
	.set _ZN9rocsolver6v33100L16syev_scalar_caseI19rocblas_complex_numIfEfPS3_TnNSt9enable_ifIX18rocblas_is_complexIT_EEiE4typeELi0EEEv14rocblas_evect_T1_lPT0_li.uses_vcc, 0
	.set _ZN9rocsolver6v33100L16syev_scalar_caseI19rocblas_complex_numIfEfPS3_TnNSt9enable_ifIX18rocblas_is_complexIT_EEiE4typeELi0EEEv14rocblas_evect_T1_lPT0_li.uses_flat_scratch, 0
	.set _ZN9rocsolver6v33100L16syev_scalar_caseI19rocblas_complex_numIfEfPS3_TnNSt9enable_ifIX18rocblas_is_complexIT_EEiE4typeELi0EEEv14rocblas_evect_T1_lPT0_li.has_dyn_sized_stack, 0
	.set _ZN9rocsolver6v33100L16syev_scalar_caseI19rocblas_complex_numIfEfPS3_TnNSt9enable_ifIX18rocblas_is_complexIT_EEiE4typeELi0EEEv14rocblas_evect_T1_lPT0_li.has_recursion, 0
	.set _ZN9rocsolver6v33100L16syev_scalar_caseI19rocblas_complex_numIfEfPS3_TnNSt9enable_ifIX18rocblas_is_complexIT_EEiE4typeELi0EEEv14rocblas_evect_T1_lPT0_li.has_indirect_call, 0
	.section	.AMDGPU.csdata,"",@progbits
; Kernel info:
; codeLenInByte = 228
; TotalNumSgprs: 12
; NumVgprs: 5
; ScratchSize: 0
; MemoryBound: 0
; FloatMode: 240
; IeeeMode: 1
; LDSByteSize: 0 bytes/workgroup (compile time only)
; SGPRBlocks: 0
; VGPRBlocks: 0
; NumSGPRsForWavesPerEU: 12
; NumVGPRsForWavesPerEU: 5
; NamedBarCnt: 0
; Occupancy: 16
; WaveLimiterHint : 0
; COMPUTE_PGM_RSRC2:SCRATCH_EN: 0
; COMPUTE_PGM_RSRC2:USER_SGPR: 2
; COMPUTE_PGM_RSRC2:TRAP_HANDLER: 0
; COMPUTE_PGM_RSRC2:TGID_X_EN: 1
; COMPUTE_PGM_RSRC2:TGID_Y_EN: 0
; COMPUTE_PGM_RSRC2:TGID_Z_EN: 0
; COMPUTE_PGM_RSRC2:TIDIG_COMP_CNT: 0
	.section	.text._ZN9rocsolver6v33100L18syevj_small_kernelI19rocblas_complex_numIfEfPS3_EEv14rocblas_esort_14rocblas_evect_13rocblas_fill_iT1_iilT0_S9_PS9_iPiSA_lSB_PT_,"axG",@progbits,_ZN9rocsolver6v33100L18syevj_small_kernelI19rocblas_complex_numIfEfPS3_EEv14rocblas_esort_14rocblas_evect_13rocblas_fill_iT1_iilT0_S9_PS9_iPiSA_lSB_PT_,comdat
	.globl	_ZN9rocsolver6v33100L18syevj_small_kernelI19rocblas_complex_numIfEfPS3_EEv14rocblas_esort_14rocblas_evect_13rocblas_fill_iT1_iilT0_S9_PS9_iPiSA_lSB_PT_ ; -- Begin function _ZN9rocsolver6v33100L18syevj_small_kernelI19rocblas_complex_numIfEfPS3_EEv14rocblas_esort_14rocblas_evect_13rocblas_fill_iT1_iilT0_S9_PS9_iPiSA_lSB_PT_
	.p2align	8
	.type	_ZN9rocsolver6v33100L18syevj_small_kernelI19rocblas_complex_numIfEfPS3_EEv14rocblas_esort_14rocblas_evect_13rocblas_fill_iT1_iilT0_S9_PS9_iPiSA_lSB_PT_,@function
_ZN9rocsolver6v33100L18syevj_small_kernelI19rocblas_complex_numIfEfPS3_EEv14rocblas_esort_14rocblas_evect_13rocblas_fill_iT1_iilT0_S9_PS9_iPiSA_lSB_PT_: ; @_ZN9rocsolver6v33100L18syevj_small_kernelI19rocblas_complex_numIfEfPS3_EEv14rocblas_esort_14rocblas_evect_13rocblas_fill_iT1_iilT0_S9_PS9_iPiSA_lSB_PT_
; %bb.0:
	s_load_b256 s[12:19], s[0:1], 0x0
	s_bfe_u32 s4, ttmp6, 0x40014
	s_lshr_b32 s2, ttmp7, 16
	s_add_co_i32 s4, s4, 1
	s_bfe_u32 s5, ttmp6, 0x40008
	s_getreg_b32 s6, hwreg(HW_REG_IB_STS2, 6, 4)
	s_mov_b32 s35, 0
	s_load_b256 s[20:27], s[0:1], 0x40
	s_wait_kmcnt 0x0
	s_lshr_b32 s3, s15, 31
	s_delay_alu instid0(SALU_CYCLE_1) | instskip(NEXT) | instid1(SALU_CYCLE_1)
	s_add_co_i32 s3, s15, s3
	s_and_b32 s3, s3, -2
	s_delay_alu instid0(SALU_CYCLE_1)
	s_sub_co_i32 s40, s15, s3
	s_mul_i32 s3, s2, s4
	s_add_co_i32 s40, s40, s15
	s_add_co_i32 s5, s5, s3
	s_lshr_b32 s4, s40, 31
	s_ashr_i32 s3, s18, 31
	s_add_co_i32 s4, s40, s4
	s_delay_alu instid0(SALU_CYCLE_1) | instskip(SKIP_4) | instid1(SALU_CYCLE_1)
	s_ashr_i32 s28, s4, 1
	s_cmp_eq_u32 s6, 0
	s_load_b64 s[6:7], s[0:1], 0x60
	s_cselect_b32 s34, s2, s5
	s_min_i32 s33, s28, 0x100
	s_abs_i32 s10, s33
	s_ashr_i32 s41, s33, 31
	s_cvt_f32_u32 s2, s10
	s_sub_co_i32 s4, 0, s10
	s_delay_alu instid0(SALU_CYCLE_2) | instskip(SKIP_1) | instid1(TRANS32_DEP_1)
	v_rcp_iflag_f32_e32 v1, s2
	v_nop
	v_readfirstlane_b32 s2, v1
	s_mul_f32 s2, s2, 0x4f7ffffe
	s_delay_alu instid0(SALU_CYCLE_3) | instskip(NEXT) | instid1(SALU_CYCLE_3)
	s_cvt_u32_f32 s2, s2
	s_mul_i32 s4, s4, s2
	s_delay_alu instid0(SALU_CYCLE_1) | instskip(NEXT) | instid1(SALU_CYCLE_1)
	s_mul_hi_u32 s4, s2, s4
	s_add_co_i32 s8, s2, s4
	s_load_b64 s[4:5], s[0:1], 0x20
	v_mul_hi_u32 v1, v0, s8
	s_mov_b32 s2, s18
	s_lshr_b32 s11, s8, 22
	s_lshl_b64 s[38:39], s[2:3], 3
	s_mul_i32 s2, s15, s34
	s_mul_i32 s18, s11, s10
	s_mul_i32 s2, s2, s15
	s_delay_alu instid0(SALU_CYCLE_1) | instskip(NEXT) | instid1(SALU_CYCLE_1)
	s_ashr_i32 s3, s2, 31
	s_lshl_b64 s[8:9], s[2:3], 3
	s_delay_alu instid0(VALU_DEP_1)
	v_mul_lo_u32 v2, v1, s10
	s_sub_co_i32 s2, 0x400, s18
	s_add_co_i32 s3, s11, 1
	s_sub_co_i32 s18, s2, s10
	s_wait_kmcnt 0x0
	s_add_nc_u64 s[36:37], s[6:7], s[8:9]
	v_add_nc_u32_e32 v3, 1, v1
	s_mul_u64 s[4:5], s[4:5], s[34:35]
	s_delay_alu instid0(SALU_CYCLE_1) | instskip(NEXT) | instid1(VALU_DEP_2)
	s_lshl_b64 s[4:5], s[4:5], 3
	v_sub_nc_u32_e32 v2, v0, v2
	s_cmp_ge_u32 s2, s10
	s_cselect_b32 s3, s3, s11
	s_cselect_b32 s2, s18, s2
	s_delay_alu instid0(VALU_DEP_1)
	v_subrev_nc_u32_e32 v4, s10, v2
	v_cmp_le_u32_e32 vcc_lo, s10, v2
	s_add_co_i32 s11, s3, 1
	s_cmp_ge_u32 s2, s10
	s_cselect_b32 s2, s11, s3
	v_dual_cndmask_b32 v1, v1, v3 :: v_dual_cndmask_b32 v2, v2, v4
	s_delay_alu instid0(VALU_DEP_1) | instskip(NEXT) | instid1(VALU_DEP_2)
	v_add_nc_u32_e32 v3, 1, v1
	v_cmp_le_u32_e32 vcc_lo, s10, v2
	s_xor_b32 s10, s2, s41
	s_add_nc_u64 s[2:3], s[16:17], s[4:5]
	s_sub_co_i32 s30, s10, s41
	s_add_nc_u64 s[10:11], s[2:3], s[38:39]
	v_cndmask_b32_e32 v1, v1, v3, vcc_lo
	s_min_i32 s18, s28, s30
	s_delay_alu instid0(SALU_CYCLE_1) | instskip(NEXT) | instid1(VALU_DEP_1)
	s_lshl_b32 s42, s18, 2
	v_xor_b32_e32 v1, s41, v1
	s_add_co_i32 s55, s42, 0
	s_delay_alu instid0(VALU_DEP_1) | instskip(NEXT) | instid1(VALU_DEP_1)
	v_subrev_nc_u32_e32 v2, s41, v1
	v_mul_lo_u32 v26, v2, s33
	s_delay_alu instid0(VALU_DEP_1) | instskip(NEXT) | instid1(VALU_DEP_1)
	v_sub_nc_u32_e32 v27, v0, v26
	v_cmp_eq_u32_e64 s2, 0, v27
	s_and_saveexec_b32 s43, s2
	s_cbranch_execz .LBB85_32
; %bb.1:
	v_cmp_gt_i32_e64 s3, s15, v2
	s_cmp_eq_u32 s14, 0x79
	s_cbranch_scc1 .LBB85_13
; %bb.2:
	v_dual_mov_b32 v28, 0 :: v_dual_mov_b32 v3, 0
	s_and_saveexec_b32 s14, s3
	s_cbranch_execz .LBB85_15
; %bb.3:
	s_cmp_lg_u32 s13, 0xd5
	v_dual_mov_b32 v28, 0 :: v_dual_ashrrev_i32 v3, 31, v2
	s_cselect_b32 s44, -1, 0
	s_ashr_i32 s29, s28, 31
	s_ashr_i32 s31, s30, 31
	s_delay_alu instid0(VALU_DEP_1)
	v_lshlrev_b64_e32 v[10:11], 3, v[2:3]
	v_min_i64 v[12:13], s[28:29], s[30:31]
	v_mul_lo_u32 v29, s19, v2
	v_mul_lo_u32 v4, s15, v2
	s_add_nc_u64 s[38:39], s[4:5], s[38:39]
	s_add_nc_u64 s[46:47], s[6:7], s[8:9]
	;; [unrolled: 1-line block ×3, first 2 shown]
	v_mov_b64_e32 v[6:7], 0x3f800000
	v_add_nc_u64_e32 v[8:9], s[46:47], v[10:11]
	v_add_nc_u64_e32 v[10:11], s[16:17], v[10:11]
	v_mov_b64_e32 v[14:15], 0
	v_dual_mov_b32 v30, v2 :: v_dual_mov_b32 v3, 0
	s_mov_b32 s48, s15
	s_mov_b32 s50, s19
	s_ashr_i32 s49, s15, 31
	s_ashr_i32 s51, s19, 31
	s_mul_i32 s29, s19, s18
	s_mul_i32 s31, s15, s18
	s_add_nc_u64 s[4:5], s[46:47], 4
	s_lshl_b64 s[16:17], s[48:49], 3
	s_lshl_b64 s[38:39], s[50:51], 3
	s_mov_b32 s45, 0
	v_lshlrev_b64_e32 v[12:13], 3, v[12:13]
	s_branch .LBB85_6
.LBB85_4:                               ;   in Loop: Header=BB85_6 Depth=1
	s_or_b32 exec_lo, exec_lo, s47
.LBB85_5:                               ;   in Loop: Header=BB85_6 Depth=1
	s_delay_alu instid0(SALU_CYCLE_1)
	s_or_b32 exec_lo, exec_lo, s46
	v_pk_mul_f32 v[16:17], v[16:17], v[16:17]
	v_add_nc_u32_e32 v30, s18, v30
	v_add_nc_u64_e32 v[8:9], v[8:9], v[12:13]
	v_add_nc_u64_e32 v[10:11], v[10:11], v[12:13]
	v_dual_add_nc_u32 v29, s29, v29 :: v_dual_add_nc_u32 v4, s31, v4
	v_add_f32_e32 v5, v16, v17
	v_cmp_le_i32_e32 vcc_lo, s15, v30
	s_delay_alu instid0(VALU_DEP_2) | instskip(SKIP_1) | instid1(SALU_CYCLE_1)
	v_add_f32_e32 v3, v3, v5
	s_or_b32 s45, vcc_lo, s45
	s_and_not1_b32 exec_lo, exec_lo, s45
	s_cbranch_execz .LBB85_14
.LBB85_6:                               ; =>This Loop Header: Depth=1
                                        ;     Child Loop BB85_11 Depth 2
	v_mad_u32 v18, v30, s19, v30
	v_mad_u32 v5, v30, s15, v30
	s_and_not1_b32 vcc_lo, exec_lo, s44
	global_load_b64 v[16:17], v18, s[10:11] scale_offset
	s_wait_loadcnt 0x0
	global_store_b64 v5, v[16:17], s[36:37] scale_offset
	s_cbranch_vccnz .LBB85_8
; %bb.7:                                ;   in Loop: Header=BB85_6 Depth=1
	v_ashrrev_i32_e32 v19, 31, v18
	s_wait_xcnt 0x1
	s_delay_alu instid0(VALU_DEP_1)
	v_lshl_add_u64 v[18:19], v[18:19], 3, s[10:11]
	global_store_b64 v[18:19], v[6:7], off
.LBB85_8:                               ;   in Loop: Header=BB85_6 Depth=1
	s_mov_b32 s46, exec_lo
	s_wait_xcnt 0x0
	v_cmpx_lt_i32_e32 0, v30
	s_cbranch_execz .LBB85_5
; %bb.9:                                ;   in Loop: Header=BB85_6 Depth=1
	v_ashrrev_i32_e32 v5, 31, v4
	v_mov_b64_e32 v[18:19], v[10:11]
	v_mov_b64_e32 v[22:23], v[8:9]
	s_mov_b32 s47, 0
	s_mov_b32 s48, 0
	v_lshl_add_u64 v[20:21], v[4:5], 3, s[4:5]
	s_branch .LBB85_11
.LBB85_10:                              ;   in Loop: Header=BB85_11 Depth=2
	s_wait_xcnt 0x1
	v_pk_mul_f32 v[24:25], v[24:25], v[24:25]
	s_add_co_i32 s48, s48, 1
	s_wait_xcnt 0x0
	v_add_nc_u64_e32 v[20:21], 8, v[20:21]
	v_add_nc_u64_e32 v[22:23], s[16:17], v[22:23]
	v_cmp_eq_u32_e32 vcc_lo, s48, v30
	v_add_f32_e32 v5, v24, v25
	v_add_nc_u64_e32 v[18:19], s[38:39], v[18:19]
	s_or_b32 s47, vcc_lo, s47
	s_delay_alu instid0(VALU_DEP_2)
	v_fmac_f32_e32 v28, 2.0, v5
	s_and_not1_b32 exec_lo, exec_lo, s47
	s_cbranch_execz .LBB85_4
.LBB85_11:                              ;   Parent Loop BB85_6 Depth=1
                                        ; =>  This Inner Loop Header: Depth=2
	global_load_b64 v[24:25], v[18:19], off
	s_and_not1_b32 vcc_lo, exec_lo, s44
	s_wait_loadcnt 0x0
	v_xor_b32_e32 v33, 0x80000000, v25
	v_mov_b32_e32 v32, v24
	global_store_b64 v[22:23], v[24:25], off
	global_store_b64 v[20:21], v[32:33], off offset:-4
	s_cbranch_vccnz .LBB85_10
; %bb.12:                               ;   in Loop: Header=BB85_11 Depth=2
	v_add_nc_u32_e32 v5, s48, v29
	global_store_b64 v[18:19], v[14:15], off
	global_store_b64 v5, v[14:15], s[10:11] scale_offset
	s_branch .LBB85_10
.LBB85_13:
                                        ; implicit-def: $vgpr28
                                        ; implicit-def: $vgpr3
	s_branch .LBB85_16
.LBB85_14:
	s_or_b32 exec_lo, exec_lo, s45
.LBB85_15:
	s_delay_alu instid0(SALU_CYCLE_1)
	s_or_b32 exec_lo, exec_lo, s14
	s_cbranch_execnz .LBB85_29
.LBB85_16:
	v_dual_mov_b32 v28, 0 :: v_dual_mov_b32 v3, 0
	s_and_saveexec_b32 s14, s3
	s_cbranch_execz .LBB85_28
; %bb.17:
	s_cmp_lg_u32 s13, 0xd5
	v_mul_lo_u32 v18, s19, v2
	s_cselect_b32 s3, -1, 0
	s_add_co_i32 s16, s15, -1
	v_mov_b64_e32 v[4:5], 0x3f800000
	v_mad_u32 v3, s15, s16, v1
	v_mad_u32 v7, s19, s16, v1
	;; [unrolled: 1-line block ×3, first 2 shown]
	v_mov_b64_e32 v[8:9], 0
	v_dual_mov_b32 v28, 0 :: v_dual_mov_b32 v19, v2
	s_add_nc_u64 s[4:5], s[6:7], s[8:9]
	s_mul_i32 s17, s19, s18
	s_add_nc_u64 s[4:5], s[4:5], 4
	s_mul_i32 s31, s15, s18
	s_mov_b32 s29, 0
	v_subrev_nc_u32_e32 v20, s41, v3
	v_subrev_nc_u32_e32 v21, s41, v7
	v_mov_b32_e32 v3, 0
	s_branch .LBB85_20
.LBB85_18:                              ;   in Loop: Header=BB85_20 Depth=1
	s_or_b32 exec_lo, exec_lo, s39
.LBB85_19:                              ;   in Loop: Header=BB85_20 Depth=1
	s_delay_alu instid0(SALU_CYCLE_1) | instskip(SKIP_3) | instid1(VALU_DEP_3)
	s_or_b32 exec_lo, exec_lo, s38
	v_pk_mul_f32 v[10:11], v[10:11], v[10:11]
	v_dual_add_nc_u32 v19, s18, v19 :: v_dual_add_nc_u32 v18, s17, v18
	v_dual_add_nc_u32 v21, s18, v21 :: v_dual_add_nc_u32 v6, s31, v6
	v_add_f32_e32 v7, v10, v11
	s_delay_alu instid0(VALU_DEP_3) | instskip(NEXT) | instid1(VALU_DEP_2)
	v_cmp_le_i32_e32 vcc_lo, s15, v19
	v_dual_add_f32 v3, v3, v7 :: v_dual_add_nc_u32 v20, s18, v20
	s_or_b32 s29, vcc_lo, s29
	s_delay_alu instid0(SALU_CYCLE_1)
	s_and_not1_b32 exec_lo, exec_lo, s29
	s_cbranch_execz .LBB85_27
.LBB85_20:                              ; =>This Loop Header: Depth=1
                                        ;     Child Loop BB85_25 Depth 2
	v_mad_u32 v12, v19, s19, v19
	v_mad_u32 v7, v19, s15, v19
	s_and_not1_b32 vcc_lo, exec_lo, s3
	global_load_b64 v[10:11], v12, s[10:11] scale_offset
	s_wait_loadcnt 0x0
	global_store_b64 v7, v[10:11], s[36:37] scale_offset
	s_cbranch_vccnz .LBB85_22
; %bb.21:                               ;   in Loop: Header=BB85_20 Depth=1
	v_ashrrev_i32_e32 v13, 31, v12
	s_wait_xcnt 0x1
	s_delay_alu instid0(VALU_DEP_1)
	v_lshl_add_u64 v[12:13], v[12:13], 3, s[10:11]
	global_store_b64 v[12:13], v[4:5], off
.LBB85_22:                              ;   in Loop: Header=BB85_20 Depth=1
	s_mov_b32 s38, exec_lo
	s_wait_xcnt 0x0
	v_cmpx_gt_i32_e64 s16, v19
	s_cbranch_execz .LBB85_19
; %bb.23:                               ;   in Loop: Header=BB85_20 Depth=1
	v_dual_mov_b32 v12, v21 :: v_dual_ashrrev_i32 v7, 31, v6
	s_mov_b32 s39, 0
	s_mov_b32 s44, s16
	s_delay_alu instid0(VALU_DEP_1)
	v_lshl_add_u64 v[14:15], v[6:7], 3, s[4:5]
	v_mov_b32_e32 v7, v20
	s_branch .LBB85_25
.LBB85_24:                              ;   in Loop: Header=BB85_25 Depth=2
	s_wait_xcnt 0x1
	v_pk_mul_f32 v[16:17], v[16:17], v[16:17]
	s_add_co_i32 s44, s44, -1
	s_wait_xcnt 0x0
	v_add_nc_u64_e32 v[14:15], -8, v[14:15]
	v_cmp_le_i32_e32 vcc_lo, s44, v19
	v_subrev_nc_u32_e32 v7, s15, v7
	v_add_f32_e32 v13, v16, v17
	v_subrev_nc_u32_e32 v12, s19, v12
	s_or_b32 s39, vcc_lo, s39
	s_delay_alu instid0(VALU_DEP_2)
	v_fmac_f32_e32 v28, 2.0, v13
	s_and_not1_b32 exec_lo, exec_lo, s39
	s_cbranch_execz .LBB85_18
.LBB85_25:                              ;   Parent Loop BB85_20 Depth=1
                                        ; =>  This Inner Loop Header: Depth=2
	global_load_b64 v[16:17], v12, s[10:11] scale_offset
	s_and_not1_b32 vcc_lo, exec_lo, s3
	s_wait_loadcnt 0x0
	v_xor_b32_e32 v23, 0x80000000, v17
	v_mov_b32_e32 v22, v16
	global_store_b64 v7, v[16:17], s[36:37] scale_offset
	global_store_b64 v[14:15], v[22:23], off offset:-4
	s_cbranch_vccnz .LBB85_24
; %bb.26:                               ;   in Loop: Header=BB85_25 Depth=2
	v_ashrrev_i32_e32 v13, 31, v12
	s_wait_xcnt 0x0
	s_delay_alu instid0(VALU_DEP_1)
	v_lshl_add_u64 v[22:23], v[12:13], 3, s[10:11]
	v_add_nc_u32_e32 v13, s44, v18
	s_clause 0x1
	global_store_b64 v[22:23], v[8:9], off
	global_store_b64 v13, v[8:9], s[10:11] scale_offset
	s_branch .LBB85_24
.LBB85_27:
	s_or_b32 exec_lo, exec_lo, s29
.LBB85_28:
	s_delay_alu instid0(SALU_CYCLE_1)
	s_or_b32 exec_lo, exec_lo, s14
.LBB85_29:
	v_lshl_add_u32 v4, v2, 2, 0
	v_cmp_gt_i32_e32 vcc_lo, s28, v2
	v_lshl_add_u32 v5, v2, 3, s55
	v_mov_b32_e32 v6, 0
	s_mov_b32 s3, 0
	ds_store_b32 v4, v28
	ds_store_2addr_b32 v5, v3, v6 offset1:1
	s_and_b32 exec_lo, exec_lo, vcc_lo
	s_cbranch_execz .LBB85_32
; %bb.30:
	v_dual_lshlrev_b32 v3, 2, v1 :: v_dual_lshlrev_b32 v4, 1, v1
	s_lshl_b32 s4, s41, 2
	s_lshl_b32 s5, s18, 1
	s_delay_alu instid0(VALU_DEP_1) | instskip(NEXT) | instid1(VALU_DEP_1)
	v_mad_u32 v3, s18, 12, v3
	v_subrev_nc_u32_e32 v5, s4, v3
	s_lshl_b32 s4, s41, 1
	s_delay_alu instid0(SALU_CYCLE_1) | instskip(SKIP_1) | instid1(VALU_DEP_2)
	v_subrev_nc_u32_e32 v3, s4, v4
	s_lshl_b32 s4, s28, 2
	v_dual_mov_b32 v5, v2 :: v_dual_add_nc_u32 v4, 0, v5
.LBB85_31:                              ; =>This Inner Loop Header: Depth=1
	s_delay_alu instid0(VALU_DEP_1)
	v_dual_add_nc_u32 v5, s18, v5 :: v_dual_add_nc_u32 v6, 1, v3
	ds_store_b32 v4, v3
	v_dual_add_nc_u32 v7, s4, v4 :: v_dual_add_nc_u32 v4, s42, v4
	v_cmp_le_i32_e32 vcc_lo, s28, v5
	v_add_nc_u32_e32 v3, s5, v3
	ds_store_b32 v7, v6
	s_or_b32 s3, vcc_lo, s3
	s_delay_alu instid0(SALU_CYCLE_1)
	s_and_not1_b32 exec_lo, exec_lo, s3
	s_cbranch_execnz .LBB85_31
.LBB85_32:
	s_or_b32 exec_lo, exec_lo, s43
	s_cmp_gt_i32 s18, 0
	s_mov_b32 s3, 0
	s_cselect_b32 s14, -1, 0
	s_cmp_lt_i32 s18, 1
	s_wait_storecnt_dscnt 0x0
	s_barrier_signal -1
	s_barrier_wait -1
	s_cbranch_scc1 .LBB85_39
; %bb.33:
	v_mov_b64_e32 v[10:11], 0
	s_cmp_lt_u32 s18, 8
	s_cbranch_scc1 .LBB85_36
; %bb.34:
	v_dual_mov_b32 v10, 0 :: v_dual_mov_b32 v11, 0
	s_and_b32 s3, s18, 0x7ffffff8
	s_mov_b32 s4, 0
	s_mov_b32 s5, 0
	;; [unrolled: 1-line block ×3, first 2 shown]
.LBB85_35:                              ; =>This Inner Loop Header: Depth=1
	s_delay_alu instid0(SALU_CYCLE_1)
	v_dual_mov_b32 v3, s16 :: v_dual_mov_b32 v12, s5
	s_add_co_i32 s4, s4, 8
	s_add_co_i32 s16, s16, 64
	;; [unrolled: 1-line block ×3, first 2 shown]
	ds_load_2addr_b32 v[8:9], v3 offset1:2
	ds_load_2addr_b64 v[4:7], v12 offset1:1
	ds_load_2addr_b32 v[16:17], v3 offset0:4 offset1:6
	ds_load_2addr_b32 v[18:19], v3 offset0:8 offset1:10
	ds_load_2addr_b64 v[12:15], v12 offset0:2 offset1:3
	s_cmp_lg_u32 s3, s4
	s_wait_dscnt 0x3
	v_dual_mov_b32 v20, v8 :: v_dual_mov_b32 v21, v4
	v_mov_b32_e32 v4, v9
	s_delay_alu instid0(VALU_DEP_2)
	v_pk_add_f32 v[8:9], v[10:11], v[20:21]
	ds_load_2addr_b32 v[10:11], v3 offset0:12 offset1:14
	s_wait_dscnt 0x3
	v_dual_mov_b32 v20, v16 :: v_dual_mov_b32 v21, v6
	v_mov_b32_e32 v6, v17
	v_pk_add_f32 v[4:5], v[8:9], v[4:5]
	s_wait_dscnt 0x1
	v_dual_mov_b32 v8, v18 :: v_dual_mov_b32 v9, v12
	v_mov_b32_e32 v12, v19
	s_delay_alu instid0(VALU_DEP_3) | instskip(NEXT) | instid1(VALU_DEP_1)
	v_pk_add_f32 v[4:5], v[4:5], v[20:21]
	v_pk_add_f32 v[4:5], v[4:5], v[6:7]
	v_mov_b32_e32 v7, v14
	s_delay_alu instid0(VALU_DEP_2) | instskip(SKIP_2) | instid1(VALU_DEP_2)
	v_pk_add_f32 v[4:5], v[4:5], v[8:9]
	s_wait_dscnt 0x0
	v_dual_mov_b32 v6, v10 :: v_dual_mov_b32 v14, v11
	v_pk_add_f32 v[4:5], v[4:5], v[12:13]
	s_delay_alu instid0(VALU_DEP_1) | instskip(NEXT) | instid1(VALU_DEP_1)
	v_pk_add_f32 v[4:5], v[4:5], v[6:7]
	v_pk_add_f32 v[10:11], v[4:5], v[14:15]
	s_cbranch_scc1 .LBB85_35
.LBB85_36:
	s_and_b32 s4, s18, 7
	s_delay_alu instid0(SALU_CYCLE_1)
	s_cmp_eq_u32 s4, 0
	s_cbranch_scc1 .LBB85_40
; %bb.37:
	s_lshl_b32 s5, s3, 3
	s_lshl_b32 s16, s3, 2
	s_add_co_i32 s5, s5, s42
	s_delay_alu instid0(SALU_CYCLE_1)
	s_add_co_i32 s3, s5, 0
	s_add_co_i32 s5, s16, 0
.LBB85_38:                              ; =>This Inner Loop Header: Depth=1
	s_delay_alu instid0(SALU_CYCLE_1)
	v_dual_mov_b32 v3, s5 :: v_dual_mov_b32 v4, s3
	s_add_co_i32 s4, s4, -1
	s_add_co_i32 s3, s3, 8
	s_add_co_i32 s5, s5, 4
	ds_load_b32 v5, v3
	ds_load_b32 v4, v4
	s_cmp_lg_u32 s4, 0
	s_wait_dscnt 0x0
	v_pk_add_f32 v[10:11], v[10:11], v[4:5]
	s_cbranch_scc1 .LBB85_38
	s_branch .LBB85_40
.LBB85_39:
	v_dual_mov_b32 v10, 0 :: v_dual_mov_b32 v11, 0
.LBB85_40:
	s_clause 0x1
	s_load_b64 s[4:5], s[0:1], 0x28
	s_load_b32 s42, s[0:1], 0x38
	s_delay_alu instid0(VALU_DEP_1) | instskip(SKIP_2) | instid1(VALU_DEP_1)
	v_add_f32_e32 v3, v10, v11
	s_mov_b32 s29, 0
	s_wait_kmcnt 0x0
	v_mul_f32_e32 v3, s4, v3
	s_cmp_gt_i32 s42, 0
	s_cselect_b32 s3, -1, 0
	s_delay_alu instid0(VALU_DEP_1) | instskip(NEXT) | instid1(VALU_DEP_1)
	v_mul_f32_e32 v28, s4, v3
	v_cmp_gt_f32_e32 vcc_lo, v11, v28
	s_and_b32 s3, s3, vcc_lo
	s_delay_alu instid0(SALU_CYCLE_1)
	s_and_not1_b32 vcc_lo, exec_lo, s3
	s_cbranch_vccnz .LBB85_129
; %bb.41:
	s_abs_i32 s3, s18
	s_lshl_b32 s16, s18, 3
	s_cvt_f32_u32 s4, s3
	s_sub_co_i32 s29, 0, s3
	s_add_co_i32 s31, s28, -1
	s_add_co_i32 s43, s55, s16
	v_rcp_iflag_f32_e32 v3, s4
	s_lshl_b32 s17, s28, 2
	v_dual_lshlrev_b32 v11, 1, v26 :: v_dual_sub_nc_u32 v1, s41, v1
	s_add_co_i32 s44, s43, s17
	s_add_nc_u64 s[6:7], s[6:7], s[8:9]
	v_lshl_add_u32 v29, v2, 2, 0
	s_delay_alu instid0(TRANS32_DEP_1) | instskip(SKIP_3) | instid1(VALU_DEP_4)
	v_readfirstlane_b32 s4, v3
	v_div_scale_f32 v3, null, s5, s5, 0x800000
	v_mad_u32 v32, s33, v1, v0
	v_lshl_add_u32 v30, v2, 3, s55
	s_mul_f32 s4, s4, 0x4f7ffffe
	s_delay_alu instid0(VALU_DEP_3) | instskip(SKIP_3) | instid1(SALU_CYCLE_3)
	v_rcp_f32_e32 v7, v3
	v_xor_b32_e32 v6, 0x80000000, v3
                                        ; implicit-def: $vgpr12
                                        ; implicit-def: $vgpr14_vgpr15
	v_lshlrev_b32_e32 v10, 1, v0
	s_cvt_u32_f32 s4, s4
	s_mul_i32 s29, s29, s4
	s_delay_alu instid0(TRANS32_DEP_1) | instid1(VALU_DEP_2)
	v_fma_f32 v3, v6, v7, 1.0
	s_mul_hi_u32 s16, s4, s29
	s_abs_i32 s29, s31
	s_add_co_i32 s4, s4, s16
	s_xor_b32 s16, s31, s18
	s_mul_hi_u32 s4, s29, s4
	s_ashr_i32 s16, s16, 31
	s_mul_i32 s17, s4, s3
	v_sub_nc_u32_e32 v31, v10, v11
	s_sub_co_i32 s17, s29, s17
	s_add_co_i32 s29, s4, 1
	s_sub_co_i32 s31, s17, s3
	s_cmp_ge_u32 s17, s3
                                        ; implicit-def: $vgpr10
	v_or_b32_e32 v33, 1, v31
	s_cselect_b32 s4, s29, s4
	s_cselect_b32 s17, s31, s17
	s_add_co_i32 s29, s4, 1
	s_cmp_ge_u32 s17, s3
	v_mul_lo_u32 v34, s15, v33
	s_cselect_b32 s3, s29, s4
	s_add_co_i32 s45, s40, -1
	s_xor_b32 s3, s3, s16
	v_cmp_gt_i32_e64 s4, s15, v2
	s_sub_co_i32 s46, s3, s16
	s_cmp_gt_i32 s40, 1
	s_mov_b32 s3, 0x800000
	s_cselect_b32 s47, -1, 0
	s_cmp_gt_i32 s46, -1
	v_div_scale_f32 v8, vcc_lo, s3, s5, s3
	s_cselect_b32 s48, -1, 0
	s_add_co_i32 s49, s15, 1
	s_cmp_lg_u32 s13, 0xd5
	v_fmac_f32_e32 v7, v3, v7
	s_cselect_b32 s50, -1, 0
	s_and_b32 s51, s18, 7
	s_cmp_gt_u32 s18, 7
	v_cmp_gt_i32_e64 s3, s28, v27
	s_cselect_b32 s52, -1, 0
	s_and_b32 s53, s18, 0x7ffffff8
	s_cmp_lg_u32 s51, 0
	v_mul_f32_e32 v9, v8, v7
	s_cselect_b32 s54, -1, 0
	s_ashr_i32 s29, s28, 31
	s_ashr_i32 s31, s30, 31
	s_lshl_b32 s16, s33, 1
	v_min_i64 v[4:5], s[28:29], s[30:31]
	v_fma_f32 v3, v6, v9, v8
	s_mul_i32 s31, s15, s33
	s_ashr_i32 s17, s16, 31
	s_mov_b32 s29, 0
	s_lshl_b64 s[38:39], s[16:17], 3
	v_dual_fmac_f32 v9, v3, v7 :: v_dual_ashrrev_i32 v3, 31, v2
	s_lshl_b32 s17, s31, 1
	s_delay_alu instid0(VALU_DEP_1) | instskip(NEXT) | instid1(VALU_DEP_2)
	v_fmac_f32_e32 v8, v6, v9
	v_lshl_add_u64 v[0:1], v[2:3], 3, s[6:7]
	v_mul_lo_u32 v3, s15, v31
	s_ashr_i32 s7, s15, 31
	s_mov_b32 s6, s15
	v_div_fmas_f32 v6, v8, v7, v9
	s_lshl_b64 s[40:41], s[6:7], 3
                                        ; implicit-def: $vgpr9
	s_delay_alu instid0(VALU_DEP_1)
	v_div_fixup_f32 v35, v6, s5, 0x800000
	v_mov_b64_e32 v[6:7], 0
	v_lshlrev_b64_e32 v[4:5], 3, v[4:5]
	s_branch .LBB85_43
.LBB85_42:                              ;   in Loop: Header=BB85_43 Depth=1
	s_add_co_i32 s29, s29, 1
	s_delay_alu instid0(VALU_DEP_1) | instskip(SKIP_2) | instid1(SALU_CYCLE_1)
	v_cmp_gt_f32_e32 vcc_lo, v11, v28
	s_cmp_lt_i32 s29, s42
	s_cselect_b32 s5, -1, 0
	s_and_b32 s5, s5, vcc_lo
	s_delay_alu instid0(SALU_CYCLE_1)
	s_and_b32 vcc_lo, exec_lo, s5
	s_cbranch_vccz .LBB85_129
.LBB85_43:                              ; =>This Loop Header: Depth=1
                                        ;     Child Loop BB85_46 Depth 2
                                        ;       Child Loop BB85_48 Depth 3
                                        ;         Child Loop BB85_83 Depth 4
                                        ;         Child Loop BB85_93 Depth 4
                                        ;     Child Loop BB85_115 Depth 2
                                        ;       Child Loop BB85_117 Depth 3
                                        ;     Child Loop BB85_124 Depth 2
                                        ;     Child Loop BB85_128 Depth 2
	s_and_not1_b32 vcc_lo, exec_lo, s47
	s_cbranch_vccnz .LBB85_111
; %bb.44:                               ;   in Loop: Header=BB85_43 Depth=1
	s_mov_b32 s31, 0
	s_branch .LBB85_46
.LBB85_45:                              ;   in Loop: Header=BB85_46 Depth=2
	s_add_co_i32 s31, s31, 1
	s_delay_alu instid0(SALU_CYCLE_1)
	s_cmp_eq_u32 s31, s45
	s_cbranch_scc1 .LBB85_111
.LBB85_46:                              ;   Parent Loop BB85_43 Depth=1
                                        ; =>  This Loop Header: Depth=2
                                        ;       Child Loop BB85_48 Depth 3
                                        ;         Child Loop BB85_83 Depth 4
                                        ;         Child Loop BB85_93 Depth 4
	s_and_not1_b32 vcc_lo, exec_lo, s48
	s_cbranch_vccnz .LBB85_45
; %bb.47:                               ;   in Loop: Header=BB85_46 Depth=2
	s_mov_b32 s55, 0
.LBB85_48:                              ;   Parent Loop BB85_43 Depth=1
                                        ;     Parent Loop BB85_46 Depth=2
                                        ; =>    This Loop Header: Depth=3
                                        ;         Child Loop BB85_83 Depth 4
                                        ;         Child Loop BB85_93 Depth 4
	s_delay_alu instid0(SALU_CYCLE_1) | instskip(SKIP_1) | instid1(VALU_DEP_2)
	v_mad_u32 v38, s55, s18, v2
	v_mov_b32_e32 v39, s15
	v_cmp_gt_i32_e64 s5, s28, v38
	s_and_saveexec_b32 s6, s5
; %bb.49:                               ;   in Loop: Header=BB85_48 Depth=3
	v_lshl_add_u32 v8, v38, 2, s43
	ds_load_b32 v39, v8
; %bb.50:                               ;   in Loop: Header=BB85_48 Depth=3
	s_or_b32 exec_lo, exec_lo, s6
	v_mov_b32_e32 v37, s15
	v_lshl_add_u32 v36, v38, 2, s44
	s_and_saveexec_b32 s6, s5
; %bb.51:                               ;   in Loop: Header=BB85_48 Depth=3
	ds_load_b32 v37, v36
; %bb.52:                               ;   in Loop: Header=BB85_48 Depth=3
	s_or_b32 exec_lo, exec_lo, s6
	s_wait_dscnt 0x0
	v_cmp_gt_i32_e64 s6, s15, v39
	v_cmp_gt_i32_e64 s7, s15, v37
	s_and_b32 s8, s2, s6
	s_delay_alu instid0(SALU_CYCLE_1) | instskip(NEXT) | instid1(SALU_CYCLE_1)
	s_and_b32 s56, s8, s7
	s_and_saveexec_b32 s9, s56
	s_cbranch_execz .LBB85_78
; %bb.53:                               ;   in Loop: Header=BB85_48 Depth=3
	v_mul_lo_u32 v8, v37, s15
	s_mov_b32 s8, exec_lo
	s_delay_alu instid0(VALU_DEP_1)
	v_add_nc_u32_e32 v11, v8, v39
	global_load_b64 v[16:17], v11, s[36:37] scale_offset
                                        ; implicit-def: $vgpr11
	s_wait_loadcnt 0x0
	v_cmp_gt_f32_e32 vcc_lo, 0, v16
	v_cndmask_b32_e64 v12, v16, -v16, vcc_lo
	v_cmp_gt_f32_e32 vcc_lo, 0, v17
	v_cndmask_b32_e64 v13, v17, -v17, vcc_lo
	s_delay_alu instid0(VALU_DEP_1)
	v_cmpx_ngt_f32_e32 v12, v13
	s_xor_b32 s57, exec_lo, s8
	s_cbranch_execz .LBB85_57
; %bb.54:                               ;   in Loop: Header=BB85_48 Depth=3
	v_mov_b32_e32 v11, 0
	s_mov_b32 s58, exec_lo
	v_cmpx_neq_f32_e32 0, v17
	s_cbranch_execz .LBB85_56
; %bb.55:                               ;   in Loop: Header=BB85_48 Depth=3
	v_div_scale_f32 v11, null, v13, v13, v12
	v_div_scale_f32 v18, vcc_lo, v12, v13, v12
	s_delay_alu instid0(VALU_DEP_2) | instskip(SKIP_1) | instid1(TRANS32_DEP_1)
	v_rcp_f32_e32 v14, v11
	v_nop
	v_fma_f32 v15, -v11, v14, 1.0
	s_delay_alu instid0(VALU_DEP_1) | instskip(NEXT) | instid1(VALU_DEP_1)
	v_fmac_f32_e32 v14, v15, v14
	v_mul_f32_e32 v15, v18, v14
	s_delay_alu instid0(VALU_DEP_1) | instskip(NEXT) | instid1(VALU_DEP_1)
	v_fma_f32 v19, -v11, v15, v18
	v_fmac_f32_e32 v15, v19, v14
	s_delay_alu instid0(VALU_DEP_1) | instskip(NEXT) | instid1(VALU_DEP_1)
	v_fma_f32 v11, -v11, v15, v18
	v_div_fmas_f32 v11, v11, v14, v15
	s_delay_alu instid0(VALU_DEP_1) | instskip(NEXT) | instid1(VALU_DEP_1)
	v_div_fixup_f32 v11, v11, v13, v12
	v_fma_f32 v11, v11, v11, 1.0
	s_delay_alu instid0(VALU_DEP_1) | instskip(SKIP_1) | instid1(VALU_DEP_2)
	v_mul_f32_e32 v12, 0x4f800000, v11
	v_cmp_gt_f32_e32 vcc_lo, 0xf800000, v11
	v_cndmask_b32_e32 v11, v11, v12, vcc_lo
	s_delay_alu instid0(VALU_DEP_1) | instskip(SKIP_1) | instid1(TRANS32_DEP_1)
	v_sqrt_f32_e32 v12, v11
	v_nop
	v_dual_add_nc_u32 v14, -1, v12 :: v_dual_add_nc_u32 v15, 1, v12
	s_delay_alu instid0(VALU_DEP_1) | instskip(NEXT) | instid1(VALU_DEP_1)
	v_dual_fma_f32 v18, -v14, v12, v11 :: v_dual_fma_f32 v19, -v15, v12, v11
	v_cmp_ge_f32_e64 s8, 0, v18
	s_delay_alu instid0(VALU_DEP_1) | instskip(NEXT) | instid1(VALU_DEP_3)
	v_cndmask_b32_e64 v12, v12, v14, s8
	v_cmp_lt_f32_e64 s8, 0, v19
	s_delay_alu instid0(VALU_DEP_1) | instskip(NEXT) | instid1(VALU_DEP_1)
	v_cndmask_b32_e64 v12, v12, v15, s8
	v_mul_f32_e32 v14, 0x37800000, v12
	s_delay_alu instid0(VALU_DEP_1) | instskip(SKIP_1) | instid1(VALU_DEP_2)
	v_cndmask_b32_e32 v12, v12, v14, vcc_lo
	v_cmp_class_f32_e64 vcc_lo, v11, 0x260
	v_cndmask_b32_e32 v11, v12, v11, vcc_lo
	s_delay_alu instid0(VALU_DEP_1)
	v_mul_f32_e32 v11, v13, v11
.LBB85_56:                              ;   in Loop: Header=BB85_48 Depth=3
	s_or_b32 exec_lo, exec_lo, s58
                                        ; implicit-def: $vgpr12
                                        ; implicit-def: $vgpr13
.LBB85_57:                              ;   in Loop: Header=BB85_48 Depth=3
	s_and_not1_saveexec_b32 s57, s57
	s_cbranch_execz .LBB85_59
; %bb.58:                               ;   in Loop: Header=BB85_48 Depth=3
	v_div_scale_f32 v11, null, v12, v12, v13
	v_div_scale_f32 v18, vcc_lo, v13, v12, v13
	s_delay_alu instid0(VALU_DEP_2) | instskip(SKIP_1) | instid1(TRANS32_DEP_1)
	v_rcp_f32_e32 v14, v11
	v_nop
	v_fma_f32 v15, -v11, v14, 1.0
	s_delay_alu instid0(VALU_DEP_1) | instskip(NEXT) | instid1(VALU_DEP_1)
	v_fmac_f32_e32 v14, v15, v14
	v_mul_f32_e32 v15, v18, v14
	s_delay_alu instid0(VALU_DEP_1) | instskip(NEXT) | instid1(VALU_DEP_1)
	v_fma_f32 v19, -v11, v15, v18
	v_fmac_f32_e32 v15, v19, v14
	s_delay_alu instid0(VALU_DEP_1) | instskip(NEXT) | instid1(VALU_DEP_1)
	v_fma_f32 v11, -v11, v15, v18
	v_div_fmas_f32 v11, v11, v14, v15
	s_delay_alu instid0(VALU_DEP_1) | instskip(NEXT) | instid1(VALU_DEP_1)
	v_div_fixup_f32 v11, v11, v12, v13
	v_fma_f32 v11, v11, v11, 1.0
	s_delay_alu instid0(VALU_DEP_1) | instskip(SKIP_1) | instid1(VALU_DEP_2)
	v_mul_f32_e32 v13, 0x4f800000, v11
	v_cmp_gt_f32_e32 vcc_lo, 0xf800000, v11
	v_cndmask_b32_e32 v11, v11, v13, vcc_lo
	s_delay_alu instid0(VALU_DEP_1) | instskip(SKIP_1) | instid1(TRANS32_DEP_1)
	v_sqrt_f32_e32 v13, v11
	v_nop
	v_dual_add_nc_u32 v14, -1, v13 :: v_dual_add_nc_u32 v15, 1, v13
	s_delay_alu instid0(VALU_DEP_1) | instskip(NEXT) | instid1(VALU_DEP_1)
	v_fma_f32 v18, -v14, v13, v11
	v_cmp_ge_f32_e64 s8, 0, v18
	s_delay_alu instid0(VALU_DEP_1) | instskip(NEXT) | instid1(VALU_DEP_1)
	v_dual_fma_f32 v19, -v15, v13, v11 :: v_dual_cndmask_b32 v13, v13, v14, s8
	v_cmp_lt_f32_e64 s8, 0, v19
	s_delay_alu instid0(VALU_DEP_1) | instskip(NEXT) | instid1(VALU_DEP_1)
	v_cndmask_b32_e64 v13, v13, v15, s8
	v_mul_f32_e32 v14, 0x37800000, v13
	s_delay_alu instid0(VALU_DEP_1) | instskip(SKIP_1) | instid1(VALU_DEP_2)
	v_cndmask_b32_e32 v13, v13, v14, vcc_lo
	v_cmp_class_f32_e64 vcc_lo, v11, 0x260
	v_cndmask_b32_e32 v11, v13, v11, vcc_lo
	s_delay_alu instid0(VALU_DEP_1)
	v_mul_f32_e32 v11, v12, v11
.LBB85_59:                              ;   in Loop: Header=BB85_48 Depth=3
	s_or_b32 exec_lo, exec_lo, s57
	s_delay_alu instid0(VALU_DEP_1) | instskip(SKIP_1) | instid1(VALU_DEP_2)
	v_mul_f32_e32 v12, v11, v11
	v_mov_b64_e32 v[14:15], 0
	v_cmp_nlt_f32_e32 vcc_lo, v12, v35
	v_mov_b32_e32 v12, 1.0
	s_and_saveexec_b32 s57, vcc_lo
	s_cbranch_execz .LBB85_77
; %bb.60:                               ;   in Loop: Header=BB85_48 Depth=3
	v_mul_lo_u32 v12, v39, s49
	v_add_nc_u32_e32 v14, v8, v37
	s_mov_b32 s8, exec_lo
	s_delay_alu instid0(VALU_DEP_1) | instskip(NEXT) | instid1(VALU_DEP_1)
	v_dual_ashrrev_i32 v13, 31, v12 :: v_dual_ashrrev_i32 v15, 31, v14
	v_lshl_add_u64 v[12:13], v[12:13], 3, s[36:37]
	s_delay_alu instid0(VALU_DEP_2)
	v_lshl_add_u64 v[14:15], v[14:15], 3, s[36:37]
	s_clause 0x1
	global_load_b32 v8, v[14:15], off
	global_load_b32 v12, v[12:13], off
	s_wait_loadcnt 0x0
	v_dual_add_f32 v13, v11, v11 :: v_dual_sub_f32 v14, v8, v12
	s_delay_alu instid0(VALU_DEP_1) | instskip(NEXT) | instid1(VALU_DEP_1)
	v_max_num_f32_e64 v8, |v14|, |v13|
	v_cvt_f64_f32_e32 v[18:19], v8
	s_delay_alu instid0(VALU_DEP_1) | instskip(NEXT) | instid1(VALU_DEP_1)
	v_frexp_exp_i32_f64_e32 v12, v[18:19]
	v_sub_nc_u32_e32 v15, 0, v12
	s_delay_alu instid0(VALU_DEP_1) | instskip(SKIP_1) | instid1(VALU_DEP_2)
	v_ldexp_f32 v18, |v13|, v15
	v_ldexp_f32 v15, |v14|, v15
	v_mul_f32_e32 v18, v18, v18
	s_delay_alu instid0(VALU_DEP_1) | instskip(NEXT) | instid1(VALU_DEP_1)
	v_fmac_f32_e32 v18, v15, v15
                                        ; implicit-def: $vgpr15
	v_sqrt_f32_e32 v18, v18
	v_cmpx_ngt_f32_e32 0, v14
	s_xor_b32 s8, exec_lo, s8
; %bb.61:                               ;   in Loop: Header=BB85_48 Depth=3
	s_delay_alu instid0(TRANS32_DEP_1) | instskip(SKIP_1) | instid1(VALU_DEP_2)
	v_ldexp_f32 v12, v18, v12
	v_cmp_neq_f32_e32 vcc_lo, 0x7f800000, v8
                                        ; implicit-def: $vgpr18
                                        ; implicit-def: $vgpr8
	v_cndmask_b32_e32 v15, 0x7f800000, v12, vcc_lo
                                        ; implicit-def: $vgpr12
; %bb.62:                               ;   in Loop: Header=BB85_48 Depth=3
	s_and_not1_saveexec_b32 s8, s8
; %bb.63:                               ;   in Loop: Header=BB85_48 Depth=3
	v_ldexp_f32 v12, -v18, v12
	v_cmp_neq_f32_e32 vcc_lo, 0x7f800000, v8
	s_delay_alu instid0(VALU_DEP_2)
	v_cndmask_b32_e32 v15, 0xff800000, v12, vcc_lo
; %bb.64:                               ;   in Loop: Header=BB85_48 Depth=3
	s_or_b32 exec_lo, exec_lo, s8
	v_dual_mov_b32 v8, 0 :: v_dual_mov_b32 v12, 1.0
	s_mov_b32 s58, exec_lo
	v_cmpx_neq_f32_e32 0, v13
	s_cbranch_execz .LBB85_72
; %bb.65:                               ;   in Loop: Header=BB85_48 Depth=3
	v_dual_add_f32 v14, v14, v15 :: v_dual_mov_b32 v12, 0
	v_mov_b32_e32 v8, 1.0
	s_mov_b32 s59, exec_lo
	s_delay_alu instid0(VALU_DEP_2)
	v_cmpx_neq_f32_e32 0, v14
	s_cbranch_execz .LBB85_71
; %bb.66:                               ;   in Loop: Header=BB85_48 Depth=3
	s_mov_b32 s60, exec_lo
                                        ; implicit-def: $vgpr12
                                        ; implicit-def: $vgpr8
	v_cmpx_ngt_f32_e64 |v13|, |v14|
	s_xor_b32 s60, exec_lo, s60
	s_cbranch_execz .LBB85_68
; %bb.67:                               ;   in Loop: Header=BB85_48 Depth=3
	v_div_scale_f32 v8, null, v14, v14, -v13
	v_div_scale_f32 v18, vcc_lo, -v13, v14, -v13
	s_delay_alu instid0(VALU_DEP_2) | instskip(SKIP_1) | instid1(TRANS32_DEP_1)
	v_rcp_f32_e32 v12, v8
	v_nop
	v_fma_f32 v15, -v8, v12, 1.0
	s_delay_alu instid0(VALU_DEP_1) | instskip(NEXT) | instid1(VALU_DEP_1)
	v_fmac_f32_e32 v12, v15, v12
	v_mul_f32_e32 v15, v18, v12
	s_delay_alu instid0(VALU_DEP_1) | instskip(NEXT) | instid1(VALU_DEP_1)
	v_fma_f32 v19, -v8, v15, v18
	v_fmac_f32_e32 v15, v19, v12
	s_delay_alu instid0(VALU_DEP_1) | instskip(NEXT) | instid1(VALU_DEP_1)
	v_fma_f32 v8, -v8, v15, v18
	v_div_fmas_f32 v8, v8, v12, v15
	s_delay_alu instid0(VALU_DEP_1) | instskip(NEXT) | instid1(VALU_DEP_1)
	v_div_fixup_f32 v8, v8, v14, -v13
	v_fma_f32 v12, v8, v8, 1.0
	s_delay_alu instid0(VALU_DEP_1) | instskip(SKIP_1) | instid1(VALU_DEP_2)
	v_mul_f32_e32 v13, 0x4f800000, v12
	v_cmp_gt_f32_e32 vcc_lo, 0xf800000, v12
	v_cndmask_b32_e32 v12, v12, v13, vcc_lo
	s_delay_alu instid0(VALU_DEP_1) | instskip(SKIP_1) | instid1(TRANS32_DEP_1)
	v_sqrt_f32_e32 v13, v12
	v_nop
	v_dual_add_nc_u32 v14, -1, v13 :: v_dual_add_nc_u32 v15, 1, v13
	s_delay_alu instid0(VALU_DEP_1) | instskip(NEXT) | instid1(VALU_DEP_1)
	v_dual_fma_f32 v18, -v14, v13, v12 :: v_dual_fma_f32 v19, -v15, v13, v12
	v_cmp_ge_f32_e64 s8, 0, v18
	s_delay_alu instid0(VALU_DEP_1) | instskip(NEXT) | instid1(VALU_DEP_3)
	v_cndmask_b32_e64 v13, v13, v14, s8
	v_cmp_lt_f32_e64 s8, 0, v19
	s_delay_alu instid0(VALU_DEP_1) | instskip(NEXT) | instid1(VALU_DEP_1)
	v_cndmask_b32_e64 v13, v13, v15, s8
	v_mul_f32_e32 v14, 0x37800000, v13
	s_delay_alu instid0(VALU_DEP_1) | instskip(SKIP_1) | instid1(VALU_DEP_2)
	v_cndmask_b32_e32 v13, v13, v14, vcc_lo
	v_cmp_class_f32_e64 vcc_lo, v12, 0x260
	v_cndmask_b32_e32 v12, v13, v12, vcc_lo
	s_delay_alu instid0(VALU_DEP_1) | instskip(NEXT) | instid1(VALU_DEP_1)
	v_div_scale_f32 v13, null, v12, v12, 1.0
	v_rcp_f32_e32 v14, v13
	v_nop
	s_delay_alu instid0(TRANS32_DEP_1) | instskip(NEXT) | instid1(VALU_DEP_1)
	v_fma_f32 v15, -v13, v14, 1.0
	v_fmac_f32_e32 v14, v15, v14
	v_div_scale_f32 v15, vcc_lo, 1.0, v12, 1.0
	s_delay_alu instid0(VALU_DEP_1) | instskip(NEXT) | instid1(VALU_DEP_1)
	v_mul_f32_e32 v18, v15, v14
	v_fma_f32 v19, -v13, v18, v15
	s_delay_alu instid0(VALU_DEP_1) | instskip(NEXT) | instid1(VALU_DEP_1)
	v_fmac_f32_e32 v18, v19, v14
	v_fma_f32 v13, -v13, v18, v15
	s_delay_alu instid0(VALU_DEP_1) | instskip(NEXT) | instid1(VALU_DEP_1)
	v_div_fmas_f32 v13, v13, v14, v18
                                        ; implicit-def: $vgpr14
	v_div_fixup_f32 v12, v13, v12, 1.0
                                        ; implicit-def: $vgpr13
	s_delay_alu instid0(VALU_DEP_1)
	v_mul_f32_e32 v8, v8, v12
.LBB85_68:                              ;   in Loop: Header=BB85_48 Depth=3
	s_and_not1_saveexec_b32 s60, s60
	s_cbranch_execz .LBB85_70
; %bb.69:                               ;   in Loop: Header=BB85_48 Depth=3
	v_div_scale_f32 v8, null, v13, v13, -v14
	v_div_scale_f32 v18, vcc_lo, -v14, v13, -v14
	s_delay_alu instid0(VALU_DEP_2) | instskip(SKIP_1) | instid1(TRANS32_DEP_1)
	v_rcp_f32_e32 v12, v8
	v_nop
	v_fma_f32 v15, -v8, v12, 1.0
	s_delay_alu instid0(VALU_DEP_1) | instskip(NEXT) | instid1(VALU_DEP_1)
	v_fmac_f32_e32 v12, v15, v12
	v_mul_f32_e32 v15, v18, v12
	s_delay_alu instid0(VALU_DEP_1) | instskip(NEXT) | instid1(VALU_DEP_1)
	v_fma_f32 v19, -v8, v15, v18
	v_fmac_f32_e32 v15, v19, v12
	s_delay_alu instid0(VALU_DEP_1) | instskip(NEXT) | instid1(VALU_DEP_1)
	v_fma_f32 v8, -v8, v15, v18
	v_div_fmas_f32 v8, v8, v12, v15
	s_delay_alu instid0(VALU_DEP_1) | instskip(NEXT) | instid1(VALU_DEP_1)
	v_div_fixup_f32 v12, v8, v13, -v14
	v_fma_f32 v8, v12, v12, 1.0
	s_delay_alu instid0(VALU_DEP_1) | instskip(SKIP_1) | instid1(VALU_DEP_2)
	v_mul_f32_e32 v13, 0x4f800000, v8
	v_cmp_gt_f32_e32 vcc_lo, 0xf800000, v8
	v_cndmask_b32_e32 v8, v8, v13, vcc_lo
	s_delay_alu instid0(VALU_DEP_1) | instskip(SKIP_1) | instid1(TRANS32_DEP_1)
	v_sqrt_f32_e32 v13, v8
	v_nop
	v_dual_add_nc_u32 v14, -1, v13 :: v_dual_add_nc_u32 v15, 1, v13
	s_delay_alu instid0(VALU_DEP_1) | instskip(NEXT) | instid1(VALU_DEP_1)
	v_dual_fma_f32 v18, -v14, v13, v8 :: v_dual_fma_f32 v19, -v15, v13, v8
	v_cmp_ge_f32_e64 s8, 0, v18
	s_delay_alu instid0(VALU_DEP_1) | instskip(NEXT) | instid1(VALU_DEP_3)
	v_cndmask_b32_e64 v13, v13, v14, s8
	v_cmp_lt_f32_e64 s8, 0, v19
	s_delay_alu instid0(VALU_DEP_1) | instskip(NEXT) | instid1(VALU_DEP_1)
	v_cndmask_b32_e64 v13, v13, v15, s8
	v_mul_f32_e32 v14, 0x37800000, v13
	s_delay_alu instid0(VALU_DEP_1) | instskip(SKIP_1) | instid1(VALU_DEP_2)
	v_cndmask_b32_e32 v13, v13, v14, vcc_lo
	v_cmp_class_f32_e64 vcc_lo, v8, 0x260
	v_cndmask_b32_e32 v8, v13, v8, vcc_lo
	s_delay_alu instid0(VALU_DEP_1) | instskip(NEXT) | instid1(VALU_DEP_1)
	v_div_scale_f32 v13, null, v8, v8, 1.0
	v_rcp_f32_e32 v14, v13
	v_nop
	s_delay_alu instid0(TRANS32_DEP_1) | instskip(NEXT) | instid1(VALU_DEP_1)
	v_fma_f32 v15, -v13, v14, 1.0
	v_fmac_f32_e32 v14, v15, v14
	v_div_scale_f32 v15, vcc_lo, 1.0, v8, 1.0
	s_delay_alu instid0(VALU_DEP_1) | instskip(NEXT) | instid1(VALU_DEP_1)
	v_mul_f32_e32 v18, v15, v14
	v_fma_f32 v19, -v13, v18, v15
	s_delay_alu instid0(VALU_DEP_1) | instskip(NEXT) | instid1(VALU_DEP_1)
	v_fmac_f32_e32 v18, v19, v14
	v_fma_f32 v13, -v13, v18, v15
	s_delay_alu instid0(VALU_DEP_1) | instskip(NEXT) | instid1(VALU_DEP_1)
	v_div_fmas_f32 v13, v13, v14, v18
	v_div_fixup_f32 v8, v13, v8, 1.0
	s_delay_alu instid0(VALU_DEP_1)
	v_mul_f32_e32 v12, v12, v8
.LBB85_70:                              ;   in Loop: Header=BB85_48 Depth=3
	s_or_b32 exec_lo, exec_lo, s60
.LBB85_71:                              ;   in Loop: Header=BB85_48 Depth=3
	s_delay_alu instid0(SALU_CYCLE_1)
	s_or_b32 exec_lo, exec_lo, s59
.LBB85_72:                              ;   in Loop: Header=BB85_48 Depth=3
	s_delay_alu instid0(SALU_CYCLE_1)
	s_or_b32 exec_lo, exec_lo, s58
	v_pk_mul_f32 v[16:17], v[16:17], v[8:9] op_sel_hi:[1,0]
	s_mov_b32 s8, exec_lo
                                        ; implicit-def: $vgpr14_vgpr15
	v_cmpx_lg_f32_e32 0, v11
	s_xor_b32 s8, exec_lo, s8
	s_cbranch_execz .LBB85_74
; %bb.73:                               ;   in Loop: Header=BB85_48 Depth=3
	v_div_scale_f32 v8, null, v11, v11, 0
	v_div_scale_f32 v15, vcc_lo, 0, v11, 0
	s_delay_alu instid0(VALU_DEP_2) | instskip(SKIP_1) | instid1(TRANS32_DEP_1)
	v_rcp_f32_e32 v13, v8
	v_nop
	v_fma_f32 v14, -v8, v13, 1.0
	s_delay_alu instid0(VALU_DEP_1) | instskip(NEXT) | instid1(VALU_DEP_1)
	v_fmac_f32_e32 v13, v14, v13
	v_mul_f32_e32 v14, v15, v13
	s_delay_alu instid0(VALU_DEP_1) | instskip(NEXT) | instid1(VALU_DEP_1)
	v_fma_f32 v18, -v8, v14, v15
	v_fmac_f32_e32 v14, v18, v13
	s_delay_alu instid0(VALU_DEP_1) | instskip(NEXT) | instid1(VALU_DEP_1)
	v_fma_f32 v8, -v8, v14, v15
	v_div_fmas_f32 v8, v8, v13, v14
	s_delay_alu instid0(VALU_DEP_1) | instskip(NEXT) | instid1(VALU_DEP_1)
	v_div_fixup_f32 v8, v8, v11, 0
	v_fmac_f32_e32 v11, 0, v8
	s_delay_alu instid0(VALU_DEP_1) | instskip(SKIP_1) | instid1(VALU_DEP_2)
	v_div_scale_f32 v13, null, v11, v11, 1.0
	v_div_scale_f32 v18, vcc_lo, 1.0, v11, 1.0
	v_rcp_f32_e32 v14, v13
	v_nop
	s_delay_alu instid0(TRANS32_DEP_1) | instskip(NEXT) | instid1(VALU_DEP_1)
	v_fma_f32 v15, -v13, v14, 1.0
	v_fmac_f32_e32 v14, v15, v14
	s_delay_alu instid0(VALU_DEP_1) | instskip(NEXT) | instid1(VALU_DEP_1)
	v_mul_f32_e32 v15, v18, v14
	v_fma_f32 v19, -v13, v15, v18
	s_delay_alu instid0(VALU_DEP_1) | instskip(NEXT) | instid1(VALU_DEP_1)
	v_fmac_f32_e32 v15, v19, v14
	v_fma_f32 v13, -v13, v15, v18
	s_delay_alu instid0(VALU_DEP_1) | instskip(SKIP_2) | instid1(VALU_DEP_3)
	v_div_fmas_f32 v13, v13, v14, v15
	v_pk_fma_f32 v[14:15], v[8:9], v[16:17], v[16:17] op_sel:[0,1,0] op_sel_hi:[0,0,1] neg_lo:[1,0,0] neg_hi:[1,0,0]
	v_pk_fma_f32 v[16:17], v[8:9], v[16:17], v[16:17] op_sel:[0,1,0] op_sel_hi:[1,0,1]
	v_div_fixup_f32 v8, v13, v11, 1.0
	s_delay_alu instid0(VALU_DEP_3) | instskip(NEXT) | instid1(VALU_DEP_1)
	v_mov_b32_e32 v17, v15
                                        ; implicit-def: $vgpr11
	v_pk_mul_f32 v[14:15], v[8:9], v[16:17] op_sel_hi:[0,1]
                                        ; implicit-def: $vgpr16_vgpr17
.LBB85_74:                              ;   in Loop: Header=BB85_48 Depth=3
	s_and_not1_saveexec_b32 s8, s8
	s_cbranch_execz .LBB85_76
; %bb.75:                               ;   in Loop: Header=BB85_48 Depth=3
	v_div_scale_f32 v8, null, 0, 0, v11
	v_div_scale_f32 v15, vcc_lo, v11, 0, v11
	s_delay_alu instid0(VALU_DEP_2) | instskip(SKIP_1) | instid1(TRANS32_DEP_1)
	v_rcp_f32_e32 v13, v8
	v_nop
	v_fma_f32 v14, -v8, v13, 1.0
	s_delay_alu instid0(VALU_DEP_1) | instskip(NEXT) | instid1(VALU_DEP_1)
	v_fmac_f32_e32 v13, v14, v13
	v_mul_f32_e32 v14, v15, v13
	s_delay_alu instid0(VALU_DEP_1) | instskip(NEXT) | instid1(VALU_DEP_1)
	v_fma_f32 v18, -v8, v14, v15
	v_fmac_f32_e32 v14, v18, v13
	s_delay_alu instid0(VALU_DEP_1) | instskip(NEXT) | instid1(VALU_DEP_1)
	v_fma_f32 v8, -v8, v14, v15
	v_div_fmas_f32 v8, v8, v13, v14
	s_delay_alu instid0(VALU_DEP_1) | instskip(NEXT) | instid1(VALU_DEP_1)
	v_div_fixup_f32 v8, v8, 0, v11
	v_fma_f32 v11, v11, v8, 0
	s_delay_alu instid0(VALU_DEP_1) | instskip(SKIP_1) | instid1(VALU_DEP_2)
	v_div_scale_f32 v13, null, v11, v11, 1.0
	v_div_scale_f32 v18, vcc_lo, 1.0, v11, 1.0
	v_rcp_f32_e32 v14, v13
	v_nop
	s_delay_alu instid0(TRANS32_DEP_1) | instskip(NEXT) | instid1(VALU_DEP_1)
	v_fma_f32 v15, -v13, v14, 1.0
	v_fmac_f32_e32 v14, v15, v14
	s_delay_alu instid0(VALU_DEP_1) | instskip(NEXT) | instid1(VALU_DEP_1)
	v_mul_f32_e32 v15, v18, v14
	v_fma_f32 v19, -v13, v15, v18
	s_delay_alu instid0(VALU_DEP_1) | instskip(NEXT) | instid1(VALU_DEP_1)
	v_fmac_f32_e32 v15, v19, v14
	v_fma_f32 v13, -v13, v15, v18
	s_delay_alu instid0(VALU_DEP_1) | instskip(SKIP_2) | instid1(VALU_DEP_3)
	v_div_fmas_f32 v13, v13, v14, v15
	v_pk_fma_f32 v[14:15], v[8:9], v[16:17], v[16:17] op_sel:[0,0,1] op_sel_hi:[0,1,0] neg_lo:[0,0,1] neg_hi:[0,0,1]
	v_pk_fma_f32 v[16:17], v[8:9], v[16:17], v[16:17] op_sel:[0,0,1] op_sel_hi:[1,1,0]
	v_div_fixup_f32 v8, v13, v11, 1.0
	s_delay_alu instid0(VALU_DEP_3) | instskip(NEXT) | instid1(VALU_DEP_1)
	v_mov_b32_e32 v17, v15
	v_pk_mul_f32 v[14:15], v[8:9], v[16:17] op_sel_hi:[0,1]
.LBB85_76:                              ;   in Loop: Header=BB85_48 Depth=3
	s_or_b32 exec_lo, exec_lo, s8
.LBB85_77:                              ;   in Loop: Header=BB85_48 Depth=3
	s_delay_alu instid0(SALU_CYCLE_1)
	s_or_b32 exec_lo, exec_lo, s57
	ds_store_b32 v29, v12
	ds_store_2addr_b32 v30, v14, v15 offset1:1
.LBB85_78:                              ;   in Loop: Header=BB85_48 Depth=3
	s_or_b32 exec_lo, exec_lo, s9
	s_and_b32 s6, s6, s7
	s_mov_b32 s8, 0
	s_wait_dscnt 0x0
	s_barrier_signal -1
	s_barrier_wait -1
	s_and_saveexec_b32 s7, s6
	s_cbranch_execz .LBB85_90
; %bb.79:                               ;   in Loop: Header=BB85_48 Depth=3
	ds_load_2addr_b32 v[14:15], v30 offset1:1
	ds_load_b32 v12, v29
	s_mov_b32 s6, 0
	s_wait_dscnt 0x1
	v_xor_b32_e32 v9, 0x80000000, v15
	s_and_saveexec_b32 s57, s3
	s_cbranch_execz .LBB85_89
; %bb.80:                               ;   in Loop: Header=BB85_48 Depth=3
	v_mad_u32 v20, v37, s15, v31
	v_mad_u32 v22, v39, s15, v31
	v_mov_b32_e32 v16, v14
	v_mul_lo_u32 v8, v39, s19
	v_mul_lo_u32 v40, v37, s19
	s_wait_dscnt 0x0
	v_dual_mov_b32 v13, v12 :: v_dual_mov_b32 v11, v15
	v_xor_b32_e32 v10, 0x80000000, v15
	v_dual_mov_b32 v18, v15 :: v_dual_mov_b32 v19, v15
	v_dual_mov_b32 v41, v31 :: v_dual_mov_b32 v42, v32
	v_dual_ashrrev_i32 v21, 31, v20 :: v_dual_ashrrev_i32 v23, 31, v22
	v_mov_b32_e32 v17, v14
	s_mov_b32 s58, 0
	s_mov_b64 s[8:9], s[36:37]
	s_delay_alu instid0(VALU_DEP_2)
	v_lshlrev_b64_e32 v[20:21], 3, v[20:21]
	v_lshlrev_b64_e32 v[22:23], 3, v[22:23]
	s_branch .LBB85_83
.LBB85_81:                              ;   in Loop: Header=BB85_83 Depth=4
	s_wait_xcnt 0x0
	s_or_b32 exec_lo, exec_lo, s59
.LBB85_82:                              ;   in Loop: Header=BB85_83 Depth=4
	v_dual_add_nc_u32 v42, s33, v42 :: v_dual_add_nc_u32 v41, s16, v41
	s_add_nc_u64 s[8:9], s[8:9], s[38:39]
	s_delay_alu instid0(VALU_DEP_1) | instskip(SKIP_1) | instid1(SALU_CYCLE_1)
	v_cmp_le_i32_e32 vcc_lo, s28, v42
	s_or_b32 s58, vcc_lo, s58
	s_and_not1_b32 exec_lo, exec_lo, s58
	s_cbranch_execz .LBB85_88
.LBB85_83:                              ;   Parent Loop BB85_43 Depth=1
                                        ;     Parent Loop BB85_46 Depth=2
                                        ;       Parent Loop BB85_48 Depth=3
                                        ; =>      This Inner Loop Header: Depth=4
	s_delay_alu instid0(VALU_DEP_2) | instskip(NEXT) | instid1(VALU_DEP_2)
	v_add_nc_u64_e32 v[24:25], s[8:9], v[20:21]
	v_add_nc_u64_e32 v[26:27], s[8:9], v[22:23]
	s_clause 0x1
	global_load_b64 v[44:45], v[24:25], off
	global_load_b64 v[46:47], v[26:27], off
	v_add_nc_u32_e32 v43, 1, v41
	s_delay_alu instid0(VALU_DEP_1) | instskip(SKIP_4) | instid1(VALU_DEP_2)
	v_cmp_gt_i32_e64 s6, s15, v43
	s_wait_loadcnt 0x1
	v_pk_mul_f32 v[48:49], v[18:19], v[44:45]
	s_wait_loadcnt 0x0
	v_pk_mul_f32 v[52:53], v[10:11], v[46:47]
	v_pk_fma_f32 v[50:51], v[16:17], v[44:45], v[48:49] op_sel:[0,0,1] op_sel_hi:[1,1,0] neg_lo:[0,0,1] neg_hi:[0,0,1]
	v_pk_fma_f32 v[48:49], v[16:17], v[44:45], v[48:49] op_sel:[0,0,1] op_sel_hi:[1,1,0]
	s_delay_alu instid0(VALU_DEP_2) | instskip(NEXT) | instid1(VALU_DEP_4)
	v_mov_b32_e32 v49, v51
	v_pk_fma_f32 v[50:51], v[16:17], v[46:47], v[52:53] op_sel:[0,0,1] op_sel_hi:[1,1,0] neg_lo:[1,0,0] neg_hi:[1,0,0]
	s_delay_alu instid0(VALU_DEP_2) | instskip(NEXT) | instid1(VALU_DEP_2)
	v_pk_fma_f32 v[46:47], v[12:13], v[46:47], v[48:49]
	v_pk_fma_f32 v[44:45], v[12:13], v[44:45], v[50:51]
	s_clause 0x1
	global_store_b64 v[26:27], v[46:47], off
	global_store_b64 v[24:25], v[44:45], off
	s_wait_xcnt 0x0
	s_and_saveexec_b32 s59, s6
	s_cbranch_execz .LBB85_85
; %bb.84:                               ;   in Loop: Header=BB85_83 Depth=4
	s_clause 0x1
	global_load_b64 v[44:45], v[24:25], off offset:8
	global_load_b64 v[46:47], v[26:27], off offset:8
	s_wait_loadcnt 0x1
	v_pk_mul_f32 v[48:49], v[18:19], v[44:45]
	s_wait_loadcnt 0x0
	v_pk_mul_f32 v[52:53], v[10:11], v[46:47]
	s_delay_alu instid0(VALU_DEP_2) | instskip(SKIP_1) | instid1(VALU_DEP_2)
	v_pk_fma_f32 v[50:51], v[16:17], v[44:45], v[48:49] op_sel:[0,0,1] op_sel_hi:[1,1,0] neg_lo:[0,0,1] neg_hi:[0,0,1]
	v_pk_fma_f32 v[48:49], v[16:17], v[44:45], v[48:49] op_sel:[0,0,1] op_sel_hi:[1,1,0]
	v_mov_b32_e32 v49, v51
	s_delay_alu instid0(VALU_DEP_4) | instskip(NEXT) | instid1(VALU_DEP_2)
	v_pk_fma_f32 v[50:51], v[16:17], v[46:47], v[52:53] op_sel:[0,0,1] op_sel_hi:[1,1,0] neg_lo:[1,0,0] neg_hi:[1,0,0]
	v_pk_fma_f32 v[46:47], v[12:13], v[46:47], v[48:49]
	s_delay_alu instid0(VALU_DEP_2)
	v_pk_fma_f32 v[44:45], v[12:13], v[44:45], v[50:51]
	s_clause 0x1
	global_store_b64 v[26:27], v[46:47], off offset:8
	global_store_b64 v[24:25], v[44:45], off offset:8
.LBB85_85:                              ;   in Loop: Header=BB85_83 Depth=4
	s_wait_xcnt 0x0
	s_or_b32 exec_lo, exec_lo, s59
	s_delay_alu instid0(SALU_CYCLE_1)
	s_and_not1_b32 vcc_lo, exec_lo, s50
	s_cbranch_vccnz .LBB85_82
; %bb.86:                               ;   in Loop: Header=BB85_83 Depth=4
	v_add_nc_u32_e32 v26, v40, v41
	v_add_nc_u32_e32 v24, v8, v41
	s_clause 0x1
	global_load_b64 v[44:45], v26, s[10:11] scale_offset
	global_load_b64 v[46:47], v24, s[10:11] scale_offset
	s_wait_loadcnt 0x1
	v_pk_mul_f32 v[48:49], v[18:19], v[44:45]
	s_wait_loadcnt 0x0
	v_pk_mul_f32 v[52:53], v[10:11], v[46:47]
	s_delay_alu instid0(VALU_DEP_2) | instskip(SKIP_1) | instid1(VALU_DEP_2)
	v_pk_fma_f32 v[50:51], v[16:17], v[44:45], v[48:49] op_sel:[0,0,1] op_sel_hi:[1,1,0] neg_lo:[0,0,1] neg_hi:[0,0,1]
	v_pk_fma_f32 v[48:49], v[16:17], v[44:45], v[48:49] op_sel:[0,0,1] op_sel_hi:[1,1,0]
	v_mov_b32_e32 v49, v51
	s_delay_alu instid0(VALU_DEP_4) | instskip(NEXT) | instid1(VALU_DEP_2)
	v_pk_fma_f32 v[50:51], v[16:17], v[46:47], v[52:53] op_sel:[0,0,1] op_sel_hi:[1,1,0] neg_lo:[1,0,0] neg_hi:[1,0,0]
	v_pk_fma_f32 v[46:47], v[12:13], v[46:47], v[48:49]
	s_delay_alu instid0(VALU_DEP_2)
	v_pk_fma_f32 v[44:45], v[12:13], v[44:45], v[50:51]
	s_clause 0x1
	global_store_b64 v24, v[46:47], s[10:11] scale_offset
	global_store_b64 v26, v[44:45], s[10:11] scale_offset
	s_wait_xcnt 0x0
	s_and_saveexec_b32 s59, s6
	s_cbranch_execz .LBB85_81
; %bb.87:                               ;   in Loop: Header=BB85_83 Depth=4
	v_dual_ashrrev_i32 v27, 31, v26 :: v_dual_ashrrev_i32 v25, 31, v24
	s_delay_alu instid0(VALU_DEP_1) | instskip(NEXT) | instid1(VALU_DEP_2)
	v_lshl_add_u64 v[26:27], v[26:27], 3, s[10:11]
	v_lshl_add_u64 v[24:25], v[24:25], 3, s[10:11]
	s_clause 0x1
	global_load_b64 v[44:45], v[26:27], off offset:8
	global_load_b64 v[46:47], v[24:25], off offset:8
	s_wait_loadcnt 0x1
	v_pk_mul_f32 v[48:49], v[18:19], v[44:45]
	s_wait_loadcnt 0x0
	v_pk_mul_f32 v[52:53], v[10:11], v[46:47]
	s_delay_alu instid0(VALU_DEP_2) | instskip(SKIP_1) | instid1(VALU_DEP_2)
	v_pk_fma_f32 v[50:51], v[16:17], v[44:45], v[48:49] op_sel:[0,0,1] op_sel_hi:[1,1,0] neg_lo:[0,0,1] neg_hi:[0,0,1]
	v_pk_fma_f32 v[48:49], v[16:17], v[44:45], v[48:49] op_sel:[0,0,1] op_sel_hi:[1,1,0]
	v_mov_b32_e32 v49, v51
	s_delay_alu instid0(VALU_DEP_4) | instskip(NEXT) | instid1(VALU_DEP_2)
	v_pk_fma_f32 v[50:51], v[16:17], v[46:47], v[52:53] op_sel:[0,0,1] op_sel_hi:[1,1,0] neg_lo:[1,0,0] neg_hi:[1,0,0]
	v_pk_fma_f32 v[46:47], v[12:13], v[46:47], v[48:49]
	s_delay_alu instid0(VALU_DEP_2)
	v_pk_fma_f32 v[44:45], v[12:13], v[44:45], v[50:51]
	s_clause 0x1
	global_store_b64 v[24:25], v[46:47], off offset:8
	global_store_b64 v[26:27], v[44:45], off offset:8
	s_branch .LBB85_81
.LBB85_88:                              ;   in Loop: Header=BB85_48 Depth=3
	s_or_b32 exec_lo, exec_lo, s58
	s_delay_alu instid0(SALU_CYCLE_1)
	s_mov_b32 s6, exec_lo
.LBB85_89:                              ;   in Loop: Header=BB85_48 Depth=3
	s_or_b32 exec_lo, exec_lo, s57
	v_mov_b32_e32 v10, v14
	s_and_b32 s8, s6, exec_lo
.LBB85_90:                              ;   in Loop: Header=BB85_48 Depth=3
	s_or_b32 exec_lo, exec_lo, s7
	s_wait_storecnt_dscnt 0x0
	s_barrier_signal -1
	s_barrier_wait -1
	s_and_saveexec_b32 s6, s8
	s_cbranch_execz .LBB85_95
; %bb.91:                               ;   in Loop: Header=BB85_48 Depth=3
	v_xor_b32_e32 v8, 0x80000000, v9
	v_dual_mov_b32 v13, v12 :: v_dual_mov_b32 v11, v10
	v_dual_mov_b32 v16, v15 :: v_dual_mov_b32 v17, v14
	v_dual_add_nc_u32 v18, v34, v39 :: v_dual_add_nc_u32 v19, v34, v37
	v_dual_add_nc_u32 v20, v3, v37 :: v_dual_add_nc_u32 v21, v3, v39
	v_dual_mov_b32 v22, v33 :: v_dual_mov_b32 v23, v32
	s_mov_b32 s7, 0
	s_mov_b32 s8, 0
	s_branch .LBB85_93
.LBB85_92:                              ;   in Loop: Header=BB85_93 Depth=4
	s_wait_xcnt 0x0
	s_or_b32 exec_lo, exec_lo, s9
	v_dual_add_nc_u32 v23, s33, v23 :: v_dual_add_nc_u32 v22, s16, v22
	s_add_co_i32 s8, s8, s17
	s_delay_alu instid0(VALU_DEP_1) | instskip(SKIP_1) | instid1(SALU_CYCLE_1)
	v_cmp_le_i32_e32 vcc_lo, s28, v23
	s_or_b32 s7, vcc_lo, s7
	s_and_not1_b32 exec_lo, exec_lo, s7
	s_cbranch_execz .LBB85_95
.LBB85_93:                              ;   Parent Loop BB85_43 Depth=1
                                        ;     Parent Loop BB85_46 Depth=2
                                        ;       Parent Loop BB85_48 Depth=3
                                        ; =>      This Inner Loop Header: Depth=4
	v_dual_add_nc_u32 v46, s8, v20 :: v_dual_add_nc_u32 v47, s8, v21
	s_mov_b32 s9, exec_lo
	s_clause 0x1
	global_load_b64 v[24:25], v46, s[36:37] scale_offset
	global_load_b64 v[26:27], v47, s[36:37] scale_offset
	s_wait_loadcnt 0x1
	v_pk_mul_f32 v[40:41], v[16:17], v[24:25] op_sel:[0,1]
	s_wait_loadcnt 0x0
	v_pk_mul_f32 v[44:45], v[8:9], v[26:27]
	s_delay_alu instid0(VALU_DEP_2) | instskip(SKIP_1) | instid1(VALU_DEP_2)
	v_pk_fma_f32 v[42:43], v[14:15], v[24:25], v[40:41] op_sel_hi:[1,0,1]
	v_pk_fma_f32 v[40:41], v[14:15], v[24:25], v[40:41] neg_lo:[0,0,1] neg_hi:[0,0,1]
	v_mov_b32_e32 v41, v43
	s_delay_alu instid0(VALU_DEP_4) | instskip(NEXT) | instid1(VALU_DEP_2)
	v_pk_fma_f32 v[42:43], v[10:11], v[26:27], v[44:45] op_sel:[0,0,1] op_sel_hi:[1,1,0] neg_lo:[1,0,0] neg_hi:[1,0,0]
	v_pk_fma_f32 v[26:27], v[12:13], v[26:27], v[40:41]
	s_delay_alu instid0(VALU_DEP_2)
	v_pk_fma_f32 v[24:25], v[12:13], v[24:25], v[42:43]
	s_clause 0x1
	global_store_b64 v47, v[26:27], s[36:37] scale_offset
	global_store_b64 v46, v[24:25], s[36:37] scale_offset
	s_wait_xcnt 0x0
	v_cmpx_gt_i32_e64 s15, v22
	s_cbranch_execz .LBB85_92
; %bb.94:                               ;   in Loop: Header=BB85_93 Depth=4
	v_dual_add_nc_u32 v46, s8, v19 :: v_dual_add_nc_u32 v47, s8, v18
	s_clause 0x1
	global_load_b64 v[24:25], v46, s[36:37] scale_offset
	global_load_b64 v[26:27], v47, s[36:37] scale_offset
	s_wait_loadcnt 0x1
	v_pk_mul_f32 v[40:41], v[16:17], v[24:25] op_sel:[0,1]
	s_wait_loadcnt 0x0
	v_pk_mul_f32 v[44:45], v[8:9], v[26:27]
	s_delay_alu instid0(VALU_DEP_2) | instskip(SKIP_1) | instid1(VALU_DEP_2)
	v_pk_fma_f32 v[42:43], v[14:15], v[24:25], v[40:41] op_sel_hi:[1,0,1]
	v_pk_fma_f32 v[40:41], v[14:15], v[24:25], v[40:41] neg_lo:[0,0,1] neg_hi:[0,0,1]
	v_mov_b32_e32 v41, v43
	s_delay_alu instid0(VALU_DEP_4) | instskip(NEXT) | instid1(VALU_DEP_2)
	v_pk_fma_f32 v[42:43], v[10:11], v[26:27], v[44:45] op_sel:[0,0,1] op_sel_hi:[1,1,0] neg_lo:[1,0,0] neg_hi:[1,0,0]
	v_pk_fma_f32 v[26:27], v[12:13], v[26:27], v[40:41]
	s_delay_alu instid0(VALU_DEP_2)
	v_pk_fma_f32 v[24:25], v[12:13], v[24:25], v[42:43]
	s_clause 0x1
	global_store_b64 v47, v[26:27], s[36:37] scale_offset
	global_store_b64 v46, v[24:25], s[36:37] scale_offset
	s_branch .LBB85_92
.LBB85_95:                              ;   in Loop: Header=BB85_48 Depth=3
	s_or_b32 exec_lo, exec_lo, s6
	s_wait_storecnt 0x0
	s_barrier_signal -1
	s_barrier_wait -1
	s_and_saveexec_b32 s6, s56
	s_cbranch_execz .LBB85_97
; %bb.96:                               ;   in Loop: Header=BB85_48 Depth=3
	v_mad_u32 v8, v37, s15, v39
	v_mad_u32 v11, v39, s15, v37
	s_clause 0x1
	global_store_b64 v8, v[6:7], s[36:37] scale_offset
	global_store_b64 v11, v[6:7], s[36:37] scale_offset
.LBB85_97:                              ;   in Loop: Header=BB85_48 Depth=3
	s_wait_xcnt 0x0
	s_or_b32 exec_lo, exec_lo, s6
	s_and_b32 s5, s2, s5
	s_wait_storecnt 0x0
	s_barrier_signal -1
	s_barrier_wait -1
	s_and_saveexec_b32 s6, s5
	s_cbranch_execz .LBB85_109
; %bb.98:                               ;   in Loop: Header=BB85_48 Depth=3
	s_mov_b32 s7, exec_lo
	v_cmpx_lt_i32_e32 0, v39
	s_cbranch_execz .LBB85_104
; %bb.99:                               ;   in Loop: Header=BB85_48 Depth=3
	v_cmp_ne_u32_e32 vcc_lo, 2, v39
	v_cmp_ne_u32_e64 s5, s45, v39
                                        ; implicit-def: $vgpr8
	s_and_b32 s5, vcc_lo, s5
	s_delay_alu instid0(SALU_CYCLE_1) | instskip(NEXT) | instid1(SALU_CYCLE_1)
	s_and_saveexec_b32 s8, s5
	s_xor_b32 s5, exec_lo, s8
; %bb.100:                              ;   in Loop: Header=BB85_48 Depth=3
	v_and_b32_e32 v8, 1, v39
	s_delay_alu instid0(VALU_DEP_1) | instskip(SKIP_1) | instid1(VALU_DEP_1)
	v_cmp_eq_u32_e32 vcc_lo, 0, v8
	v_cndmask_b32_e64 v8, 2, -2, vcc_lo
	v_add_nc_u32_e32 v8, v8, v39
                                        ; implicit-def: $vgpr39
; %bb.101:                              ;   in Loop: Header=BB85_48 Depth=3
	s_and_not1_saveexec_b32 s5, s5
; %bb.102:                              ;   in Loop: Header=BB85_48 Depth=3
	v_add_nc_u32_e32 v8, -1, v39
; %bb.103:                              ;   in Loop: Header=BB85_48 Depth=3
	s_or_b32 exec_lo, exec_lo, s5
	v_lshl_add_u32 v11, v38, 2, s43
	ds_store_b32 v11, v8
.LBB85_104:                             ;   in Loop: Header=BB85_48 Depth=3
	s_or_b32 exec_lo, exec_lo, s7
	v_cmp_ne_u32_e32 vcc_lo, 2, v37
	v_cmp_ne_u32_e64 s5, s45, v37
                                        ; implicit-def: $vgpr8
	s_and_b32 s5, vcc_lo, s5
	s_delay_alu instid0(SALU_CYCLE_1) | instskip(NEXT) | instid1(SALU_CYCLE_1)
	s_and_saveexec_b32 s7, s5
	s_xor_b32 s5, exec_lo, s7
; %bb.105:                              ;   in Loop: Header=BB85_48 Depth=3
	v_and_b32_e32 v8, 1, v37
	s_delay_alu instid0(VALU_DEP_1) | instskip(SKIP_1) | instid1(VALU_DEP_1)
	v_cmp_eq_u32_e32 vcc_lo, 0, v8
	v_cndmask_b32_e64 v8, 2, -2, vcc_lo
	v_add_nc_u32_e32 v8, v8, v37
                                        ; implicit-def: $vgpr37
; %bb.106:                              ;   in Loop: Header=BB85_48 Depth=3
	s_and_not1_saveexec_b32 s5, s5
; %bb.107:                              ;   in Loop: Header=BB85_48 Depth=3
	v_add_nc_u32_e32 v8, -1, v37
; %bb.108:                              ;   in Loop: Header=BB85_48 Depth=3
	s_or_b32 exec_lo, exec_lo, s5
	ds_store_b32 v36, v8
.LBB85_109:                             ;   in Loop: Header=BB85_48 Depth=3
	s_or_b32 exec_lo, exec_lo, s6
	s_add_co_i32 s5, s55, 1
	s_cmp_eq_u32 s55, s46
	s_wait_dscnt 0x0
	s_barrier_signal -1
	s_barrier_wait -1
	s_cbranch_scc1 .LBB85_45
; %bb.110:                              ;   in Loop: Header=BB85_48 Depth=3
	s_mov_b32 s55, s5
	s_branch .LBB85_48
.LBB85_111:                             ;   in Loop: Header=BB85_43 Depth=1
	s_and_saveexec_b32 s5, s2
	s_cbranch_execz .LBB85_121
; %bb.112:                              ;   in Loop: Header=BB85_43 Depth=1
	v_mov_b32_e32 v8, 0
	s_and_saveexec_b32 s6, s4
	s_cbranch_execz .LBB85_120
; %bb.113:                              ;   in Loop: Header=BB85_43 Depth=1
	v_mov_b64_e32 v[16:17], v[0:1]
	v_dual_mov_b32 v8, 0 :: v_dual_mov_b32 v11, v2
	s_mov_b32 s7, 0
	s_branch .LBB85_115
.LBB85_114:                             ;   in Loop: Header=BB85_115 Depth=2
	s_or_b32 exec_lo, exec_lo, s8
	v_add_nc_u32_e32 v11, s18, v11
	v_add_nc_u64_e32 v[16:17], v[16:17], v[4:5]
	s_delay_alu instid0(VALU_DEP_2) | instskip(SKIP_1) | instid1(SALU_CYCLE_1)
	v_cmp_le_i32_e32 vcc_lo, s15, v11
	s_or_b32 s7, vcc_lo, s7
	s_and_not1_b32 exec_lo, exec_lo, s7
	s_cbranch_execz .LBB85_119
.LBB85_115:                             ;   Parent Loop BB85_43 Depth=1
                                        ; =>  This Loop Header: Depth=2
                                        ;       Child Loop BB85_117 Depth 3
	s_mov_b32 s8, exec_lo
	s_delay_alu instid0(VALU_DEP_1)
	v_cmpx_lt_i32_e32 0, v11
	s_cbranch_execz .LBB85_114
; %bb.116:                              ;   in Loop: Header=BB85_115 Depth=2
	v_mov_b64_e32 v[18:19], v[16:17]
	s_mov_b32 s9, 0
	s_mov_b32 s31, 0
.LBB85_117:                             ;   Parent Loop BB85_43 Depth=1
                                        ;     Parent Loop BB85_115 Depth=2
                                        ; =>    This Inner Loop Header: Depth=3
	global_load_b64 v[20:21], v[18:19], off
	s_add_co_i32 s31, s31, 1
	s_wait_xcnt 0x0
	v_add_nc_u64_e32 v[18:19], s[40:41], v[18:19]
	v_cmp_eq_u32_e32 vcc_lo, s31, v11
	s_or_b32 s9, vcc_lo, s9
	s_wait_loadcnt 0x0
	v_pk_mul_f32 v[20:21], v[20:21], v[20:21]
	s_delay_alu instid0(VALU_DEP_1) | instskip(NEXT) | instid1(VALU_DEP_1)
	v_add_f32_e32 v13, v20, v21
	v_fmac_f32_e32 v8, 2.0, v13
	s_and_not1_b32 exec_lo, exec_lo, s9
	s_cbranch_execnz .LBB85_117
; %bb.118:                              ;   in Loop: Header=BB85_115 Depth=2
	s_or_b32 exec_lo, exec_lo, s9
	s_branch .LBB85_114
.LBB85_119:                             ;   in Loop: Header=BB85_43 Depth=1
	s_or_b32 exec_lo, exec_lo, s7
.LBB85_120:                             ;   in Loop: Header=BB85_43 Depth=1
	s_delay_alu instid0(SALU_CYCLE_1)
	s_or_b32 exec_lo, exec_lo, s6
	ds_store_b32 v29, v8
.LBB85_121:                             ;   in Loop: Header=BB85_43 Depth=1
	s_or_b32 exec_lo, exec_lo, s5
	v_mov_b32_e32 v11, 0
	s_and_not1_b32 vcc_lo, exec_lo, s14
	s_wait_dscnt 0x0
	s_barrier_signal -1
	s_barrier_wait -1
	s_cbranch_vccnz .LBB85_42
; %bb.122:                              ;   in Loop: Header=BB85_43 Depth=1
	s_mov_b32 s5, 0
	s_and_not1_b32 vcc_lo, exec_lo, s52
	s_cbranch_vccnz .LBB85_126
; %bb.123:                              ;   in Loop: Header=BB85_43 Depth=1
	s_mov_b32 s6, 0
.LBB85_124:                             ;   Parent Loop BB85_43 Depth=1
                                        ; =>  This Inner Loop Header: Depth=2
	s_delay_alu instid0(SALU_CYCLE_1)
	v_mov_b32_e32 v8, s6
	s_add_co_i32 s5, s5, 8
	s_add_co_i32 s6, s6, 32
	s_cmp_lg_u32 s53, s5
	ds_load_2addr_b64 v[16:19], v8 offset1:1
	ds_load_2addr_b64 v[20:23], v8 offset0:2 offset1:3
	s_wait_dscnt 0x1
	v_add_f32_e32 v8, v11, v16
	s_delay_alu instid0(VALU_DEP_1) | instskip(NEXT) | instid1(VALU_DEP_1)
	v_add_f32_e32 v8, v8, v17
	v_add_f32_e32 v8, v8, v18
	s_delay_alu instid0(VALU_DEP_1) | instskip(SKIP_1) | instid1(VALU_DEP_1)
	v_add_f32_e32 v8, v8, v19
	s_wait_dscnt 0x0
	v_add_f32_e32 v8, v8, v20
	s_delay_alu instid0(VALU_DEP_1) | instskip(NEXT) | instid1(VALU_DEP_1)
	v_add_f32_e32 v8, v8, v21
	v_add_f32_e32 v8, v8, v22
	s_delay_alu instid0(VALU_DEP_1)
	v_add_f32_e32 v11, v8, v23
	s_cbranch_scc1 .LBB85_124
; %bb.125:                              ;   in Loop: Header=BB85_43 Depth=1
	s_mov_b32 s5, s53
.LBB85_126:                             ;   in Loop: Header=BB85_43 Depth=1
	s_and_not1_b32 vcc_lo, exec_lo, s54
	s_cbranch_vccnz .LBB85_42
; %bb.127:                              ;   in Loop: Header=BB85_43 Depth=1
	s_lshl_b32 s5, s5, 2
	s_mov_b32 s6, s51
	s_add_co_i32 s5, s5, 0
.LBB85_128:                             ;   Parent Loop BB85_43 Depth=1
                                        ; =>  This Inner Loop Header: Depth=2
	s_delay_alu instid0(SALU_CYCLE_1)
	v_mov_b32_e32 v8, s5
	s_add_co_i32 s6, s6, -1
	s_add_co_i32 s5, s5, 4
	s_cmp_lg_u32 s6, 0
	ds_load_b32 v8, v8
	s_wait_dscnt 0x0
	v_add_f32_e32 v11, v11, v8
	s_cbranch_scc1 .LBB85_128
	s_branch .LBB85_42
.LBB85_129:
	s_mul_u64 s[4:5], s[24:25], s[34:35]
	s_and_saveexec_b32 s6, s2
	s_cbranch_execz .LBB85_135
; %bb.130:
	s_mov_b32 s7, exec_lo
	v_cmpx_eq_u32_e32 0, v2
	s_cbranch_execz .LBB85_132
; %bb.131:
	v_mul_f32_e32 v0, 0x4f800000, v11
	v_cmp_gt_f32_e32 vcc_lo, 0xf800000, v11
	s_load_b64 s[8:9], s[0:1], 0x30
	s_cmp_gt_i32 s29, s42
	s_delay_alu instid0(VALU_DEP_2) | instskip(NEXT) | instid1(VALU_DEP_1)
	v_cndmask_b32_e32 v0, v11, v0, vcc_lo
	v_sqrt_f32_e32 v1, v0
	v_nop
	s_delay_alu instid0(TRANS32_DEP_1) | instskip(NEXT) | instid1(VALU_DEP_1)
	v_dual_add_nc_u32 v3, -1, v1 :: v_dual_add_nc_u32 v4, 1, v1
	v_xor_b32_e32 v5, 0x80000000, v3
	s_delay_alu instid0(VALU_DEP_2) | instskip(NEXT) | instid1(VALU_DEP_1)
	v_xor_b32_e32 v6, 0x80000000, v4
	v_dual_fma_f32 v5, v5, v1, v0 :: v_dual_fma_f32 v6, v6, v1, v0
	s_delay_alu instid0(VALU_DEP_1) | instskip(SKIP_1) | instid1(VALU_DEP_2)
	v_cmp_ge_f32_e64 s3, 0, v5
	s_wait_xcnt 0x0
	v_cmp_lt_f32_e64 s0, 0, v6
	s_delay_alu instid0(VALU_DEP_2) | instskip(NEXT) | instid1(VALU_DEP_1)
	v_cndmask_b32_e64 v1, v1, v3, s3
	v_cndmask_b32_e64 v1, v1, v4, s0
	s_cselect_b32 s0, -1, 0
	s_min_i32 s1, s29, s42
	v_cndmask_b32_e64 v4, 0, 1, s0
	s_delay_alu instid0(VALU_DEP_2) | instskip(NEXT) | instid1(VALU_DEP_1)
	v_mul_f32_e32 v3, 0x37800000, v1
	v_cndmask_b32_e32 v1, v1, v3, vcc_lo
	v_cmp_class_f32_e64 vcc_lo, v0, 0x260
	s_delay_alu instid0(VALU_DEP_2)
	v_dual_mov_b32 v3, s34 :: v_dual_cndmask_b32 v0, v1, v0
	v_mov_b32_e32 v1, s1
	s_wait_kmcnt 0x0
	s_clause 0x2
	global_store_b32 v3, v0, s[8:9] scale_offset
	global_store_b32 v3, v1, s[20:21] scale_offset
	;; [unrolled: 1-line block ×3, first 2 shown]
.LBB85_132:
	s_wait_xcnt 0x0
	s_or_b32 exec_lo, exec_lo, s7
	v_cmp_gt_i32_e32 vcc_lo, s15, v2
	s_and_b32 exec_lo, exec_lo, vcc_lo
	s_cbranch_execz .LBB85_135
; %bb.133:
	s_ashr_i32 s29, s28, 31
	s_ashr_i32 s31, s30, 31
	v_mad_u32 v0, v2, s15, v2
	v_min_i64 v[4:5], s[28:29], s[30:31]
	v_ashrrev_i32_e32 v3, 31, v2
	s_lshl_b64 s[0:1], s[4:5], 2
	s_add_co_i32 s3, s15, 1
	s_add_nc_u64 s[0:1], s[22:23], s[0:1]
	s_delay_alu instid0(VALU_DEP_1) | instid1(SALU_CYCLE_1)
	v_lshl_add_u64 v[6:7], v[2:3], 2, s[0:1]
	v_mov_b32_e32 v3, v2
	s_mul_i32 s0, s18, s3
	s_mov_b32 s1, 0
	s_delay_alu instid0(VALU_DEP_4)
	v_lshlrev_b64_e32 v[4:5], 2, v[4:5]
.LBB85_134:                             ; =>This Inner Loop Header: Depth=1
	s_delay_alu instid0(VALU_DEP_2) | instskip(NEXT) | instid1(VALU_DEP_1)
	v_dual_ashrrev_i32 v1, 31, v0 :: v_dual_add_nc_u32 v3, s18, v3
	v_lshl_add_u64 v[8:9], v[0:1], 3, s[36:37]
	s_delay_alu instid0(VALU_DEP_2)
	v_cmp_le_i32_e32 vcc_lo, s15, v3
	v_add_nc_u32_e32 v0, s0, v0
	global_load_b32 v1, v[8:9], off
	s_or_b32 s1, vcc_lo, s1
	s_wait_loadcnt 0x0
	global_store_b32 v[6:7], v1, off
	s_wait_xcnt 0x0
	v_add_nc_u64_e32 v[6:7], v[6:7], v[4:5]
	s_and_not1_b32 exec_lo, exec_lo, s1
	s_cbranch_execnz .LBB85_134
.LBB85_135:
	s_or_b32 exec_lo, exec_lo, s6
	s_cmp_eq_u32 s12, 0xfb
	s_wait_storecnt 0x0
	s_cselect_b32 s0, -1, 0
	s_cmp_lt_i32 s15, 2
	s_barrier_signal -1
	s_cselect_b32 s1, -1, 0
	s_barrier_wait -1
	s_or_b32 s0, s0, s1
	s_delay_alu instid0(SALU_CYCLE_1)
	s_and_b32 vcc_lo, exec_lo, s0
	s_cbranch_vccnz .LBB85_146
; %bb.136:
	s_lshl_b64 s[4:5], s[4:5], 2
	s_cmp_lg_u32 s13, 0xd5
	v_cmp_gt_i32_e64 s0, s15, v2
	s_cselect_b32 s1, -1, 0
	s_ashr_i32 s29, s28, 31
	s_ashr_i32 s31, s30, 31
	v_dual_mov_b32 v3, 0 :: v_dual_mov_b32 v4, v2
	v_min_i64 v[0:1], s[28:29], s[30:31]
	s_add_nc_u64 s[4:5], s[22:23], s[4:5]
	s_mov_b32 s7, 0
	s_and_b32 s1, s1, s0
	s_add_co_i32 s3, s15, -2
	s_add_nc_u64 s[8:9], s[4:5], 4
	s_mov_b32 s6, s7
	v_cmp_eq_u32_e32 vcc_lo, 0, v2
	s_delay_alu instid0(VALU_DEP_2)
	v_lshlrev_b64_e32 v[0:1], 3, v[0:1]
	s_branch .LBB85_138
.LBB85_137:                             ;   in Loop: Header=BB85_138 Depth=1
	s_or_b32 exec_lo, exec_lo, s16
	v_add_nc_u32_e32 v4, s19, v4
	s_add_nc_u64 s[8:9], s[8:9], 4
	s_cmp_lg_u32 s6, s3
	s_mov_b32 s6, s14
	s_wait_storecnt 0x0
	s_barrier_signal -1
	s_barrier_wait -1
	s_cbranch_scc0 .LBB85_146
.LBB85_138:                             ; =>This Loop Header: Depth=1
                                        ;     Child Loop BB85_139 Depth 2
                                        ;     Child Loop BB85_145 Depth 2
	v_mov_b32_e32 v5, s6
	s_lshl_b64 s[12:13], s[6:7], 2
	s_add_co_i32 s14, s6, 1
	s_add_nc_u64 s[12:13], s[4:5], s[12:13]
	s_mov_b64 s[16:17], s[8:9]
	global_load_b32 v6, v5, s[4:5] scale_offset
	s_mov_b32 s20, s14
.LBB85_139:                             ;   Parent Loop BB85_138 Depth=1
                                        ; =>  This Inner Loop Header: Depth=2
	global_load_b32 v7, v3, s[16:17]
	s_wait_xcnt 0x0
	s_add_nc_u64 s[16:17], s[16:17], 4
	s_wait_loadcnt 0x0
	v_cmp_lt_f32_e64 s0, v7, v6
	s_delay_alu instid0(VALU_DEP_1) | instskip(SKIP_2) | instid1(SALU_CYCLE_1)
	v_cndmask_b32_e64 v5, v5, s20, s0
	v_cndmask_b32_e64 v6, v6, v7, s0
	s_add_co_i32 s20, s20, 1
	s_cmp_lg_u32 s15, s20
	s_cbranch_scc1 .LBB85_139
; %bb.140:                              ;   in Loop: Header=BB85_138 Depth=1
	v_cmp_ne_u32_e64 s0, s6, v5
	s_barrier_signal -1
	s_barrier_wait -1
	s_and_b32 s0, s2, s0
	s_delay_alu instid0(SALU_CYCLE_1)
	s_and_saveexec_b32 s16, s0
	s_cbranch_execz .LBB85_137
; %bb.141:                              ;   in Loop: Header=BB85_138 Depth=1
	s_and_saveexec_b32 s0, vcc_lo
	s_cbranch_execz .LBB85_143
; %bb.142:                              ;   in Loop: Header=BB85_138 Depth=1
	global_load_b32 v7, v3, s[12:13]
	s_wait_loadcnt 0x0
	s_clause 0x1
	global_store_b32 v5, v7, s[4:5] scale_offset
	global_store_b32 v3, v6, s[12:13]
.LBB85_143:                             ;   in Loop: Header=BB85_138 Depth=1
	s_wait_xcnt 0x0
	s_or_b32 exec_lo, exec_lo, s0
	s_delay_alu instid0(SALU_CYCLE_1)
	s_and_b32 exec_lo, exec_lo, s1
	s_cbranch_execz .LBB85_137
; %bb.144:                              ;   in Loop: Header=BB85_138 Depth=1
	v_mad_u32 v8, v5, s19, v2
	v_ashrrev_i32_e32 v5, 31, v4
	v_mov_b64_e32 v[10:11], s[10:11]
	s_mov_b32 s12, 0
	s_delay_alu instid0(VALU_DEP_2) | instskip(NEXT) | instid1(VALU_DEP_4)
	v_lshlrev_b64_e32 v[6:7], 3, v[4:5]
	v_dual_mov_b32 v5, v2 :: v_dual_ashrrev_i32 v9, 31, v8
	s_delay_alu instid0(VALU_DEP_1)
	v_lshlrev_b64_e32 v[8:9], 3, v[8:9]
.LBB85_145:                             ;   Parent Loop BB85_138 Depth=1
                                        ; =>  This Inner Loop Header: Depth=2
	s_delay_alu instid0(VALU_DEP_3) | instskip(NEXT) | instid1(VALU_DEP_2)
	v_add_nc_u64_e32 v[12:13], v[10:11], v[6:7]
	v_add_nc_u64_e32 v[14:15], v[10:11], v[8:9]
	s_delay_alu instid0(VALU_DEP_4)
	v_add_nc_u32_e32 v5, s18, v5
	v_add_nc_u64_e32 v[10:11], v[10:11], v[0:1]
	s_clause 0x1
	global_load_b64 v[16:17], v[12:13], off
	global_load_b64 v[18:19], v[14:15], off
	v_cmp_le_i32_e64 s0, s15, v5
	s_wait_loadcnt 0x1
	global_store_b64 v[14:15], v[16:17], off
	s_wait_loadcnt 0x0
	global_store_b64 v[12:13], v[18:19], off
	s_or_b32 s12, s0, s12
	s_wait_xcnt 0x0
	s_and_not1_b32 exec_lo, exec_lo, s12
	s_cbranch_execnz .LBB85_145
	s_branch .LBB85_137
.LBB85_146:
	s_endpgm
	.section	.rodata,"a",@progbits
	.p2align	6, 0x0
	.amdhsa_kernel _ZN9rocsolver6v33100L18syevj_small_kernelI19rocblas_complex_numIfEfPS3_EEv14rocblas_esort_14rocblas_evect_13rocblas_fill_iT1_iilT0_S9_PS9_iPiSA_lSB_PT_
		.amdhsa_group_segment_fixed_size 0
		.amdhsa_private_segment_fixed_size 0
		.amdhsa_kernarg_size 104
		.amdhsa_user_sgpr_count 2
		.amdhsa_user_sgpr_dispatch_ptr 0
		.amdhsa_user_sgpr_queue_ptr 0
		.amdhsa_user_sgpr_kernarg_segment_ptr 1
		.amdhsa_user_sgpr_dispatch_id 0
		.amdhsa_user_sgpr_kernarg_preload_length 0
		.amdhsa_user_sgpr_kernarg_preload_offset 0
		.amdhsa_user_sgpr_private_segment_size 0
		.amdhsa_wavefront_size32 1
		.amdhsa_uses_dynamic_stack 0
		.amdhsa_enable_private_segment 0
		.amdhsa_system_sgpr_workgroup_id_x 1
		.amdhsa_system_sgpr_workgroup_id_y 0
		.amdhsa_system_sgpr_workgroup_id_z 1
		.amdhsa_system_sgpr_workgroup_info 0
		.amdhsa_system_vgpr_workitem_id 0
		.amdhsa_next_free_vgpr 54
		.amdhsa_next_free_sgpr 61
		.amdhsa_named_barrier_count 0
		.amdhsa_reserve_vcc 1
		.amdhsa_float_round_mode_32 0
		.amdhsa_float_round_mode_16_64 0
		.amdhsa_float_denorm_mode_32 3
		.amdhsa_float_denorm_mode_16_64 3
		.amdhsa_fp16_overflow 0
		.amdhsa_memory_ordered 1
		.amdhsa_forward_progress 1
		.amdhsa_inst_pref_size 64
		.amdhsa_round_robin_scheduling 0
		.amdhsa_exception_fp_ieee_invalid_op 0
		.amdhsa_exception_fp_denorm_src 0
		.amdhsa_exception_fp_ieee_div_zero 0
		.amdhsa_exception_fp_ieee_overflow 0
		.amdhsa_exception_fp_ieee_underflow 0
		.amdhsa_exception_fp_ieee_inexact 0
		.amdhsa_exception_int_div_zero 0
	.end_amdhsa_kernel
	.section	.text._ZN9rocsolver6v33100L18syevj_small_kernelI19rocblas_complex_numIfEfPS3_EEv14rocblas_esort_14rocblas_evect_13rocblas_fill_iT1_iilT0_S9_PS9_iPiSA_lSB_PT_,"axG",@progbits,_ZN9rocsolver6v33100L18syevj_small_kernelI19rocblas_complex_numIfEfPS3_EEv14rocblas_esort_14rocblas_evect_13rocblas_fill_iT1_iilT0_S9_PS9_iPiSA_lSB_PT_,comdat
.Lfunc_end85:
	.size	_ZN9rocsolver6v33100L18syevj_small_kernelI19rocblas_complex_numIfEfPS3_EEv14rocblas_esort_14rocblas_evect_13rocblas_fill_iT1_iilT0_S9_PS9_iPiSA_lSB_PT_, .Lfunc_end85-_ZN9rocsolver6v33100L18syevj_small_kernelI19rocblas_complex_numIfEfPS3_EEv14rocblas_esort_14rocblas_evect_13rocblas_fill_iT1_iilT0_S9_PS9_iPiSA_lSB_PT_
                                        ; -- End function
	.set _ZN9rocsolver6v33100L18syevj_small_kernelI19rocblas_complex_numIfEfPS3_EEv14rocblas_esort_14rocblas_evect_13rocblas_fill_iT1_iilT0_S9_PS9_iPiSA_lSB_PT_.num_vgpr, 54
	.set _ZN9rocsolver6v33100L18syevj_small_kernelI19rocblas_complex_numIfEfPS3_EEv14rocblas_esort_14rocblas_evect_13rocblas_fill_iT1_iilT0_S9_PS9_iPiSA_lSB_PT_.num_agpr, 0
	.set _ZN9rocsolver6v33100L18syevj_small_kernelI19rocblas_complex_numIfEfPS3_EEv14rocblas_esort_14rocblas_evect_13rocblas_fill_iT1_iilT0_S9_PS9_iPiSA_lSB_PT_.numbered_sgpr, 61
	.set _ZN9rocsolver6v33100L18syevj_small_kernelI19rocblas_complex_numIfEfPS3_EEv14rocblas_esort_14rocblas_evect_13rocblas_fill_iT1_iilT0_S9_PS9_iPiSA_lSB_PT_.num_named_barrier, 0
	.set _ZN9rocsolver6v33100L18syevj_small_kernelI19rocblas_complex_numIfEfPS3_EEv14rocblas_esort_14rocblas_evect_13rocblas_fill_iT1_iilT0_S9_PS9_iPiSA_lSB_PT_.private_seg_size, 0
	.set _ZN9rocsolver6v33100L18syevj_small_kernelI19rocblas_complex_numIfEfPS3_EEv14rocblas_esort_14rocblas_evect_13rocblas_fill_iT1_iilT0_S9_PS9_iPiSA_lSB_PT_.uses_vcc, 1
	.set _ZN9rocsolver6v33100L18syevj_small_kernelI19rocblas_complex_numIfEfPS3_EEv14rocblas_esort_14rocblas_evect_13rocblas_fill_iT1_iilT0_S9_PS9_iPiSA_lSB_PT_.uses_flat_scratch, 0
	.set _ZN9rocsolver6v33100L18syevj_small_kernelI19rocblas_complex_numIfEfPS3_EEv14rocblas_esort_14rocblas_evect_13rocblas_fill_iT1_iilT0_S9_PS9_iPiSA_lSB_PT_.has_dyn_sized_stack, 0
	.set _ZN9rocsolver6v33100L18syevj_small_kernelI19rocblas_complex_numIfEfPS3_EEv14rocblas_esort_14rocblas_evect_13rocblas_fill_iT1_iilT0_S9_PS9_iPiSA_lSB_PT_.has_recursion, 0
	.set _ZN9rocsolver6v33100L18syevj_small_kernelI19rocblas_complex_numIfEfPS3_EEv14rocblas_esort_14rocblas_evect_13rocblas_fill_iT1_iilT0_S9_PS9_iPiSA_lSB_PT_.has_indirect_call, 0
	.section	.AMDGPU.csdata,"",@progbits
; Kernel info:
; codeLenInByte = 8096
; TotalNumSgprs: 63
; NumVgprs: 54
; ScratchSize: 0
; MemoryBound: 0
; FloatMode: 240
; IeeeMode: 1
; LDSByteSize: 0 bytes/workgroup (compile time only)
; SGPRBlocks: 0
; VGPRBlocks: 3
; NumSGPRsForWavesPerEU: 63
; NumVGPRsForWavesPerEU: 54
; NamedBarCnt: 0
; Occupancy: 16
; WaveLimiterHint : 0
; COMPUTE_PGM_RSRC2:SCRATCH_EN: 0
; COMPUTE_PGM_RSRC2:USER_SGPR: 2
; COMPUTE_PGM_RSRC2:TRAP_HANDLER: 0
; COMPUTE_PGM_RSRC2:TGID_X_EN: 1
; COMPUTE_PGM_RSRC2:TGID_Y_EN: 0
; COMPUTE_PGM_RSRC2:TGID_Z_EN: 1
; COMPUTE_PGM_RSRC2:TIDIG_COMP_CNT: 0
	.section	.text._ZN9rocsolver6v33100L10syevj_initI19rocblas_complex_numIfEfPS3_EEv14rocblas_evect_13rocblas_fill_iiT1_iilT0_PS8_PT_S9_PiSC_SC_,"axG",@progbits,_ZN9rocsolver6v33100L10syevj_initI19rocblas_complex_numIfEfPS3_EEv14rocblas_evect_13rocblas_fill_iiT1_iilT0_PS8_PT_S9_PiSC_SC_,comdat
	.globl	_ZN9rocsolver6v33100L10syevj_initI19rocblas_complex_numIfEfPS3_EEv14rocblas_evect_13rocblas_fill_iiT1_iilT0_PS8_PT_S9_PiSC_SC_ ; -- Begin function _ZN9rocsolver6v33100L10syevj_initI19rocblas_complex_numIfEfPS3_EEv14rocblas_evect_13rocblas_fill_iiT1_iilT0_PS8_PT_S9_PiSC_SC_
	.p2align	8
	.type	_ZN9rocsolver6v33100L10syevj_initI19rocblas_complex_numIfEfPS3_EEv14rocblas_evect_13rocblas_fill_iiT1_iilT0_PS8_PT_S9_PiSC_SC_,@function
_ZN9rocsolver6v33100L10syevj_initI19rocblas_complex_numIfEfPS3_EEv14rocblas_evect_13rocblas_fill_iiT1_iilT0_PS8_PT_S9_PiSC_SC_: ; @_ZN9rocsolver6v33100L10syevj_initI19rocblas_complex_numIfEfPS3_EEv14rocblas_evect_13rocblas_fill_iiT1_iilT0_PS8_PT_S9_PiSC_SC_
; %bb.0:
	s_clause 0x4
	s_load_b32 s2, s[0:1], 0x6c
	s_load_b256 s[4:11], s[0:1], 0x0
	s_load_b64 s[26:27], s[0:1], 0x20
	s_load_b128 s[20:23], s[0:1], 0x50
	s_load_b256 s[12:19], s[0:1], 0x30
	s_bfe_u32 s3, ttmp6, 0x40010
	s_bfe_u32 s24, ttmp6, 0x40004
	s_add_co_i32 s3, s3, 1
	s_getreg_b32 s25, hwreg(HW_REG_IB_STS2, 6, 4)
	s_mul_i32 s3, ttmp7, s3
	s_delay_alu instid0(SALU_CYCLE_1)
	s_add_co_i32 s24, s24, s3
	s_wait_kmcnt 0x0
	s_and_b32 s33, s2, 0xffff
	s_ashr_i32 s29, s10, 31
	s_cmp_eq_u32 s25, 0
	s_mov_b32 s28, s10
	s_cselect_b32 s24, ttmp7, s24
	s_lshl_b64 s[34:35], s[28:29], 3
	s_ashr_i32 s25, s24, 31
	s_mul_i32 s3, s7, s24
	s_mul_u64 s[26:27], s[26:27], s[24:25]
	s_mul_i32 s28, s3, s7
	s_lshl_b64 s[36:37], s[26:27], 3
	s_ashr_i32 s29, s28, 31
	v_cmp_gt_i32_e64 s2, s7, v0
	s_add_nc_u64 s[26:27], s[8:9], s[36:37]
	s_lshl_b64 s[28:29], s[28:29], 3
	s_cmp_eq_u32 s5, 0x79
	s_add_nc_u64 s[26:27], s[26:27], s[34:35]
	s_add_nc_u64 s[14:15], s[14:15], s[28:29]
	s_cbranch_scc1 .LBB86_12
; %bb.1:
	v_mov_b64_e32 v[2:3], 0
	s_and_saveexec_b32 s3, s2
	s_cbranch_execz .LBB86_14
; %bb.2:
	v_dual_mov_b32 v3, 0 :: v_dual_lshlrev_b32 v2, 3, v0
	v_mul_lo_u32 v1, v0, s11
	v_mul_lo_u32 v4, v0, s7
	s_add_nc_u64 s[34:35], s[36:37], s[34:35]
	s_add_co_i32 s5, s7, 1
	s_add_nc_u64 s[8:9], s[8:9], s[34:35]
	v_add_nc_u64_e32 v[6:7], s[14:15], v[2:3]
	v_add_nc_u64_e32 v[8:9], s[8:9], v[2:3]
	v_mov_b64_e32 v[10:11], 0x3f800000
	v_mov_b64_e32 v[12:13], 0
	s_cmp_lg_u32 s4, 0xd5
	v_dual_mov_b32 v24, v0 :: v_dual_mov_b32 v2, v3
	s_cselect_b32 s10, -1, 0
	s_mov_b32 s31, 0
	s_ashr_i32 s37, s7, 31
	s_mov_b32 s36, s7
	s_ashr_i32 s35, s11, 31
	s_mov_b32 s34, s11
	s_mul_i32 s38, s11, s33
	s_add_nc_u64 s[28:29], s[14:15], 4
	s_mul_i32 s39, s7, s33
	s_lshl_b32 s30, s33, 3
	s_lshl_b64 s[8:9], s[36:37], 3
	s_lshl_b64 s[34:35], s[34:35], 3
	s_mov_b32 s36, s31
	s_branch .LBB86_5
.LBB86_3:                               ;   in Loop: Header=BB86_5 Depth=1
	s_or_b32 exec_lo, exec_lo, s40
.LBB86_4:                               ;   in Loop: Header=BB86_5 Depth=1
	s_delay_alu instid0(SALU_CYCLE_1)
	s_or_b32 exec_lo, exec_lo, s37
	v_pk_mul_f32 v[14:15], v[14:15], v[14:15]
	v_add_nc_u32_e32 v24, s33, v24
	v_add_nc_u64_e32 v[6:7], s[30:31], v[6:7]
	v_add_nc_u64_e32 v[8:9], s[30:31], v[8:9]
	v_dual_add_nc_u32 v1, s38, v1 :: v_dual_add_nc_u32 v4, s39, v4
	v_add_f32_e32 v5, v14, v15
	v_cmp_le_i32_e32 vcc_lo, s7, v24
	s_delay_alu instid0(VALU_DEP_2) | instskip(SKIP_1) | instid1(SALU_CYCLE_1)
	v_add_f32_e32 v2, v2, v5
	s_or_b32 s36, vcc_lo, s36
	s_and_not1_b32 exec_lo, exec_lo, s36
	s_cbranch_execz .LBB86_13
.LBB86_5:                               ; =>This Loop Header: Depth=1
                                        ;     Child Loop BB86_10 Depth 2
	v_mad_u32 v16, v24, s11, v24
	v_mul_lo_u32 v5, v24, s5
	s_and_not1_b32 vcc_lo, exec_lo, s10
	global_load_b64 v[14:15], v16, s[26:27] scale_offset
	s_wait_loadcnt 0x0
	global_store_b64 v5, v[14:15], s[14:15] scale_offset
	s_cbranch_vccnz .LBB86_7
; %bb.6:                                ;   in Loop: Header=BB86_5 Depth=1
	v_ashrrev_i32_e32 v17, 31, v16
	s_wait_xcnt 0x1
	s_delay_alu instid0(VALU_DEP_1)
	v_lshl_add_u64 v[16:17], v[16:17], 3, s[26:27]
	global_store_b64 v[16:17], v[10:11], off
.LBB86_7:                               ;   in Loop: Header=BB86_5 Depth=1
	s_mov_b32 s37, exec_lo
	s_wait_xcnt 0x0
	v_cmpx_ne_u32_e32 0, v24
	s_cbranch_execz .LBB86_4
; %bb.8:                                ;   in Loop: Header=BB86_5 Depth=1
	v_ashrrev_i32_e32 v5, 31, v4
	v_mov_b64_e32 v[16:17], v[8:9]
	v_mov_b64_e32 v[20:21], v[6:7]
	s_mov_b32 s40, 0
	s_mov_b32 s41, 0
	v_lshl_add_u64 v[18:19], v[4:5], 3, s[28:29]
	s_branch .LBB86_10
.LBB86_9:                               ;   in Loop: Header=BB86_10 Depth=2
	s_wait_xcnt 0x1
	v_pk_mul_f32 v[22:23], v[22:23], v[22:23]
	s_add_co_i32 s41, s41, 1
	s_wait_xcnt 0x0
	v_add_nc_u64_e32 v[18:19], 8, v[18:19]
	v_add_nc_u64_e32 v[20:21], s[8:9], v[20:21]
	v_cmp_eq_u32_e32 vcc_lo, s41, v24
	v_add_f32_e32 v5, v22, v23
	v_add_nc_u64_e32 v[16:17], s[34:35], v[16:17]
	s_or_b32 s40, vcc_lo, s40
	s_delay_alu instid0(VALU_DEP_2)
	v_fmac_f32_e32 v3, 2.0, v5
	s_and_not1_b32 exec_lo, exec_lo, s40
	s_cbranch_execz .LBB86_3
.LBB86_10:                              ;   Parent Loop BB86_5 Depth=1
                                        ; =>  This Inner Loop Header: Depth=2
	global_load_b64 v[22:23], v[16:17], off
	s_and_not1_b32 vcc_lo, exec_lo, s10
	s_wait_loadcnt 0x0
	v_xor_b32_e32 v27, 0x80000000, v23
	v_mov_b32_e32 v26, v22
	global_store_b64 v[20:21], v[22:23], off
	global_store_b64 v[18:19], v[26:27], off offset:-4
	s_cbranch_vccnz .LBB86_9
; %bb.11:                               ;   in Loop: Header=BB86_10 Depth=2
	v_add_nc_u32_e32 v5, s41, v1
	global_store_b64 v[16:17], v[12:13], off
	global_store_b64 v5, v[12:13], s[26:27] scale_offset
	s_branch .LBB86_9
.LBB86_12:
                                        ; implicit-def: $vgpr2_vgpr3
	s_branch .LBB86_15
.LBB86_13:
	s_or_b32 exec_lo, exec_lo, s36
.LBB86_14:
	s_delay_alu instid0(SALU_CYCLE_1)
	s_or_b32 exec_lo, exec_lo, s3
	s_cbranch_execnz .LBB86_28
.LBB86_15:
	v_mov_b64_e32 v[2:3], 0
	s_and_saveexec_b32 s5, s2
	s_cbranch_execz .LBB86_27
; %bb.16:
	s_add_co_i32 s8, s7, 1
	s_cmp_lg_u32 s4, 0xd5
	v_mul_lo_u32 v19, v0, s11
	s_cselect_b32 s4, -1, 0
	s_add_co_i32 s9, s7, -1
	v_mov_b64_e32 v[6:7], 0x3f800000
	v_mad_u32 v1, s11, s9, v0
	v_mad_u32 v18, s7, s9, v0
	;; [unrolled: 1-line block ×3, first 2 shown]
	v_mov_b64_e32 v[8:9], 0
	v_dual_mov_b32 v3, 0 :: v_dual_mov_b32 v20, v0
	v_mov_b32_e32 v2, 0
	s_add_nc_u64 s[2:3], s[14:15], 4
	s_mul_i32 s10, s7, s33
	s_mul_i32 s29, s11, s33
	s_mov_b32 s28, 0
	s_branch .LBB86_19
.LBB86_17:                              ;   in Loop: Header=BB86_19 Depth=1
	s_or_b32 exec_lo, exec_lo, s31
.LBB86_18:                              ;   in Loop: Header=BB86_19 Depth=1
	s_delay_alu instid0(SALU_CYCLE_1) | instskip(SKIP_3) | instid1(VALU_DEP_3)
	s_or_b32 exec_lo, exec_lo, s30
	v_pk_mul_f32 v[10:11], v[10:11], v[10:11]
	v_dual_add_nc_u32 v20, s33, v20 :: v_dual_add_nc_u32 v1, s33, v1
	v_dual_add_nc_u32 v18, s33, v18 :: v_dual_add_nc_u32 v19, s29, v19
	v_add_f32_e32 v5, v10, v11
	s_delay_alu instid0(VALU_DEP_3) | instskip(NEXT) | instid1(VALU_DEP_2)
	v_cmp_le_i32_e32 vcc_lo, s7, v20
	v_dual_add_nc_u32 v4, s10, v4 :: v_dual_add_f32 v2, v2, v5
	s_or_b32 s28, vcc_lo, s28
	s_delay_alu instid0(SALU_CYCLE_1)
	s_and_not1_b32 exec_lo, exec_lo, s28
	s_cbranch_execz .LBB86_26
.LBB86_19:                              ; =>This Loop Header: Depth=1
                                        ;     Child Loop BB86_24 Depth 2
	v_mad_u32 v12, v20, s11, v20
	v_mul_lo_u32 v5, v20, s8
	s_and_not1_b32 vcc_lo, exec_lo, s4
	global_load_b64 v[10:11], v12, s[26:27] scale_offset
	s_wait_loadcnt 0x0
	global_store_b64 v5, v[10:11], s[14:15] scale_offset
	s_cbranch_vccnz .LBB86_21
; %bb.20:                               ;   in Loop: Header=BB86_19 Depth=1
	v_ashrrev_i32_e32 v13, 31, v12
	s_wait_xcnt 0x1
	s_delay_alu instid0(VALU_DEP_1)
	v_lshl_add_u64 v[12:13], v[12:13], 3, s[26:27]
	global_store_b64 v[12:13], v[6:7], off
.LBB86_21:                              ;   in Loop: Header=BB86_19 Depth=1
	s_mov_b32 s30, exec_lo
	s_wait_xcnt 0x0
	v_cmpx_gt_i32_e64 s9, v20
	s_cbranch_execz .LBB86_18
; %bb.22:                               ;   in Loop: Header=BB86_19 Depth=1
	v_dual_ashrrev_i32 v5, 31, v4 :: v_dual_mov_b32 v21, v18
	v_mov_b32_e32 v14, v1
	s_mov_b32 s31, 0
	s_mov_b32 s34, s9
	s_delay_alu instid0(VALU_DEP_2)
	v_lshl_add_u64 v[12:13], v[4:5], 3, s[2:3]
	s_branch .LBB86_24
.LBB86_23:                              ;   in Loop: Header=BB86_24 Depth=2
	s_wait_xcnt 0x1
	v_pk_mul_f32 v[16:17], v[16:17], v[16:17]
	s_add_co_i32 s34, s34, -1
	s_wait_xcnt 0x0
	v_add_nc_u64_e32 v[12:13], -8, v[12:13]
	v_cmp_le_i32_e32 vcc_lo, s34, v20
	v_subrev_nc_u32_e32 v14, s11, v14
	v_add_f32_e32 v5, v16, v17
	v_subrev_nc_u32_e32 v21, s7, v21
	s_or_b32 s31, vcc_lo, s31
	s_delay_alu instid0(VALU_DEP_2)
	v_fmac_f32_e32 v3, 2.0, v5
	s_and_not1_b32 exec_lo, exec_lo, s31
	s_cbranch_execz .LBB86_17
.LBB86_24:                              ;   Parent Loop BB86_19 Depth=1
                                        ; =>  This Inner Loop Header: Depth=2
	global_load_b64 v[16:17], v14, s[26:27] scale_offset
	s_and_not1_b32 vcc_lo, exec_lo, s4
	s_wait_loadcnt 0x0
	v_xor_b32_e32 v23, 0x80000000, v17
	v_mov_b32_e32 v22, v16
	global_store_b64 v21, v[16:17], s[14:15] scale_offset
	global_store_b64 v[12:13], v[22:23], off offset:-4
	s_cbranch_vccnz .LBB86_23
; %bb.25:                               ;   in Loop: Header=BB86_24 Depth=2
	v_dual_ashrrev_i32 v15, 31, v14 :: v_dual_add_nc_u32 v5, s34, v19
	s_wait_xcnt 0x0
	s_delay_alu instid0(VALU_DEP_1)
	v_lshl_add_u64 v[22:23], v[14:15], 3, s[26:27]
	s_clause 0x1
	global_store_b64 v[22:23], v[8:9], off
	global_store_b64 v5, v[8:9], s[26:27] scale_offset
	s_branch .LBB86_23
.LBB86_26:
	s_or_b32 exec_lo, exec_lo, s28
.LBB86_27:
	s_delay_alu instid0(SALU_CYCLE_1)
	s_or_b32 exec_lo, exec_lo, s5
.LBB86_28:
	v_lshlrev_b32_e32 v4, 2, v0
	s_lshl_b32 s2, s33, 2
	s_mov_b32 s3, exec_lo
	s_delay_alu instid0(VALU_DEP_1)
	v_add_nc_u32_e32 v1, 0, v4
	v_add3_u32 v5, 0, s2, v4
	ds_store_b32 v1, v3
	ds_store_b32 v5, v2
	s_wait_storecnt_dscnt 0x0
	s_barrier_signal -1
	s_barrier_wait -1
	v_cmpx_eq_u32_e32 0, v0
	s_cbranch_execz .LBB86_40
; %bb.29:
	s_min_i32 s4, s7, s33
	s_delay_alu instid0(SALU_CYCLE_1)
	s_cmp_lt_i32 s4, 2
	s_cbranch_scc1 .LBB86_37
; %bb.30:
	s_add_co_i32 s5, s4, -2
	s_add_co_i32 s4, s4, -1
	s_cmp_lt_u32 s5, 7
	s_cbranch_scc1 .LBB86_34
; %bb.31:
	s_and_b32 s5, s4, -8
	s_mov_b32 s8, 0
	s_add_co_i32 s7, 0, 4
.LBB86_32:                              ; =>This Inner Loop Header: Depth=1
	s_delay_alu instid0(SALU_CYCLE_1) | instskip(NEXT) | instid1(SALU_CYCLE_1)
	s_add_co_i32 s9, s7, s2
	v_dual_mov_b32 v1, s7 :: v_dual_mov_b32 v5, s9
	s_mov_b32 s9, s8
	s_add_co_i32 s8, s8, 8
	s_add_co_i32 s7, s7, 32
	ds_load_2addr_b32 v[6:7], v1 offset1:1
	ds_load_2addr_b32 v[8:9], v5 offset1:1
	ds_load_2addr_b32 v[10:11], v1 offset0:2 offset1:3
	ds_load_2addr_b32 v[12:13], v5 offset0:2 offset1:3
	;; [unrolled: 1-line block ×6, first 2 shown]
	s_cmp_lg_u32 s5, s8
	s_wait_dscnt 0x6
	v_dual_mov_b32 v23, v6 :: v_dual_mov_b32 v22, v8
	s_wait_dscnt 0x5
	v_dual_mov_b32 v6, v9 :: v_dual_mov_b32 v9, v10
	;; [unrolled: 2-line block ×3, first 2 shown]
	v_pk_add_f32 v[2:3], v[2:3], v[22:23]
	s_delay_alu instid0(VALU_DEP_1) | instskip(SKIP_3) | instid1(VALU_DEP_3)
	v_pk_add_f32 v[2:3], v[2:3], v[6:7]
	s_wait_dscnt 0x1
	v_dual_mov_b32 v7, v14 :: v_dual_mov_b32 v6, v18
	v_mov_b32_e32 v14, v19
	v_pk_add_f32 v[2:3], v[2:3], v[8:9]
	s_delay_alu instid0(VALU_DEP_1) | instskip(NEXT) | instid1(VALU_DEP_1)
	v_pk_add_f32 v[2:3], v[2:3], v[10:11]
	v_pk_add_f32 v[2:3], v[2:3], v[6:7]
	s_wait_dscnt 0x0
	v_dual_mov_b32 v7, v16 :: v_dual_mov_b32 v6, v20
	v_mov_b32_e32 v16, v21
	s_delay_alu instid0(VALU_DEP_3) | instskip(NEXT) | instid1(VALU_DEP_1)
	v_pk_add_f32 v[2:3], v[2:3], v[14:15]
	v_pk_add_f32 v[2:3], v[2:3], v[6:7]
	s_delay_alu instid0(VALU_DEP_1)
	v_pk_add_f32 v[2:3], v[2:3], v[16:17]
	s_cbranch_scc1 .LBB86_32
; %bb.33:
	s_add_co_i32 s5, s9, 9
	s_and_b32 s4, s4, 7
	s_delay_alu instid0(SALU_CYCLE_1)
	s_cmp_eq_u32 s4, 0
	s_cbranch_scc0 .LBB86_35
	s_branch .LBB86_37
.LBB86_34:
	s_mov_b32 s5, 1
	s_and_b32 s4, s4, 7
	s_delay_alu instid0(SALU_CYCLE_1)
	s_cmp_eq_u32 s4, 0
	s_cbranch_scc1 .LBB86_37
.LBB86_35:
	s_lshl_b32 s5, s5, 2
	s_delay_alu instid0(SALU_CYCLE_1)
	s_add_co_i32 s5, s5, 0
.LBB86_36:                              ; =>This Inner Loop Header: Depth=1
	s_delay_alu instid0(SALU_CYCLE_1) | instskip(NEXT) | instid1(SALU_CYCLE_1)
	s_add_co_i32 s7, s5, s2
	v_dual_mov_b32 v1, s5 :: v_dual_mov_b32 v5, s7
	s_add_co_i32 s4, s4, -1
	s_add_co_i32 s5, s5, 4
	s_cmp_lg_u32 s4, 0
	ds_load_b32 v7, v1
	ds_load_b32 v6, v5
	s_wait_dscnt 0x0
	v_pk_add_f32 v[2:3], v[2:3], v[6:7]
	s_cbranch_scc1 .LBB86_36
.LBB86_37:
	s_load_b32 s0, s[0:1], 0x28
	s_delay_alu instid0(VALU_DEP_1) | instskip(SKIP_1) | instid1(VALU_DEP_1)
	v_add_f32_e32 v1, v2, v3
	s_wait_kmcnt 0x0
	v_dual_mul_f32 v2, s0, v1 :: v_dual_mov_b32 v1, 0
	s_delay_alu instid0(VALU_DEP_1) | instskip(SKIP_1) | instid1(SALU_CYCLE_1)
	v_mul_f32_e32 v2, s0, v2
	s_lshl_b64 s[0:1], s[24:25], 2
	s_add_nc_u64 s[4:5], s[16:17], s[0:1]
	s_add_nc_u64 s[8:9], s[12:13], s[0:1]
	s_clause 0x2
	global_store_b32 v1, v2, s[4:5]
	global_store_b32 v1, v3, s[8:9]
	global_load_b32 v2, v1, s[4:5]
	s_wait_loadcnt 0x0
	v_cmp_lt_f32_e32 vcc_lo, v3, v2
	s_wait_xcnt 0x0
	s_and_b32 exec_lo, exec_lo, vcc_lo
	s_cbranch_execz .LBB86_40
; %bb.38:
	s_mov_b32 s4, exec_lo
	v_mov_b32_e32 v3, 1
	v_mbcnt_lo_u32_b32 v2, s4, 0
	s_add_nc_u64 s[0:1], s[22:23], s[0:1]
	global_store_b32 v1, v3, s[0:1] offset:4
	v_cmp_eq_u32_e32 vcc_lo, 0, v2
	s_wait_xcnt 0x0
	s_and_b32 s0, exec_lo, vcc_lo
	s_delay_alu instid0(SALU_CYCLE_1)
	s_mov_b32 exec_lo, s0
	s_cbranch_execz .LBB86_40
; %bb.39:
	s_bcnt1_i32_b32 s0, s4
	s_delay_alu instid0(SALU_CYCLE_1)
	v_dual_mov_b32 v1, 0 :: v_dual_mov_b32 v2, s0
	global_atomic_add_u32 v1, v2, s[22:23] scope:SCOPE_DEV
.LBB86_40:
	s_wait_xcnt 0x0
	s_or_b32 exec_lo, exec_lo, s3
	s_cmp_eq_u32 s24, 0
	v_cmp_gt_i32_e32 vcc_lo, s6, v0
	s_cselect_b32 s0, -1, 0
	s_cmp_lg_u64 s[18:19], 0
	s_cselect_b32 s1, -1, 0
	s_cmp_lg_u64 s[20:21], 0
	s_cselect_b32 s3, -1, 0
	s_delay_alu instid0(SALU_CYCLE_1) | instskip(SKIP_2) | instid1(SALU_CYCLE_1)
	s_and_b32 s1, s1, s3
	s_mov_b32 s3, 0
	s_and_b32 s0, s1, s0
	s_and_b32 s0, s0, vcc_lo
	s_delay_alu instid0(SALU_CYCLE_1)
	s_and_saveexec_b32 s1, s0
	s_cbranch_execz .LBB86_43
; %bb.41:
	v_dual_lshlrev_b32 v1, 1, v0 :: v_dual_mov_b32 v5, 0
	s_lshl_b32 s0, s33, 1
	s_mov_b32 s1, s3
.LBB86_42:                              ; =>This Inner Loop Header: Depth=1
	s_delay_alu instid0(VALU_DEP_1) | instskip(NEXT) | instid1(VALU_DEP_2)
	v_dual_add_nc_u32 v0, s33, v0 :: v_dual_add_nc_u32 v8, 1, v1
	v_add_nc_u64_e32 v[2:3], s[18:19], v[4:5]
	v_add_nc_u64_e32 v[6:7], s[20:21], v[4:5]
	;; [unrolled: 1-line block ×3, first 2 shown]
	s_delay_alu instid0(VALU_DEP_4)
	v_cmp_le_i32_e32 vcc_lo, s6, v0
	global_store_b32 v[2:3], v1, off
	s_wait_xcnt 0x0
	v_add_nc_u32_e32 v1, s0, v1
	s_or_b32 s1, vcc_lo, s1
	global_store_b32 v[6:7], v8, off
	s_wait_xcnt 0x0
	s_and_not1_b32 exec_lo, exec_lo, s1
	s_cbranch_execnz .LBB86_42
.LBB86_43:
	s_endpgm
	.section	.rodata,"a",@progbits
	.p2align	6, 0x0
	.amdhsa_kernel _ZN9rocsolver6v33100L10syevj_initI19rocblas_complex_numIfEfPS3_EEv14rocblas_evect_13rocblas_fill_iiT1_iilT0_PS8_PT_S9_PiSC_SC_
		.amdhsa_group_segment_fixed_size 0
		.amdhsa_private_segment_fixed_size 0
		.amdhsa_kernarg_size 352
		.amdhsa_user_sgpr_count 2
		.amdhsa_user_sgpr_dispatch_ptr 0
		.amdhsa_user_sgpr_queue_ptr 0
		.amdhsa_user_sgpr_kernarg_segment_ptr 1
		.amdhsa_user_sgpr_dispatch_id 0
		.amdhsa_user_sgpr_kernarg_preload_length 0
		.amdhsa_user_sgpr_kernarg_preload_offset 0
		.amdhsa_user_sgpr_private_segment_size 0
		.amdhsa_wavefront_size32 1
		.amdhsa_uses_dynamic_stack 0
		.amdhsa_enable_private_segment 0
		.amdhsa_system_sgpr_workgroup_id_x 1
		.amdhsa_system_sgpr_workgroup_id_y 1
		.amdhsa_system_sgpr_workgroup_id_z 0
		.amdhsa_system_sgpr_workgroup_info 0
		.amdhsa_system_vgpr_workitem_id 0
		.amdhsa_next_free_vgpr 28
		.amdhsa_next_free_sgpr 42
		.amdhsa_named_barrier_count 0
		.amdhsa_reserve_vcc 1
		.amdhsa_float_round_mode_32 0
		.amdhsa_float_round_mode_16_64 0
		.amdhsa_float_denorm_mode_32 3
		.amdhsa_float_denorm_mode_16_64 3
		.amdhsa_fp16_overflow 0
		.amdhsa_memory_ordered 1
		.amdhsa_forward_progress 1
		.amdhsa_inst_pref_size 17
		.amdhsa_round_robin_scheduling 0
		.amdhsa_exception_fp_ieee_invalid_op 0
		.amdhsa_exception_fp_denorm_src 0
		.amdhsa_exception_fp_ieee_div_zero 0
		.amdhsa_exception_fp_ieee_overflow 0
		.amdhsa_exception_fp_ieee_underflow 0
		.amdhsa_exception_fp_ieee_inexact 0
		.amdhsa_exception_int_div_zero 0
	.end_amdhsa_kernel
	.section	.text._ZN9rocsolver6v33100L10syevj_initI19rocblas_complex_numIfEfPS3_EEv14rocblas_evect_13rocblas_fill_iiT1_iilT0_PS8_PT_S9_PiSC_SC_,"axG",@progbits,_ZN9rocsolver6v33100L10syevj_initI19rocblas_complex_numIfEfPS3_EEv14rocblas_evect_13rocblas_fill_iiT1_iilT0_PS8_PT_S9_PiSC_SC_,comdat
.Lfunc_end86:
	.size	_ZN9rocsolver6v33100L10syevj_initI19rocblas_complex_numIfEfPS3_EEv14rocblas_evect_13rocblas_fill_iiT1_iilT0_PS8_PT_S9_PiSC_SC_, .Lfunc_end86-_ZN9rocsolver6v33100L10syevj_initI19rocblas_complex_numIfEfPS3_EEv14rocblas_evect_13rocblas_fill_iiT1_iilT0_PS8_PT_S9_PiSC_SC_
                                        ; -- End function
	.set _ZN9rocsolver6v33100L10syevj_initI19rocblas_complex_numIfEfPS3_EEv14rocblas_evect_13rocblas_fill_iiT1_iilT0_PS8_PT_S9_PiSC_SC_.num_vgpr, 28
	.set _ZN9rocsolver6v33100L10syevj_initI19rocblas_complex_numIfEfPS3_EEv14rocblas_evect_13rocblas_fill_iiT1_iilT0_PS8_PT_S9_PiSC_SC_.num_agpr, 0
	.set _ZN9rocsolver6v33100L10syevj_initI19rocblas_complex_numIfEfPS3_EEv14rocblas_evect_13rocblas_fill_iiT1_iilT0_PS8_PT_S9_PiSC_SC_.numbered_sgpr, 42
	.set _ZN9rocsolver6v33100L10syevj_initI19rocblas_complex_numIfEfPS3_EEv14rocblas_evect_13rocblas_fill_iiT1_iilT0_PS8_PT_S9_PiSC_SC_.num_named_barrier, 0
	.set _ZN9rocsolver6v33100L10syevj_initI19rocblas_complex_numIfEfPS3_EEv14rocblas_evect_13rocblas_fill_iiT1_iilT0_PS8_PT_S9_PiSC_SC_.private_seg_size, 0
	.set _ZN9rocsolver6v33100L10syevj_initI19rocblas_complex_numIfEfPS3_EEv14rocblas_evect_13rocblas_fill_iiT1_iilT0_PS8_PT_S9_PiSC_SC_.uses_vcc, 1
	.set _ZN9rocsolver6v33100L10syevj_initI19rocblas_complex_numIfEfPS3_EEv14rocblas_evect_13rocblas_fill_iiT1_iilT0_PS8_PT_S9_PiSC_SC_.uses_flat_scratch, 0
	.set _ZN9rocsolver6v33100L10syevj_initI19rocblas_complex_numIfEfPS3_EEv14rocblas_evect_13rocblas_fill_iiT1_iilT0_PS8_PT_S9_PiSC_SC_.has_dyn_sized_stack, 0
	.set _ZN9rocsolver6v33100L10syevj_initI19rocblas_complex_numIfEfPS3_EEv14rocblas_evect_13rocblas_fill_iiT1_iilT0_PS8_PT_S9_PiSC_SC_.has_recursion, 0
	.set _ZN9rocsolver6v33100L10syevj_initI19rocblas_complex_numIfEfPS3_EEv14rocblas_evect_13rocblas_fill_iiT1_iilT0_PS8_PT_S9_PiSC_SC_.has_indirect_call, 0
	.section	.AMDGPU.csdata,"",@progbits
; Kernel info:
; codeLenInByte = 2072
; TotalNumSgprs: 44
; NumVgprs: 28
; ScratchSize: 0
; MemoryBound: 0
; FloatMode: 240
; IeeeMode: 1
; LDSByteSize: 0 bytes/workgroup (compile time only)
; SGPRBlocks: 0
; VGPRBlocks: 1
; NumSGPRsForWavesPerEU: 44
; NumVGPRsForWavesPerEU: 28
; NamedBarCnt: 0
; Occupancy: 16
; WaveLimiterHint : 0
; COMPUTE_PGM_RSRC2:SCRATCH_EN: 0
; COMPUTE_PGM_RSRC2:USER_SGPR: 2
; COMPUTE_PGM_RSRC2:TRAP_HANDLER: 0
; COMPUTE_PGM_RSRC2:TGID_X_EN: 1
; COMPUTE_PGM_RSRC2:TGID_Y_EN: 1
; COMPUTE_PGM_RSRC2:TGID_Z_EN: 0
; COMPUTE_PGM_RSRC2:TIDIG_COMP_CNT: 0
	.section	.text._ZN9rocsolver6v33100L17syevj_diag_kernelI19rocblas_complex_numIfEfPS3_EEviT1_iilT0_PT_Pi,"axG",@progbits,_ZN9rocsolver6v33100L17syevj_diag_kernelI19rocblas_complex_numIfEfPS3_EEviT1_iilT0_PT_Pi,comdat
	.globl	_ZN9rocsolver6v33100L17syevj_diag_kernelI19rocblas_complex_numIfEfPS3_EEviT1_iilT0_PT_Pi ; -- Begin function _ZN9rocsolver6v33100L17syevj_diag_kernelI19rocblas_complex_numIfEfPS3_EEviT1_iilT0_PT_Pi
	.p2align	8
	.type	_ZN9rocsolver6v33100L17syevj_diag_kernelI19rocblas_complex_numIfEfPS3_EEviT1_iilT0_PT_Pi,@function
_ZN9rocsolver6v33100L17syevj_diag_kernelI19rocblas_complex_numIfEfPS3_EEviT1_iilT0_PT_Pi: ; @_ZN9rocsolver6v33100L17syevj_diag_kernelI19rocblas_complex_numIfEfPS3_EEviT1_iilT0_PT_Pi
; %bb.0:
	s_load_b128 s[4:7], s[0:1], 0x28
	s_bfe_u32 s2, ttmp6, 0x40014
	s_lshr_b32 s3, ttmp7, 16
	s_add_co_i32 s2, s2, 1
	s_bfe_u32 s9, ttmp6, 0x40008
	s_mul_i32 s8, s3, s2
	s_getreg_b32 s2, hwreg(HW_REG_IB_STS2, 6, 4)
	s_add_co_i32 s9, s9, s8
	s_cmp_eq_u32 s2, 0
	s_mov_b32 s15, 0
	s_cselect_b32 s14, s3, s9
	s_wait_kmcnt 0x0
	s_load_b32 s3, s[6:7], s14 offset:0x4 scale_offset
	s_wait_kmcnt 0x0
	s_cmp_lg_u32 s3, 0
	s_cbranch_scc1 .LBB87_60
; %bb.1:
	s_clause 0x1
	s_load_b32 s11, s[0:1], 0x0
	s_load_b32 s3, s[0:1], 0x44
	s_bfe_u32 s6, ttmp6, 0x4000c
	s_and_b32 s7, ttmp6, 15
	s_add_co_i32 s6, s6, 1
	v_and_b32_e32 v3, 0x3ff, v0
	s_mul_i32 s6, ttmp9, s6
	v_bfe_u32 v1, v0, 10, 10
	s_add_co_i32 s7, s7, s6
	s_cmp_eq_u32 s2, 0
	s_cselect_b32 s2, ttmp9, s7
	s_delay_alu instid0(VALU_DEP_1)
	v_max_i32_e32 v0, v3, v1
	s_wait_kmcnt 0x0
	s_add_co_i32 s6, s11, -1
	s_and_b32 s3, s3, 0xffff
	s_lshr_b32 s7, s6, 31
	s_lshl_b32 s19, s3, 1
	s_add_co_i32 s6, s6, s7
	s_mul_i32 s16, s19, s2
	s_and_b32 s3, s6, -2
	s_mov_b32 s6, exec_lo
	s_sub_co_i32 s3, s3, s16
	s_delay_alu instid0(SALU_CYCLE_1) | instskip(NEXT) | instid1(SALU_CYCLE_1)
	s_add_co_i32 s3, s3, 2
	s_min_i32 s3, s19, s3
	s_delay_alu instid0(SALU_CYCLE_1) | instskip(NEXT) | instid1(SALU_CYCLE_1)
	s_ashr_i32 s20, s3, 1
	v_cmpx_gt_i32_e64 s20, v0
	s_cbranch_execz .LBB87_60
; %bb.2:
	s_cmp_eq_u64 s[4:5], 0
	s_mov_b64 s[12:13], 0
	s_cbranch_scc1 .LBB87_4
; %bb.3:
	s_add_nc_u64 s[6:7], s[0:1], 56
	s_load_b32 s6, s[6:7], 0x0
	s_wait_kmcnt 0x0
	s_mul_i32 s6, s6, s14
	s_delay_alu instid0(SALU_CYCLE_1) | instskip(NEXT) | instid1(SALU_CYCLE_1)
	s_add_co_i32 s6, s6, s2
	s_mul_i32 s2, s19, s6
	s_delay_alu instid0(SALU_CYCLE_1) | instskip(NEXT) | instid1(SALU_CYCLE_1)
	s_mul_i32 s6, s2, s19
	s_ashr_i32 s7, s6, 31
	s_delay_alu instid0(SALU_CYCLE_1) | instskip(NEXT) | instid1(SALU_CYCLE_1)
	s_lshl_b64 s[6:7], s[6:7], 3
	s_add_nc_u64 s[12:13], s[4:5], s[6:7]
.LBB87_4:
	v_dual_lshlrev_b32 v2, 1, v3 :: v_dual_lshlrev_b32 v0, 1, v1
	s_cmp_lg_u64 s[12:13], 0
	s_cselect_b32 s17, -1, 0
	s_cmp_eq_u64 s[12:13], 0
	s_cbranch_scc1 .LBB87_6
; %bb.5:
	v_mad_u32_u24 v7, s19, v0, v2
	v_mov_b32_e32 v5, 0
	v_cmp_eq_u32_e32 vcc_lo, v2, v0
	v_mov_b64_e32 v[8:9], 0
	s_delay_alu instid0(VALU_DEP_3)
	v_dual_lshlrev_b32 v10, 3, v7 :: v_dual_mov_b32 v6, v5
	v_add_nc_u32_e32 v7, s19, v7
	v_cndmask_b32_e64 v4, 0, 1.0, vcc_lo
	s_clause 0x3
	global_store_b96 v10, v[4:6], s[12:13]
	global_store_b64 v7, v[8:9], s[12:13] scale_offset
	global_store_b32 v10, v5, s[12:13] offset:12
	global_store_b64 v7, v[4:5], s[12:13] offset:8 scale_offset
.LBB87_6:
	v_add_nc_u32_e32 v18, s16, v2
	s_lshl_b32 s4, s20, 2
	s_lshl_b32 s5, s20, 3
	s_add_co_i32 s22, s4, 0
	v_cmp_eq_u32_e64 s2, 0, v1
	v_dual_lshlrev_b32 v1, 2, v3 :: v_dual_bitop2_b32 v19, 1, v18 bitop3:0x54
	s_add_co_i32 s21, s22, s5
	s_delay_alu instid0(SALU_CYCLE_1)
	s_add_co_i32 s18, s21, s4
	s_wait_xcnt 0x0
	s_and_saveexec_b32 s4, s2
	s_cbranch_execz .LBB87_8
; %bb.7:
	v_dual_add_nc_u32 v2, s21, v1 :: v_dual_add_nc_u32 v4, s18, v1
	ds_store_b32 v2, v18
	ds_store_b32 v4, v19
.LBB87_8:
	s_or_b32 exec_lo, exec_lo, s4
	s_cmp_lt_i32 s3, 2
	s_cbranch_scc1 .LBB87_60
; %bb.9:
	s_clause 0x1
	s_load_b96 s[8:10], s[0:1], 0x18
	s_load_b128 s[4:7], s[0:1], 0x8
	s_wait_xcnt 0x0
	s_mov_b32 s0, 0x800000
	v_dual_add_nc_u32 v20, s16, v0 :: v_dual_add_nc_u32 v25, s21, v1
	s_add_co_i32 s1, s20, -1
	v_mul_u32_u24_e32 v23, s19, v0
	v_mad_u32_u24 v24, s19, v0, s19
	s_add_co_i32 s19, s18, -4
	v_lshl_add_u32 v22, v3, 3, s22
	v_dual_add_nc_u32 v21, 0, v1 :: v_dual_add_nc_u32 v26, s18, v1
	v_mov_b64_e32 v[0:1], 0
	v_or_b32_e32 v8, 1, v20
	s_wait_kmcnt 0x0
	v_div_scale_f32 v2, null, s10, s10, 0x800000
	v_div_scale_f32 v6, vcc_lo, s0, s10, s0
	v_mul_lo_u32 v28, v20, s7
	s_delay_alu instid0(VALU_DEP_3)
	v_rcp_f32_e32 v4, v2
	v_nop
	v_xor_b32_e32 v2, 0x80000000, v2
	s_mul_u64 s[8:9], s[8:9], s[14:15]
	s_ashr_i32 s21, s6, 31
	s_mov_b32 s20, s6
	s_lshl_b64 s[8:9], s[8:9], 3
	s_lshl_b64 s[14:15], s[20:21], 3
	v_fma_f32 v5, v2, v4, 1.0
	s_add_nc_u64 s[4:5], s[4:5], s[8:9]
	s_add_co_i32 s6, s3, -1
	v_add_nc_u32_e32 v29, s7, v28
	s_add_nc_u64 s[8:9], s[4:5], s[14:15]
	v_fmac_f32_e32 v4, v5, v4
	s_add_co_i32 s5, s7, 1
	v_cmp_gt_i32_e64 s0, s11, v8
                                        ; implicit-def: $vgpr8_vgpr9
	s_delay_alu instid0(VALU_DEP_2) | instskip(NEXT) | instid1(VALU_DEP_1)
	v_mul_f32_e32 v5, v6, v4
	v_fma_f32 v7, v2, v5, v6
	s_delay_alu instid0(VALU_DEP_1) | instskip(NEXT) | instid1(VALU_DEP_1)
	v_dual_add_nc_u32 v27, -4, v25 :: v_dual_fmac_f32 v5, v7, v4
	v_dual_fmac_f32 v6, v2, v5 :: v_dual_add_nc_u32 v7, 4, v26
	s_delay_alu instid0(VALU_DEP_1) | instskip(SKIP_1) | instid1(VALU_DEP_2)
	v_div_fmas_f32 v2, v6, v4, v5
	v_cmp_eq_u32_e32 vcc_lo, s1, v3
                                        ; implicit-def: $vgpr6
                                        ; implicit-def: $vgpr4
	v_div_fixup_f32 v30, v2, s10, 0x800000
	s_delay_alu instid0(VALU_DEP_4)
	v_cndmask_b32_e64 v31, v7, s19, vcc_lo
                                        ; implicit-def: $vgpr2
	s_branch .LBB87_11
.LBB87_10:                              ;   in Loop: Header=BB87_11 Depth=1
	s_or_b32 exec_lo, exec_lo, s1
	s_add_co_i32 s6, s6, -1
	s_delay_alu instid0(SALU_CYCLE_1)
	s_cmp_lg_u32 s6, 0
	s_cbranch_scc0 .LBB87_60
.LBB87_11:                              ; =>This Inner Loop Header: Depth=1
	v_cmp_gt_i32_e64 s1, s11, v18
	v_cmp_gt_i32_e64 s3, s11, v19
	s_and_b32 s4, s2, s1
	s_delay_alu instid0(SALU_CYCLE_1) | instskip(NEXT) | instid1(SALU_CYCLE_1)
	s_and_b32 s10, s4, s3
	s_and_saveexec_b32 s14, s10
	s_cbranch_execz .LBB87_37
; %bb.12:                               ;   in Loop: Header=BB87_11 Depth=1
	v_mul_lo_u32 v7, v19, s7
	s_mov_b32 s4, exec_lo
	s_delay_alu instid0(VALU_DEP_1)
	v_add_nc_u32_e32 v5, v18, v7
	global_load_b64 v[10:11], v5, s[8:9] scale_offset
                                        ; implicit-def: $vgpr5
	s_wait_loadcnt 0x0
	v_cmp_gt_f32_e32 vcc_lo, 0, v10
	v_cndmask_b32_e64 v6, v10, -v10, vcc_lo
	v_cmp_gt_f32_e32 vcc_lo, 0, v11
	v_cndmask_b32_e64 v8, v11, -v11, vcc_lo
	s_wait_xcnt 0x0
	s_delay_alu instid0(VALU_DEP_1)
	v_cmpx_ngt_f32_e32 v6, v8
	s_xor_b32 s15, exec_lo, s4
	s_cbranch_execz .LBB87_16
; %bb.13:                               ;   in Loop: Header=BB87_11 Depth=1
	v_mov_b32_e32 v5, 0
	s_mov_b32 s19, exec_lo
	v_cmpx_neq_f32_e32 0, v11
	s_cbranch_execz .LBB87_15
; %bb.14:                               ;   in Loop: Header=BB87_11 Depth=1
	v_div_scale_f32 v5, null, v8, v8, v6
	v_div_scale_f32 v13, vcc_lo, v6, v8, v6
	s_delay_alu instid0(VALU_DEP_2) | instskip(SKIP_1) | instid1(TRANS32_DEP_1)
	v_rcp_f32_e32 v9, v5
	v_nop
	v_fma_f32 v12, -v5, v9, 1.0
	s_delay_alu instid0(VALU_DEP_1) | instskip(NEXT) | instid1(VALU_DEP_1)
	v_fmac_f32_e32 v9, v12, v9
	v_mul_f32_e32 v12, v13, v9
	s_delay_alu instid0(VALU_DEP_1) | instskip(NEXT) | instid1(VALU_DEP_1)
	v_fma_f32 v14, -v5, v12, v13
	v_fmac_f32_e32 v12, v14, v9
	s_delay_alu instid0(VALU_DEP_1) | instskip(NEXT) | instid1(VALU_DEP_1)
	v_fma_f32 v5, -v5, v12, v13
	v_div_fmas_f32 v5, v5, v9, v12
	s_delay_alu instid0(VALU_DEP_1) | instskip(NEXT) | instid1(VALU_DEP_1)
	v_div_fixup_f32 v5, v5, v8, v6
	v_fma_f32 v5, v5, v5, 1.0
	s_delay_alu instid0(VALU_DEP_1) | instskip(SKIP_1) | instid1(VALU_DEP_2)
	v_mul_f32_e32 v6, 0x4f800000, v5
	v_cmp_gt_f32_e32 vcc_lo, 0xf800000, v5
	v_cndmask_b32_e32 v5, v5, v6, vcc_lo
	s_delay_alu instid0(VALU_DEP_1) | instskip(SKIP_1) | instid1(TRANS32_DEP_1)
	v_sqrt_f32_e32 v6, v5
	v_nop
	v_add_nc_u32_e32 v9, -1, v6
	s_delay_alu instid0(VALU_DEP_1) | instskip(NEXT) | instid1(VALU_DEP_1)
	v_fma_f32 v13, -v9, v6, v5
	v_cmp_ge_f32_e64 s4, 0, v13
	v_add_nc_u32_e32 v12, 1, v6
	s_delay_alu instid0(VALU_DEP_1) | instskip(NEXT) | instid1(VALU_DEP_1)
	v_dual_fma_f32 v14, -v12, v6, v5 :: v_dual_cndmask_b32 v6, v6, v9, s4
	v_cmp_lt_f32_e64 s4, 0, v14
	s_delay_alu instid0(VALU_DEP_1) | instskip(NEXT) | instid1(VALU_DEP_1)
	v_cndmask_b32_e64 v6, v6, v12, s4
	v_mul_f32_e32 v9, 0x37800000, v6
	s_delay_alu instid0(VALU_DEP_1) | instskip(SKIP_1) | instid1(VALU_DEP_2)
	v_cndmask_b32_e32 v6, v6, v9, vcc_lo
	v_cmp_class_f32_e64 vcc_lo, v5, 0x260
	v_cndmask_b32_e32 v5, v6, v5, vcc_lo
	s_delay_alu instid0(VALU_DEP_1)
	v_mul_f32_e32 v5, v8, v5
.LBB87_15:                              ;   in Loop: Header=BB87_11 Depth=1
	s_or_b32 exec_lo, exec_lo, s19
                                        ; implicit-def: $vgpr6
                                        ; implicit-def: $vgpr8
.LBB87_16:                              ;   in Loop: Header=BB87_11 Depth=1
	s_and_not1_saveexec_b32 s15, s15
	s_cbranch_execz .LBB87_18
; %bb.17:                               ;   in Loop: Header=BB87_11 Depth=1
	v_div_scale_f32 v5, null, v6, v6, v8
	v_div_scale_f32 v13, vcc_lo, v8, v6, v8
	s_delay_alu instid0(VALU_DEP_2) | instskip(SKIP_1) | instid1(TRANS32_DEP_1)
	v_rcp_f32_e32 v9, v5
	v_nop
	v_fma_f32 v12, -v5, v9, 1.0
	s_delay_alu instid0(VALU_DEP_1) | instskip(NEXT) | instid1(VALU_DEP_1)
	v_fmac_f32_e32 v9, v12, v9
	v_mul_f32_e32 v12, v13, v9
	s_delay_alu instid0(VALU_DEP_1) | instskip(NEXT) | instid1(VALU_DEP_1)
	v_fma_f32 v14, -v5, v12, v13
	v_fmac_f32_e32 v12, v14, v9
	s_delay_alu instid0(VALU_DEP_1) | instskip(NEXT) | instid1(VALU_DEP_1)
	v_fma_f32 v5, -v5, v12, v13
	v_div_fmas_f32 v5, v5, v9, v12
	s_delay_alu instid0(VALU_DEP_1) | instskip(NEXT) | instid1(VALU_DEP_1)
	v_div_fixup_f32 v5, v5, v6, v8
	v_fma_f32 v5, v5, v5, 1.0
	s_delay_alu instid0(VALU_DEP_1) | instskip(SKIP_1) | instid1(VALU_DEP_2)
	v_mul_f32_e32 v8, 0x4f800000, v5
	v_cmp_gt_f32_e32 vcc_lo, 0xf800000, v5
	v_cndmask_b32_e32 v5, v5, v8, vcc_lo
	s_delay_alu instid0(VALU_DEP_1) | instskip(SKIP_1) | instid1(TRANS32_DEP_1)
	v_sqrt_f32_e32 v8, v5
	v_nop
	v_add_nc_u32_e32 v9, -1, v8
	s_delay_alu instid0(VALU_DEP_1) | instskip(NEXT) | instid1(VALU_DEP_1)
	v_fma_f32 v13, -v9, v8, v5
	v_cmp_ge_f32_e64 s4, 0, v13
	v_add_nc_u32_e32 v12, 1, v8
	s_delay_alu instid0(VALU_DEP_1) | instskip(NEXT) | instid1(VALU_DEP_3)
	v_fma_f32 v14, -v12, v8, v5
	v_cndmask_b32_e64 v8, v8, v9, s4
	s_delay_alu instid0(VALU_DEP_2) | instskip(NEXT) | instid1(VALU_DEP_1)
	v_cmp_lt_f32_e64 s4, 0, v14
	v_cndmask_b32_e64 v8, v8, v12, s4
	s_delay_alu instid0(VALU_DEP_1) | instskip(NEXT) | instid1(VALU_DEP_1)
	v_mul_f32_e32 v9, 0x37800000, v8
	v_cndmask_b32_e32 v8, v8, v9, vcc_lo
	v_cmp_class_f32_e64 vcc_lo, v5, 0x260
	s_delay_alu instid0(VALU_DEP_2) | instskip(NEXT) | instid1(VALU_DEP_1)
	v_cndmask_b32_e32 v5, v8, v5, vcc_lo
	v_mul_f32_e32 v5, v6, v5
.LBB87_18:                              ;   in Loop: Header=BB87_11 Depth=1
	s_or_b32 exec_lo, exec_lo, s15
	s_delay_alu instid0(VALU_DEP_1) | instskip(SKIP_1) | instid1(VALU_DEP_2)
	v_mul_f32_e32 v6, v5, v5
	v_mov_b64_e32 v[8:9], 0
	v_cmp_nlt_f32_e32 vcc_lo, v6, v30
	v_mov_b32_e32 v6, 1.0
	s_and_saveexec_b32 s15, vcc_lo
	s_cbranch_execz .LBB87_36
; %bb.19:                               ;   in Loop: Header=BB87_11 Depth=1
	v_mul_lo_u32 v6, v18, s5
	v_add_nc_u32_e32 v8, v7, v19
	s_mov_b32 s4, exec_lo
	s_delay_alu instid0(VALU_DEP_1) | instskip(NEXT) | instid1(VALU_DEP_1)
	v_dual_ashrrev_i32 v7, 31, v6 :: v_dual_ashrrev_i32 v9, 31, v8
	v_lshl_add_u64 v[6:7], v[6:7], 3, s[8:9]
	s_delay_alu instid0(VALU_DEP_2)
	v_lshl_add_u64 v[8:9], v[8:9], 3, s[8:9]
	s_clause 0x1
	global_load_b32 v12, v[8:9], off
	global_load_b32 v13, v[6:7], off
	s_wait_xcnt 0x0
	v_add_f32_e32 v7, v5, v5
	s_wait_loadcnt 0x0
	v_sub_f32_e32 v9, v12, v13
	s_delay_alu instid0(VALU_DEP_1) | instskip(NEXT) | instid1(VALU_DEP_1)
	v_max_num_f32_e64 v6, |v9|, |v7|
	v_cvt_f64_f32_e32 v[12:13], v6
	s_delay_alu instid0(VALU_DEP_1) | instskip(NEXT) | instid1(VALU_DEP_1)
	v_frexp_exp_i32_f64_e32 v8, v[12:13]
	v_sub_nc_u32_e32 v12, 0, v8
	s_delay_alu instid0(VALU_DEP_1) | instskip(SKIP_1) | instid1(VALU_DEP_2)
	v_ldexp_f32 v13, |v7|, v12
	v_ldexp_f32 v12, |v9|, v12
	v_mul_f32_e32 v13, v13, v13
	s_delay_alu instid0(VALU_DEP_1) | instskip(NEXT) | instid1(VALU_DEP_1)
	v_fmac_f32_e32 v13, v12, v12
                                        ; implicit-def: $vgpr12
	v_sqrt_f32_e32 v13, v13
	v_cmpx_ngt_f32_e32 0, v9
	s_xor_b32 s4, exec_lo, s4
; %bb.20:                               ;   in Loop: Header=BB87_11 Depth=1
	s_delay_alu instid0(TRANS32_DEP_1) | instskip(SKIP_1) | instid1(VALU_DEP_2)
	v_ldexp_f32 v8, v13, v8
	v_cmp_neq_f32_e32 vcc_lo, 0x7f800000, v6
                                        ; implicit-def: $vgpr13
                                        ; implicit-def: $vgpr6
	v_cndmask_b32_e32 v12, 0x7f800000, v8, vcc_lo
                                        ; implicit-def: $vgpr8
; %bb.21:                               ;   in Loop: Header=BB87_11 Depth=1
	s_and_not1_saveexec_b32 s4, s4
; %bb.22:                               ;   in Loop: Header=BB87_11 Depth=1
	v_ldexp_f32 v8, -v13, v8
	v_cmp_neq_f32_e32 vcc_lo, 0x7f800000, v6
	s_delay_alu instid0(VALU_DEP_2)
	v_cndmask_b32_e32 v12, 0xff800000, v8, vcc_lo
; %bb.23:                               ;   in Loop: Header=BB87_11 Depth=1
	s_or_b32 exec_lo, exec_lo, s4
	v_dual_mov_b32 v8, 0 :: v_dual_mov_b32 v6, 1.0
	s_mov_b32 s19, exec_lo
	v_cmpx_neq_f32_e32 0, v7
	s_cbranch_execz .LBB87_31
; %bb.24:                               ;   in Loop: Header=BB87_11 Depth=1
	v_dual_add_f32 v9, v9, v12 :: v_dual_mov_b32 v6, 0
	v_mov_b32_e32 v8, 1.0
	s_mov_b32 s20, exec_lo
	s_delay_alu instid0(VALU_DEP_2)
	v_cmpx_neq_f32_e32 0, v9
	s_cbranch_execz .LBB87_30
; %bb.25:                               ;   in Loop: Header=BB87_11 Depth=1
	s_mov_b32 s21, exec_lo
                                        ; implicit-def: $vgpr6
                                        ; implicit-def: $vgpr8
	v_cmpx_ngt_f32_e64 |v7|, |v9|
	s_xor_b32 s21, exec_lo, s21
	s_cbranch_execz .LBB87_27
; %bb.26:                               ;   in Loop: Header=BB87_11 Depth=1
	v_div_scale_f32 v6, null, v9, v9, -v7
	v_div_scale_f32 v13, vcc_lo, -v7, v9, -v7
	s_delay_alu instid0(VALU_DEP_2) | instskip(SKIP_1) | instid1(TRANS32_DEP_1)
	v_rcp_f32_e32 v8, v6
	v_nop
	v_fma_f32 v12, -v6, v8, 1.0
	s_delay_alu instid0(VALU_DEP_1) | instskip(NEXT) | instid1(VALU_DEP_1)
	v_fmac_f32_e32 v8, v12, v8
	v_mul_f32_e32 v12, v13, v8
	s_delay_alu instid0(VALU_DEP_1) | instskip(NEXT) | instid1(VALU_DEP_1)
	v_fma_f32 v14, -v6, v12, v13
	v_fmac_f32_e32 v12, v14, v8
	s_delay_alu instid0(VALU_DEP_1) | instskip(NEXT) | instid1(VALU_DEP_1)
	v_fma_f32 v6, -v6, v12, v13
	v_div_fmas_f32 v6, v6, v8, v12
	s_delay_alu instid0(VALU_DEP_1) | instskip(NEXT) | instid1(VALU_DEP_1)
	v_div_fixup_f32 v7, v6, v9, -v7
	v_fma_f32 v6, v7, v7, 1.0
	s_delay_alu instid0(VALU_DEP_1) | instskip(SKIP_1) | instid1(VALU_DEP_2)
	v_mul_f32_e32 v8, 0x4f800000, v6
	v_cmp_gt_f32_e32 vcc_lo, 0xf800000, v6
	v_cndmask_b32_e32 v6, v6, v8, vcc_lo
	s_delay_alu instid0(VALU_DEP_1) | instskip(SKIP_1) | instid1(TRANS32_DEP_1)
	v_sqrt_f32_e32 v8, v6
	v_nop
	v_dual_add_nc_u32 v9, -1, v8 :: v_dual_add_nc_u32 v12, 1, v8
	s_delay_alu instid0(VALU_DEP_1) | instskip(NEXT) | instid1(VALU_DEP_1)
	v_dual_fma_f32 v13, -v9, v8, v6 :: v_dual_fma_f32 v14, -v12, v8, v6
	v_cmp_ge_f32_e64 s4, 0, v13
	s_delay_alu instid0(VALU_DEP_1) | instskip(NEXT) | instid1(VALU_DEP_3)
	v_cndmask_b32_e64 v8, v8, v9, s4
	v_cmp_lt_f32_e64 s4, 0, v14
	s_delay_alu instid0(VALU_DEP_1) | instskip(NEXT) | instid1(VALU_DEP_1)
	v_cndmask_b32_e64 v8, v8, v12, s4
	v_mul_f32_e32 v9, 0x37800000, v8
	s_delay_alu instid0(VALU_DEP_1) | instskip(SKIP_1) | instid1(VALU_DEP_2)
	v_cndmask_b32_e32 v8, v8, v9, vcc_lo
	v_cmp_class_f32_e64 vcc_lo, v6, 0x260
	v_cndmask_b32_e32 v6, v8, v6, vcc_lo
	s_delay_alu instid0(VALU_DEP_1) | instskip(NEXT) | instid1(VALU_DEP_1)
	v_div_scale_f32 v8, null, v6, v6, 1.0
	v_rcp_f32_e32 v9, v8
	v_nop
	s_delay_alu instid0(TRANS32_DEP_1) | instskip(NEXT) | instid1(VALU_DEP_1)
	v_fma_f32 v12, -v8, v9, 1.0
	v_fmac_f32_e32 v9, v12, v9
	v_div_scale_f32 v12, vcc_lo, 1.0, v6, 1.0
	s_delay_alu instid0(VALU_DEP_1) | instskip(NEXT) | instid1(VALU_DEP_1)
	v_mul_f32_e32 v13, v12, v9
	v_fma_f32 v14, -v8, v13, v12
	s_delay_alu instid0(VALU_DEP_1) | instskip(NEXT) | instid1(VALU_DEP_1)
	v_fmac_f32_e32 v13, v14, v9
	v_fma_f32 v8, -v8, v13, v12
	s_delay_alu instid0(VALU_DEP_1) | instskip(NEXT) | instid1(VALU_DEP_1)
	v_div_fmas_f32 v8, v8, v9, v13
                                        ; implicit-def: $vgpr9
	v_div_fixup_f32 v6, v8, v6, 1.0
	s_delay_alu instid0(VALU_DEP_1)
	v_mul_f32_e32 v8, v7, v6
                                        ; implicit-def: $vgpr7
.LBB87_27:                              ;   in Loop: Header=BB87_11 Depth=1
	s_and_not1_saveexec_b32 s21, s21
	s_cbranch_execz .LBB87_29
; %bb.28:                               ;   in Loop: Header=BB87_11 Depth=1
	v_div_scale_f32 v6, null, v7, v7, -v9
	v_div_scale_f32 v13, vcc_lo, -v9, v7, -v9
	s_delay_alu instid0(VALU_DEP_2) | instskip(SKIP_1) | instid1(TRANS32_DEP_1)
	v_rcp_f32_e32 v8, v6
	v_nop
	v_fma_f32 v12, -v6, v8, 1.0
	s_delay_alu instid0(VALU_DEP_1) | instskip(NEXT) | instid1(VALU_DEP_1)
	v_fmac_f32_e32 v8, v12, v8
	v_mul_f32_e32 v12, v13, v8
	s_delay_alu instid0(VALU_DEP_1) | instskip(NEXT) | instid1(VALU_DEP_1)
	v_fma_f32 v14, -v6, v12, v13
	v_fmac_f32_e32 v12, v14, v8
	s_delay_alu instid0(VALU_DEP_1) | instskip(NEXT) | instid1(VALU_DEP_1)
	v_fma_f32 v6, -v6, v12, v13
	v_div_fmas_f32 v6, v6, v8, v12
	s_delay_alu instid0(VALU_DEP_1) | instskip(NEXT) | instid1(VALU_DEP_1)
	v_div_fixup_f32 v6, v6, v7, -v9
	v_fma_f32 v7, v6, v6, 1.0
	s_delay_alu instid0(VALU_DEP_1) | instskip(SKIP_1) | instid1(VALU_DEP_2)
	v_mul_f32_e32 v8, 0x4f800000, v7
	v_cmp_gt_f32_e32 vcc_lo, 0xf800000, v7
	v_cndmask_b32_e32 v7, v7, v8, vcc_lo
	s_delay_alu instid0(VALU_DEP_1) | instskip(SKIP_1) | instid1(TRANS32_DEP_1)
	v_sqrt_f32_e32 v8, v7
	v_nop
	v_dual_add_nc_u32 v9, -1, v8 :: v_dual_add_nc_u32 v12, 1, v8
	s_delay_alu instid0(VALU_DEP_1) | instskip(NEXT) | instid1(VALU_DEP_1)
	v_dual_fma_f32 v13, -v9, v8, v7 :: v_dual_fma_f32 v14, -v12, v8, v7
	v_cmp_ge_f32_e64 s4, 0, v13
	s_delay_alu instid0(VALU_DEP_1) | instskip(NEXT) | instid1(VALU_DEP_3)
	v_cndmask_b32_e64 v8, v8, v9, s4
	v_cmp_lt_f32_e64 s4, 0, v14
	s_delay_alu instid0(VALU_DEP_1) | instskip(NEXT) | instid1(VALU_DEP_1)
	v_cndmask_b32_e64 v8, v8, v12, s4
	v_mul_f32_e32 v9, 0x37800000, v8
	s_delay_alu instid0(VALU_DEP_1) | instskip(SKIP_1) | instid1(VALU_DEP_2)
	v_cndmask_b32_e32 v8, v8, v9, vcc_lo
	v_cmp_class_f32_e64 vcc_lo, v7, 0x260
	v_cndmask_b32_e32 v7, v8, v7, vcc_lo
	s_delay_alu instid0(VALU_DEP_1) | instskip(NEXT) | instid1(VALU_DEP_1)
	v_div_scale_f32 v8, null, v7, v7, 1.0
	v_rcp_f32_e32 v9, v8
	v_nop
	s_delay_alu instid0(TRANS32_DEP_1) | instskip(NEXT) | instid1(VALU_DEP_1)
	v_fma_f32 v12, -v8, v9, 1.0
	v_fmac_f32_e32 v9, v12, v9
	v_div_scale_f32 v12, vcc_lo, 1.0, v7, 1.0
	s_delay_alu instid0(VALU_DEP_1) | instskip(NEXT) | instid1(VALU_DEP_1)
	v_mul_f32_e32 v13, v12, v9
	v_fma_f32 v14, -v8, v13, v12
	s_delay_alu instid0(VALU_DEP_1) | instskip(NEXT) | instid1(VALU_DEP_1)
	v_fmac_f32_e32 v13, v14, v9
	v_fma_f32 v8, -v8, v13, v12
	s_delay_alu instid0(VALU_DEP_1) | instskip(NEXT) | instid1(VALU_DEP_1)
	v_div_fmas_f32 v8, v8, v9, v13
	v_div_fixup_f32 v8, v8, v7, 1.0
	s_delay_alu instid0(VALU_DEP_1)
	v_mul_f32_e32 v6, v6, v8
.LBB87_29:                              ;   in Loop: Header=BB87_11 Depth=1
	s_or_b32 exec_lo, exec_lo, s21
.LBB87_30:                              ;   in Loop: Header=BB87_11 Depth=1
	s_delay_alu instid0(SALU_CYCLE_1)
	s_or_b32 exec_lo, exec_lo, s20
.LBB87_31:                              ;   in Loop: Header=BB87_11 Depth=1
	s_delay_alu instid0(SALU_CYCLE_1)
	s_or_b32 exec_lo, exec_lo, s19
	v_pk_mul_f32 v[10:11], v[10:11], v[8:9] op_sel_hi:[1,0]
	s_mov_b32 s4, exec_lo
                                        ; implicit-def: $vgpr8_vgpr9
	v_cmpx_lg_f32_e32 0, v5
	s_xor_b32 s4, exec_lo, s4
	s_cbranch_execz .LBB87_33
; %bb.32:                               ;   in Loop: Header=BB87_11 Depth=1
	v_div_scale_f32 v7, null, v5, v5, 0
	v_div_scale_f32 v12, vcc_lo, 0, v5, 0
	s_delay_alu instid0(VALU_DEP_2) | instskip(SKIP_1) | instid1(TRANS32_DEP_1)
	v_rcp_f32_e32 v8, v7
	v_nop
	v_fma_f32 v9, -v7, v8, 1.0
	s_delay_alu instid0(VALU_DEP_1) | instskip(NEXT) | instid1(VALU_DEP_1)
	v_fmac_f32_e32 v8, v9, v8
	v_mul_f32_e32 v9, v12, v8
	s_delay_alu instid0(VALU_DEP_1) | instskip(NEXT) | instid1(VALU_DEP_1)
	v_fma_f32 v13, -v7, v9, v12
	v_fmac_f32_e32 v9, v13, v8
	s_delay_alu instid0(VALU_DEP_1) | instskip(NEXT) | instid1(VALU_DEP_1)
	v_fma_f32 v7, -v7, v9, v12
	v_div_fmas_f32 v7, v7, v8, v9
	s_delay_alu instid0(VALU_DEP_1) | instskip(NEXT) | instid1(VALU_DEP_1)
	v_div_fixup_f32 v8, v7, v5, 0
	v_fmac_f32_e32 v5, 0, v8
	s_delay_alu instid0(VALU_DEP_1) | instskip(SKIP_1) | instid1(VALU_DEP_2)
	v_div_scale_f32 v7, null, v5, v5, 1.0
	v_div_scale_f32 v13, vcc_lo, 1.0, v5, 1.0
	v_rcp_f32_e32 v9, v7
	v_nop
	s_delay_alu instid0(TRANS32_DEP_1) | instskip(NEXT) | instid1(VALU_DEP_1)
	v_fma_f32 v12, -v7, v9, 1.0
	v_fmac_f32_e32 v9, v12, v9
	s_delay_alu instid0(VALU_DEP_1) | instskip(NEXT) | instid1(VALU_DEP_1)
	v_mul_f32_e32 v12, v13, v9
	v_fma_f32 v14, -v7, v12, v13
	s_delay_alu instid0(VALU_DEP_1) | instskip(NEXT) | instid1(VALU_DEP_1)
	v_fmac_f32_e32 v12, v14, v9
	v_fma_f32 v7, -v7, v12, v13
	s_delay_alu instid0(VALU_DEP_1) | instskip(SKIP_2) | instid1(VALU_DEP_3)
	v_div_fmas_f32 v7, v7, v9, v12
	v_pk_fma_f32 v[12:13], v[8:9], v[10:11], v[10:11] op_sel:[0,1,0] op_sel_hi:[0,0,1] neg_lo:[1,0,0] neg_hi:[1,0,0]
	v_pk_fma_f32 v[8:9], v[8:9], v[10:11], v[10:11] op_sel:[0,1,0] op_sel_hi:[1,0,1]
	v_div_fixup_f32 v10, v7, v5, 1.0
	s_delay_alu instid0(VALU_DEP_3) | instskip(NEXT) | instid1(VALU_DEP_1)
	v_mov_b32_e32 v9, v13
                                        ; implicit-def: $vgpr5
	v_pk_mul_f32 v[8:9], v[10:11], v[8:9] op_sel_hi:[0,1]
                                        ; implicit-def: $vgpr10_vgpr11
.LBB87_33:                              ;   in Loop: Header=BB87_11 Depth=1
	s_and_not1_saveexec_b32 s4, s4
	s_cbranch_execz .LBB87_35
; %bb.34:                               ;   in Loop: Header=BB87_11 Depth=1
	v_div_scale_f32 v7, null, 0, 0, v5
	v_div_scale_f32 v12, vcc_lo, v5, 0, v5
	s_delay_alu instid0(VALU_DEP_2) | instskip(SKIP_1) | instid1(TRANS32_DEP_1)
	v_rcp_f32_e32 v8, v7
	v_nop
	v_fma_f32 v9, -v7, v8, 1.0
	s_delay_alu instid0(VALU_DEP_1) | instskip(NEXT) | instid1(VALU_DEP_1)
	v_fmac_f32_e32 v8, v9, v8
	v_mul_f32_e32 v9, v12, v8
	s_delay_alu instid0(VALU_DEP_1) | instskip(NEXT) | instid1(VALU_DEP_1)
	v_fma_f32 v13, -v7, v9, v12
	v_fmac_f32_e32 v9, v13, v8
	s_delay_alu instid0(VALU_DEP_1) | instskip(NEXT) | instid1(VALU_DEP_1)
	v_fma_f32 v7, -v7, v9, v12
	v_div_fmas_f32 v7, v7, v8, v9
	s_delay_alu instid0(VALU_DEP_1) | instskip(NEXT) | instid1(VALU_DEP_1)
	v_div_fixup_f32 v8, v7, 0, v5
	v_fma_f32 v5, v5, v8, 0
	s_delay_alu instid0(VALU_DEP_1) | instskip(SKIP_1) | instid1(VALU_DEP_2)
	v_div_scale_f32 v7, null, v5, v5, 1.0
	v_div_scale_f32 v13, vcc_lo, 1.0, v5, 1.0
	v_rcp_f32_e32 v9, v7
	v_nop
	s_delay_alu instid0(TRANS32_DEP_1) | instskip(NEXT) | instid1(VALU_DEP_1)
	v_fma_f32 v12, -v7, v9, 1.0
	v_fmac_f32_e32 v9, v12, v9
	s_delay_alu instid0(VALU_DEP_1) | instskip(NEXT) | instid1(VALU_DEP_1)
	v_mul_f32_e32 v12, v13, v9
	v_fma_f32 v14, -v7, v12, v13
	s_delay_alu instid0(VALU_DEP_1) | instskip(NEXT) | instid1(VALU_DEP_1)
	v_fmac_f32_e32 v12, v14, v9
	v_fma_f32 v7, -v7, v12, v13
	s_delay_alu instid0(VALU_DEP_1) | instskip(SKIP_2) | instid1(VALU_DEP_3)
	v_div_fmas_f32 v7, v7, v9, v12
	v_pk_fma_f32 v[12:13], v[8:9], v[10:11], v[10:11] op_sel:[0,0,1] op_sel_hi:[0,1,0] neg_lo:[0,0,1] neg_hi:[0,0,1]
	v_pk_fma_f32 v[8:9], v[8:9], v[10:11], v[10:11] op_sel:[0,0,1] op_sel_hi:[1,1,0]
	v_div_fixup_f32 v10, v7, v5, 1.0
	s_delay_alu instid0(VALU_DEP_3) | instskip(NEXT) | instid1(VALU_DEP_1)
	v_mov_b32_e32 v9, v13
	v_pk_mul_f32 v[8:9], v[10:11], v[8:9] op_sel_hi:[0,1]
.LBB87_35:                              ;   in Loop: Header=BB87_11 Depth=1
	s_or_b32 exec_lo, exec_lo, s4
.LBB87_36:                              ;   in Loop: Header=BB87_11 Depth=1
	s_delay_alu instid0(SALU_CYCLE_1)
	s_or_b32 exec_lo, exec_lo, s15
	ds_store_b32 v21, v6
	ds_store_2addr_b32 v22, v8, v9 offset1:1
.LBB87_37:                              ;   in Loop: Header=BB87_11 Depth=1
	s_or_b32 exec_lo, exec_lo, s14
	s_and_b32 s1, s1, s3
	s_wait_storecnt_dscnt 0x0
	s_barrier_signal -1
	s_barrier_wait -1
	s_and_saveexec_b32 s3, s1
	s_cbranch_execz .LBB87_46
; %bb.38:                               ;   in Loop: Header=BB87_11 Depth=1
	ds_load_2addr_b32 v[8:9], v22 offset1:1
	ds_load_b32 v6, v21
	s_and_b32 vcc_lo, exec_lo, s17
	s_wait_dscnt 0x1
	v_xor_b32_e32 v2, 0x80000000, v9
	s_cbranch_vccz .LBB87_59
; %bb.39:                               ;   in Loop: Header=BB87_11 Depth=1
	v_subrev_nc_u32_e32 v10, s16, v19
	v_subrev_nc_u32_e32 v7, s16, v18
	v_xor_b32_e32 v4, 0x80000000, v9
	s_delay_alu instid0(VALU_DEP_2)
	v_dual_add_nc_u32 v11, v10, v23 :: v_dual_add_nc_u32 v36, v7, v23
	s_clause 0x1
	global_load_b64 v[12:13], v11, s[12:13] scale_offset
	global_load_b64 v[14:15], v36, s[12:13] scale_offset
	s_wait_loadcnt 0x1
	v_pk_mul_f32 v[16:17], v[8:9], v[12:13] op_sel:[1,0]
	s_delay_alu instid0(VALU_DEP_1) | instskip(SKIP_2) | instid1(VALU_DEP_3)
	v_pk_fma_f32 v[32:33], v[12:13], v[8:9], v[16:17] op_sel:[0,0,1] op_sel_hi:[1,0,0] neg_lo:[0,0,1] neg_hi:[0,0,1]
	v_mov_b32_e32 v5, v9
	v_pk_fma_f32 v[16:17], v[12:13], v[8:9], v[16:17] op_sel:[0,0,1] op_sel_hi:[1,1,0]
	v_mov_b32_e32 v17, v33
	s_wait_loadcnt 0x0
	s_delay_alu instid0(VALU_DEP_3) | instskip(NEXT) | instid1(VALU_DEP_1)
	v_pk_mul_f32 v[34:35], v[4:5], v[14:15]
	v_pk_fma_f32 v[32:33], v[14:15], v[8:9], v[34:35] op_sel:[0,0,1] op_sel_hi:[1,0,0] neg_lo:[1,0,0] neg_hi:[1,0,0]
	s_wait_dscnt 0x0
	v_pk_fma_f32 v[14:15], v[6:7], v[14:15], v[16:17] op_sel_hi:[0,1,1]
	s_delay_alu instid0(VALU_DEP_2)
	v_pk_fma_f32 v[12:13], v[6:7], v[12:13], v[32:33] op_sel_hi:[0,1,1]
	s_clause 0x1
	global_store_b64 v36, v[14:15], s[12:13] scale_offset
	global_store_b64 v11, v[12:13], s[12:13] scale_offset
	s_wait_xcnt 0x0
	s_and_saveexec_b32 s4, s0
	s_cbranch_execz .LBB87_41
; %bb.40:                               ;   in Loop: Header=BB87_11 Depth=1
	v_dual_add_nc_u32 v36, v10, v24 :: v_dual_add_nc_u32 v37, v7, v24
	v_dual_mov_b32 v14, v9 :: v_dual_mov_b32 v15, v9
	v_dual_mov_b32 v16, v8 :: v_dual_mov_b32 v17, v8
	s_clause 0x1
	global_load_b64 v[10:11], v36, s[12:13] scale_offset
	global_load_b64 v[12:13], v37, s[12:13] scale_offset
	s_wait_loadcnt 0x1
	v_pk_mul_f32 v[14:15], v[14:15], v[10:11]
	s_wait_loadcnt 0x0
	v_pk_mul_f32 v[34:35], v[4:5], v[12:13]
	s_delay_alu instid0(VALU_DEP_2) | instskip(SKIP_2) | instid1(VALU_DEP_4)
	v_pk_fma_f32 v[32:33], v[10:11], v[16:17], v[14:15] op_sel:[0,0,1] op_sel_hi:[1,1,0] neg_lo:[0,0,1] neg_hi:[0,0,1]
	v_pk_fma_f32 v[14:15], v[10:11], v[16:17], v[14:15] op_sel:[0,0,1] op_sel_hi:[1,1,0]
	v_mov_b32_e32 v7, v6
	v_pk_fma_f32 v[16:17], v[12:13], v[16:17], v[34:35] op_sel:[0,0,1] op_sel_hi:[1,1,0] neg_lo:[1,0,0] neg_hi:[1,0,0]
	s_delay_alu instid0(VALU_DEP_4) | instskip(NEXT) | instid1(VALU_DEP_2)
	v_mov_b32_e32 v15, v33
	v_pk_fma_f32 v[10:11], v[6:7], v[10:11], v[16:17]
	s_delay_alu instid0(VALU_DEP_2)
	v_pk_fma_f32 v[12:13], v[6:7], v[12:13], v[14:15]
	s_clause 0x1
	global_store_b64 v37, v[12:13], s[12:13] scale_offset
	global_store_b64 v36, v[10:11], s[12:13] scale_offset
.LBB87_41:                              ;   in Loop: Header=BB87_11 Depth=1
	s_wait_xcnt 0x0
	s_or_b32 exec_lo, exec_lo, s4
	v_dual_mov_b32 v11, v8 :: v_dual_mov_b32 v12, v9
	v_dual_mov_b32 v13, v9 :: v_dual_mov_b32 v10, v8
	s_cbranch_execnz .LBB87_43
.LBB87_42:                              ;   in Loop: Header=BB87_11 Depth=1
	v_xor_b32_e32 v4, 0x80000000, v9
	v_dual_mov_b32 v5, v9 :: v_dual_mov_b32 v12, v9
	v_dual_mov_b32 v13, v9 :: v_dual_mov_b32 v10, v8
	v_mov_b32_e32 v11, v8
.LBB87_43:                              ;   in Loop: Header=BB87_11 Depth=1
	v_mad_u32 v16, v19, s7, v20
	v_mad_u32 v14, v18, s7, v20
	s_clause 0x1
	global_load_b64 v[32:33], v16, s[8:9] scale_offset
	global_load_b64 v[34:35], v14, s[8:9] scale_offset
	s_wait_loadcnt 0x1
	v_pk_mul_f32 v[36:37], v[12:13], v[32:33]
	s_wait_loadcnt 0x0
	v_pk_mul_f32 v[40:41], v[4:5], v[34:35]
	s_delay_alu instid0(VALU_DEP_2) | instskip(SKIP_2) | instid1(VALU_DEP_2)
	v_pk_fma_f32 v[38:39], v[32:33], v[10:11], v[36:37] op_sel:[0,0,1] op_sel_hi:[1,1,0] neg_lo:[0,0,1] neg_hi:[0,0,1]
	v_pk_fma_f32 v[36:37], v[32:33], v[10:11], v[36:37] op_sel:[0,0,1] op_sel_hi:[1,1,0]
	s_wait_dscnt 0x0
	v_dual_mov_b32 v7, v6 :: v_dual_mov_b32 v37, v39
	v_pk_fma_f32 v[38:39], v[34:35], v[10:11], v[40:41] op_sel:[0,0,1] op_sel_hi:[1,1,0] neg_lo:[1,0,0] neg_hi:[1,0,0]
	s_delay_alu instid0(VALU_DEP_2) | instskip(NEXT) | instid1(VALU_DEP_2)
	v_pk_fma_f32 v[34:35], v[6:7], v[34:35], v[36:37]
	v_pk_fma_f32 v[32:33], v[6:7], v[32:33], v[38:39]
	s_clause 0x1
	global_store_b64 v14, v[34:35], s[8:9] scale_offset
	global_store_b64 v16, v[32:33], s[8:9] scale_offset
	s_wait_xcnt 0x0
	s_and_saveexec_b32 s4, s0
	s_cbranch_execz .LBB87_45
; %bb.44:                               ;   in Loop: Header=BB87_11 Depth=1
	v_dual_ashrrev_i32 v17, 31, v16 :: v_dual_ashrrev_i32 v15, 31, v14
	s_delay_alu instid0(VALU_DEP_1) | instskip(NEXT) | instid1(VALU_DEP_2)
	v_lshl_add_u64 v[16:17], v[16:17], 3, s[8:9]
	v_lshl_add_u64 v[14:15], v[14:15], 3, s[8:9]
	s_clause 0x1
	global_load_b64 v[32:33], v[16:17], off offset:8
	global_load_b64 v[34:35], v[14:15], off offset:8
	s_wait_loadcnt 0x1
	v_pk_mul_f32 v[12:13], v[12:13], v[32:33]
	s_wait_loadcnt 0x0
	v_pk_mul_f32 v[4:5], v[4:5], v[34:35]
	s_delay_alu instid0(VALU_DEP_2) | instskip(SKIP_1) | instid1(VALU_DEP_3)
	v_pk_fma_f32 v[36:37], v[32:33], v[10:11], v[12:13] op_sel:[0,0,1] op_sel_hi:[1,1,0] neg_lo:[0,0,1] neg_hi:[0,0,1]
	v_pk_fma_f32 v[12:13], v[32:33], v[10:11], v[12:13] op_sel:[0,0,1] op_sel_hi:[1,1,0]
	v_pk_fma_f32 v[4:5], v[34:35], v[10:11], v[4:5] op_sel:[0,0,1] op_sel_hi:[1,1,0] neg_lo:[1,0,0] neg_hi:[1,0,0]
	s_delay_alu instid0(VALU_DEP_3) | instskip(NEXT) | instid1(VALU_DEP_2)
	v_mov_b32_e32 v13, v37
	v_pk_fma_f32 v[4:5], v[6:7], v[32:33], v[4:5]
	s_delay_alu instid0(VALU_DEP_2)
	v_pk_fma_f32 v[10:11], v[6:7], v[34:35], v[12:13]
	s_clause 0x1
	global_store_b64 v[14:15], v[10:11], off offset:8
	global_store_b64 v[16:17], v[4:5], off offset:8
.LBB87_45:                              ;   in Loop: Header=BB87_11 Depth=1
	s_wait_xcnt 0x0
	s_or_b32 exec_lo, exec_lo, s4
	v_mov_b32_e32 v4, v8
.LBB87_46:                              ;   in Loop: Header=BB87_11 Depth=1
	s_or_b32 exec_lo, exec_lo, s3
	s_wait_storecnt 0x0
	s_barrier_signal -1
	s_barrier_wait -1
	s_and_saveexec_b32 s3, s1
	s_cbranch_execz .LBB87_49
; %bb.47:                               ;   in Loop: Header=BB87_11 Depth=1
	v_dual_add_nc_u32 v5, v19, v28 :: v_dual_add_nc_u32 v7, v18, v28
	s_clause 0x1
	global_load_b64 v[10:11], v5, s[8:9] scale_offset
	global_load_b64 v[12:13], v7, s[8:9] scale_offset
	s_wait_loadcnt 0x1
	v_pk_mul_f32 v[14:15], v[8:9], v[10:11] op_sel:[1,0]
	s_wait_loadcnt 0x0
	v_pk_mul_f32 v[32:33], v[2:3], v[12:13] op_sel_hi:[0,1] neg_lo:[1,0]
	s_delay_alu instid0(VALU_DEP_2) | instskip(SKIP_1) | instid1(VALU_DEP_2)
	v_pk_fma_f32 v[16:17], v[8:9], v[10:11], v[14:15] op_sel:[0,0,1] op_sel_hi:[0,1,0]
	v_pk_fma_f32 v[14:15], v[8:9], v[10:11], v[14:15] op_sel:[0,0,1] op_sel_hi:[1,1,0] neg_lo:[0,0,1] neg_hi:[0,0,1]
	v_mov_b32_e32 v15, v17
	s_delay_alu instid0(VALU_DEP_4) | instskip(NEXT) | instid1(VALU_DEP_2)
	v_pk_fma_f32 v[16:17], v[4:5], v[12:13], v[32:33] op_sel:[0,0,1] op_sel_hi:[0,1,0] neg_lo:[1,0,0] neg_hi:[1,0,0]
	v_pk_fma_f32 v[12:13], v[6:7], v[12:13], v[14:15] op_sel_hi:[0,1,1]
	s_delay_alu instid0(VALU_DEP_2)
	v_pk_fma_f32 v[10:11], v[6:7], v[10:11], v[16:17] op_sel_hi:[0,1,1]
	s_clause 0x1
	global_store_b64 v7, v[12:13], s[8:9] scale_offset
	global_store_b64 v5, v[10:11], s[8:9] scale_offset
	s_wait_xcnt 0x0
	s_and_b32 exec_lo, exec_lo, s0
	s_cbranch_execz .LBB87_49
; %bb.48:                               ;   in Loop: Header=BB87_11 Depth=1
	v_dual_add_nc_u32 v36, v19, v29 :: v_dual_add_nc_u32 v37, v18, v29
	v_dual_mov_b32 v14, v9 :: v_dual_mov_b32 v15, v9
	v_dual_mov_b32 v32, v8 :: v_dual_mov_b32 v33, v8
	s_clause 0x1
	global_load_b64 v[10:11], v36, s[8:9] scale_offset
	global_load_b64 v[12:13], v37, s[8:9] scale_offset
	v_xor_b32_e32 v16, 0x80000000, v2
	v_dual_mov_b32 v17, v2 :: v_dual_mov_b32 v5, v4
	s_wait_loadcnt 0x1
	v_pk_mul_f32 v[14:15], v[14:15], v[10:11]
	s_wait_loadcnt 0x0
	s_delay_alu instid0(VALU_DEP_2) | instskip(NEXT) | instid1(VALU_DEP_2)
	v_pk_mul_f32 v[16:17], v[16:17], v[12:13]
	v_pk_fma_f32 v[34:35], v[32:33], v[10:11], v[14:15] op_sel:[0,0,1] op_sel_hi:[1,1,0]
	v_pk_fma_f32 v[14:15], v[32:33], v[10:11], v[14:15] op_sel:[0,0,1] op_sel_hi:[1,1,0] neg_lo:[0,0,1] neg_hi:[0,0,1]
	v_mov_b32_e32 v7, v6
	s_delay_alu instid0(VALU_DEP_4) | instskip(NEXT) | instid1(VALU_DEP_4)
	v_pk_fma_f32 v[16:17], v[4:5], v[12:13], v[16:17] op_sel:[0,0,1] op_sel_hi:[1,1,0] neg_lo:[1,0,0] neg_hi:[1,0,0]
	v_mov_b32_e32 v15, v35
	s_delay_alu instid0(VALU_DEP_2) | instskip(NEXT) | instid1(VALU_DEP_2)
	v_pk_fma_f32 v[10:11], v[6:7], v[10:11], v[16:17]
	v_pk_fma_f32 v[12:13], v[6:7], v[12:13], v[14:15]
	s_clause 0x1
	global_store_b64 v37, v[12:13], s[8:9] scale_offset
	global_store_b64 v36, v[10:11], s[8:9] scale_offset
.LBB87_49:                              ;   in Loop: Header=BB87_11 Depth=1
	s_wait_xcnt 0x0
	s_or_b32 exec_lo, exec_lo, s3
	s_wait_storecnt 0x0
	s_barrier_signal -1
	s_barrier_wait -1
	s_and_saveexec_b32 s1, s10
	s_cbranch_execz .LBB87_51
; %bb.50:                               ;   in Loop: Header=BB87_11 Depth=1
	v_mad_u32 v5, v19, s7, v18
	v_mad_u32 v7, v18, s7, v19
	s_clause 0x1
	global_store_b64 v5, v[0:1], s[8:9] scale_offset
	global_store_b64 v7, v[0:1], s[8:9] scale_offset
.LBB87_51:                              ;   in Loop: Header=BB87_11 Depth=1
	s_wait_xcnt 0x0
	s_or_b32 exec_lo, exec_lo, s1
	s_delay_alu instid0(SALU_CYCLE_1)
	s_mov_b32 s1, exec_lo
	v_cmpx_lt_i32_e32 0, v3
	s_cbranch_execz .LBB87_57
; %bb.52:                               ;   in Loop: Header=BB87_11 Depth=1
	s_mov_b32 s3, exec_lo
                                        ; implicit-def: $vgpr18
	v_cmpx_ne_u32_e32 1, v3
	s_xor_b32 s3, exec_lo, s3
; %bb.53:                               ;   in Loop: Header=BB87_11 Depth=1
	ds_load_b32 v18, v27
; %bb.54:                               ;   in Loop: Header=BB87_11 Depth=1
	s_and_not1_saveexec_b32 s3, s3
	s_cbranch_execz .LBB87_56
; %bb.55:                               ;   in Loop: Header=BB87_11 Depth=1
	v_mov_b32_e32 v5, s18
	s_wait_dscnt 0x0
	ds_load_b32 v18, v5
.LBB87_56:                              ;   in Loop: Header=BB87_11 Depth=1
	s_or_b32 exec_lo, exec_lo, s3
.LBB87_57:                              ;   in Loop: Header=BB87_11 Depth=1
	s_delay_alu instid0(SALU_CYCLE_1)
	s_or_b32 exec_lo, exec_lo, s1
	ds_load_b32 v19, v31
	s_wait_storecnt_dscnt 0x0
	s_barrier_signal -1
	s_barrier_wait -1
	s_and_saveexec_b32 s1, s2
	s_cbranch_execz .LBB87_10
; %bb.58:                               ;   in Loop: Header=BB87_11 Depth=1
	ds_store_b32 v25, v18
	ds_store_b32 v26, v19
	s_branch .LBB87_10
.LBB87_59:                              ;   in Loop: Header=BB87_11 Depth=1
                                        ; implicit-def: $vgpr11
                                        ; implicit-def: $vgpr12
                                        ; implicit-def: $vgpr4_vgpr5
	v_dual_mov_b32 v13, v9 :: v_dual_mov_b32 v10, v8
	s_branch .LBB87_42
.LBB87_60:
	s_endpgm
	.section	.rodata,"a",@progbits
	.p2align	6, 0x0
	.amdhsa_kernel _ZN9rocsolver6v33100L17syevj_diag_kernelI19rocblas_complex_numIfEfPS3_EEviT1_iilT0_PT_Pi
		.amdhsa_group_segment_fixed_size 0
		.amdhsa_private_segment_fixed_size 0
		.amdhsa_kernarg_size 312
		.amdhsa_user_sgpr_count 2
		.amdhsa_user_sgpr_dispatch_ptr 0
		.amdhsa_user_sgpr_queue_ptr 0
		.amdhsa_user_sgpr_kernarg_segment_ptr 1
		.amdhsa_user_sgpr_dispatch_id 0
		.amdhsa_user_sgpr_kernarg_preload_length 0
		.amdhsa_user_sgpr_kernarg_preload_offset 0
		.amdhsa_user_sgpr_private_segment_size 0
		.amdhsa_wavefront_size32 1
		.amdhsa_uses_dynamic_stack 0
		.amdhsa_enable_private_segment 0
		.amdhsa_system_sgpr_workgroup_id_x 1
		.amdhsa_system_sgpr_workgroup_id_y 0
		.amdhsa_system_sgpr_workgroup_id_z 1
		.amdhsa_system_sgpr_workgroup_info 0
		.amdhsa_system_vgpr_workitem_id 1
		.amdhsa_next_free_vgpr 42
		.amdhsa_next_free_sgpr 23
		.amdhsa_named_barrier_count 0
		.amdhsa_reserve_vcc 1
		.amdhsa_float_round_mode_32 0
		.amdhsa_float_round_mode_16_64 0
		.amdhsa_float_denorm_mode_32 3
		.amdhsa_float_denorm_mode_16_64 3
		.amdhsa_fp16_overflow 0
		.amdhsa_memory_ordered 1
		.amdhsa_forward_progress 1
		.amdhsa_inst_pref_size 35
		.amdhsa_round_robin_scheduling 0
		.amdhsa_exception_fp_ieee_invalid_op 0
		.amdhsa_exception_fp_denorm_src 0
		.amdhsa_exception_fp_ieee_div_zero 0
		.amdhsa_exception_fp_ieee_overflow 0
		.amdhsa_exception_fp_ieee_underflow 0
		.amdhsa_exception_fp_ieee_inexact 0
		.amdhsa_exception_int_div_zero 0
	.end_amdhsa_kernel
	.section	.text._ZN9rocsolver6v33100L17syevj_diag_kernelI19rocblas_complex_numIfEfPS3_EEviT1_iilT0_PT_Pi,"axG",@progbits,_ZN9rocsolver6v33100L17syevj_diag_kernelI19rocblas_complex_numIfEfPS3_EEviT1_iilT0_PT_Pi,comdat
.Lfunc_end87:
	.size	_ZN9rocsolver6v33100L17syevj_diag_kernelI19rocblas_complex_numIfEfPS3_EEviT1_iilT0_PT_Pi, .Lfunc_end87-_ZN9rocsolver6v33100L17syevj_diag_kernelI19rocblas_complex_numIfEfPS3_EEviT1_iilT0_PT_Pi
                                        ; -- End function
	.set _ZN9rocsolver6v33100L17syevj_diag_kernelI19rocblas_complex_numIfEfPS3_EEviT1_iilT0_PT_Pi.num_vgpr, 42
	.set _ZN9rocsolver6v33100L17syevj_diag_kernelI19rocblas_complex_numIfEfPS3_EEviT1_iilT0_PT_Pi.num_agpr, 0
	.set _ZN9rocsolver6v33100L17syevj_diag_kernelI19rocblas_complex_numIfEfPS3_EEviT1_iilT0_PT_Pi.numbered_sgpr, 23
	.set _ZN9rocsolver6v33100L17syevj_diag_kernelI19rocblas_complex_numIfEfPS3_EEviT1_iilT0_PT_Pi.num_named_barrier, 0
	.set _ZN9rocsolver6v33100L17syevj_diag_kernelI19rocblas_complex_numIfEfPS3_EEviT1_iilT0_PT_Pi.private_seg_size, 0
	.set _ZN9rocsolver6v33100L17syevj_diag_kernelI19rocblas_complex_numIfEfPS3_EEviT1_iilT0_PT_Pi.uses_vcc, 1
	.set _ZN9rocsolver6v33100L17syevj_diag_kernelI19rocblas_complex_numIfEfPS3_EEviT1_iilT0_PT_Pi.uses_flat_scratch, 0
	.set _ZN9rocsolver6v33100L17syevj_diag_kernelI19rocblas_complex_numIfEfPS3_EEviT1_iilT0_PT_Pi.has_dyn_sized_stack, 0
	.set _ZN9rocsolver6v33100L17syevj_diag_kernelI19rocblas_complex_numIfEfPS3_EEviT1_iilT0_PT_Pi.has_recursion, 0
	.set _ZN9rocsolver6v33100L17syevj_diag_kernelI19rocblas_complex_numIfEfPS3_EEviT1_iilT0_PT_Pi.has_indirect_call, 0
	.section	.AMDGPU.csdata,"",@progbits
; Kernel info:
; codeLenInByte = 4460
; TotalNumSgprs: 25
; NumVgprs: 42
; ScratchSize: 0
; MemoryBound: 0
; FloatMode: 240
; IeeeMode: 1
; LDSByteSize: 0 bytes/workgroup (compile time only)
; SGPRBlocks: 0
; VGPRBlocks: 2
; NumSGPRsForWavesPerEU: 25
; NumVGPRsForWavesPerEU: 42
; NamedBarCnt: 0
; Occupancy: 16
; WaveLimiterHint : 0
; COMPUTE_PGM_RSRC2:SCRATCH_EN: 0
; COMPUTE_PGM_RSRC2:USER_SGPR: 2
; COMPUTE_PGM_RSRC2:TRAP_HANDLER: 0
; COMPUTE_PGM_RSRC2:TGID_X_EN: 1
; COMPUTE_PGM_RSRC2:TGID_Y_EN: 0
; COMPUTE_PGM_RSRC2:TGID_Z_EN: 1
; COMPUTE_PGM_RSRC2:TIDIG_COMP_CNT: 1
	.section	.text._ZN9rocsolver6v33100L21syevj_diag_rotate_orgILb0E19rocblas_complex_numIfEfPS3_EEvbiT2_iilPT0_Pi,"axG",@progbits,_ZN9rocsolver6v33100L21syevj_diag_rotate_orgILb0E19rocblas_complex_numIfEfPS3_EEvbiT2_iilPT0_Pi,comdat
	.globl	_ZN9rocsolver6v33100L21syevj_diag_rotate_orgILb0E19rocblas_complex_numIfEfPS3_EEvbiT2_iilPT0_Pi ; -- Begin function _ZN9rocsolver6v33100L21syevj_diag_rotate_orgILb0E19rocblas_complex_numIfEfPS3_EEvbiT2_iilPT0_Pi
	.p2align	8
	.type	_ZN9rocsolver6v33100L21syevj_diag_rotate_orgILb0E19rocblas_complex_numIfEfPS3_EEvbiT2_iilPT0_Pi,@function
_ZN9rocsolver6v33100L21syevj_diag_rotate_orgILb0E19rocblas_complex_numIfEfPS3_EEvbiT2_iilPT0_Pi: ; @_ZN9rocsolver6v33100L21syevj_diag_rotate_orgILb0E19rocblas_complex_numIfEfPS3_EEvbiT2_iilPT0_Pi
; %bb.0:
	s_clause 0x1
	s_load_b64 s[2:3], s[0:1], 0x0
	s_load_b64 s[4:5], s[0:1], 0x28
	s_wait_kmcnt 0x0
	s_bitcmp1_b32 s2, 0
	s_getreg_b32 s2, hwreg(HW_REG_IB_STS2, 6, 4)
	s_cselect_b32 s6, -1, 0
	s_bfe_u32 s8, ttmp6, 0x40014
	s_bfe_u32 s11, ttmp6, 0x40010
	;; [unrolled: 1-line block ×3, first 2 shown]
	s_lshr_b32 s7, ttmp7, 16
	s_and_b32 s10, ttmp7, 0xffff
	s_add_co_i32 s8, s8, 1
	s_add_co_i32 s11, s11, 1
	;; [unrolled: 1-line block ×3, first 2 shown]
	s_bfe_u32 s9, ttmp6, 0x40008
	s_bfe_u32 s12, ttmp6, 0x40004
	s_and_b32 s13, ttmp6, 15
	s_mul_i32 s8, s7, s8
	s_mul_i32 s11, s10, s11
	s_mul_i32 s14, ttmp9, s14
	s_add_co_i32 s9, s9, s8
	s_add_co_i32 s8, s12, s11
	;; [unrolled: 1-line block ×3, first 2 shown]
	s_cmp_eq_u32 s2, 0
	s_cselect_b32 s12, s7, s9
	s_cselect_b32 s17, ttmp9, s13
	s_load_b32 s2, s[4:5], s12 offset:0x4 scale_offset
	s_cselect_b32 s16, s10, s8
	s_mov_b32 s13, 0
	s_wait_kmcnt 0x0
	s_cmp_lg_u32 s2, 0
	s_cselect_b32 s2, -1, 0
	s_cmp_eq_u32 s17, s16
	s_cselect_b32 s4, -1, 0
	s_delay_alu instid0(SALU_CYCLE_1) | instskip(NEXT) | instid1(SALU_CYCLE_1)
	s_and_b32 s4, s4, s6
	s_or_b32 s2, s4, s2
	s_delay_alu instid0(SALU_CYCLE_1)
	s_and_b32 vcc_lo, exec_lo, s2
	s_cbranch_vccnz .LBB88_7
; %bb.1:
	s_load_b32 s2, s[0:1], 0x3c
	v_bfe_u32 v1, v0, 10, 10
	v_and_b32_e32 v0, 0x3ff, v0
	s_mov_b32 s4, exec_lo
	s_wait_kmcnt 0x0
	s_and_b32 s15, s2, 0xffff
	s_delay_alu instid0(SALU_CYCLE_1) | instskip(SKIP_1) | instid1(SALU_CYCLE_1)
	v_mad_u32 v4, s16, s15, v1
	s_mul_i32 s2, s17, s15
	v_add_nc_u32_e32 v5, s2, v0
	s_delay_alu instid0(VALU_DEP_1) | instskip(NEXT) | instid1(VALU_DEP_1)
	v_max_i32_e32 v2, v5, v4
	v_cmpx_gt_i32_e64 s3, v2
	s_cbranch_execz .LBB88_7
; %bb.2:
	s_load_b256 s[4:11], s[0:1], 0x8
	s_sub_co_i32 s2, s3, s2
	s_delay_alu instid0(SALU_CYCLE_1)
	s_min_i32 s14, s2, s15
	s_wait_kmcnt 0x0
	s_mul_u64 s[2:3], s[8:9], s[12:13]
	s_ashr_i32 s9, s6, 31
	s_lshl_b64 s[2:3], s[2:3], 3
	s_mov_b32 s8, s6
	s_add_nc_u64 s[2:3], s[4:5], s[2:3]
	s_lshl_b64 s[4:5], s[8:9], 3
	s_cmp_lt_i32 s14, 1
	s_add_nc_u64 s[2:3], s[2:3], s[4:5]
	s_cbranch_scc1 .LBB88_5
; %bb.3:
	s_add_nc_u64 s[0:1], s[0:1], 48
	v_lshlrev_b32_e32 v0, 3, v0
	s_load_b32 s0, s[0:1], 0x0
	s_wait_kmcnt 0x0
	s_mul_i32 s0, s0, s12
	s_delay_alu instid0(SALU_CYCLE_1)
	s_add_co_i32 s0, s0, s17
	s_mul_i32 s17, s17, s7
	s_mul_i32 s0, s0, s15
	s_add_co_i32 s16, s16, s17
	s_mul_i32 s0, s0, s15
	v_mad_u32 v6, s16, s15, v1
	s_ashr_i32 s1, s0, 31
	v_mov_b32_e32 v1, 0
	s_lshl_b64 s[0:1], s[0:1], 3
	s_delay_alu instid0(SALU_CYCLE_1)
	s_add_nc_u64 s[0:1], s[10:11], s[0:1]
	s_delay_alu instid0(VALU_DEP_1) | instid1(SALU_CYCLE_1)
	v_add_nc_u64_e32 v[2:3], s[0:1], v[0:1]
	v_mov_b32_e32 v0, v1
	s_mov_b32 s1, 0
	s_lshl_b32 s0, s15, 3
.LBB88_4:                               ; =>This Inner Loop Header: Depth=1
	global_load_b64 v[8:9], v[2:3], off
	global_load_b64 v[10:11], v6, s[2:3] scale_offset
	s_wait_xcnt 0x1
	v_add_nc_u64_e32 v[2:3], s[0:1], v[2:3]
	s_add_co_i32 s14, s14, -1
	s_wait_xcnt 0x0
	v_add_nc_u32_e32 v6, s7, v6
	s_cmp_lg_u32 s14, 0
	s_wait_loadcnt 0x0
	v_pk_mul_f32 v[12:13], v[10:11], v[8:9] op_sel:[1,1] op_sel_hi:[0,1]
	s_delay_alu instid0(VALU_DEP_1) | instskip(SKIP_1) | instid1(VALU_DEP_2)
	v_pk_fma_f32 v[14:15], v[10:11], v[8:9], v[12:13] op_sel_hi:[1,0,1]
	v_pk_fma_f32 v[8:9], v[10:11], v[8:9], v[12:13] neg_lo:[0,0,1] neg_hi:[0,0,1]
	v_mov_b32_e32 v9, v15
	s_delay_alu instid0(VALU_DEP_1)
	v_pk_add_f32 v[0:1], v[0:1], v[8:9]
	s_cbranch_scc1 .LBB88_4
	s_branch .LBB88_6
.LBB88_5:
	v_mov_b32_e32 v1, 0
	s_delay_alu instid0(VALU_DEP_1)
	v_mov_b32_e32 v0, v1
.LBB88_6:
	v_mad_u32 v2, v5, s7, v4
	s_barrier_signal -1
	s_barrier_wait -1
	global_store_b64 v2, v[0:1], s[2:3] scale_offset
.LBB88_7:
	s_endpgm
	.section	.rodata,"a",@progbits
	.p2align	6, 0x0
	.amdhsa_kernel _ZN9rocsolver6v33100L21syevj_diag_rotate_orgILb0E19rocblas_complex_numIfEfPS3_EEvbiT2_iilPT0_Pi
		.amdhsa_group_segment_fixed_size 0
		.amdhsa_private_segment_fixed_size 0
		.amdhsa_kernarg_size 304
		.amdhsa_user_sgpr_count 2
		.amdhsa_user_sgpr_dispatch_ptr 0
		.amdhsa_user_sgpr_queue_ptr 0
		.amdhsa_user_sgpr_kernarg_segment_ptr 1
		.amdhsa_user_sgpr_dispatch_id 0
		.amdhsa_user_sgpr_kernarg_preload_length 0
		.amdhsa_user_sgpr_kernarg_preload_offset 0
		.amdhsa_user_sgpr_private_segment_size 0
		.amdhsa_wavefront_size32 1
		.amdhsa_uses_dynamic_stack 0
		.amdhsa_enable_private_segment 0
		.amdhsa_system_sgpr_workgroup_id_x 1
		.amdhsa_system_sgpr_workgroup_id_y 1
		.amdhsa_system_sgpr_workgroup_id_z 1
		.amdhsa_system_sgpr_workgroup_info 0
		.amdhsa_system_vgpr_workitem_id 1
		.amdhsa_next_free_vgpr 16
		.amdhsa_next_free_sgpr 18
		.amdhsa_named_barrier_count 0
		.amdhsa_reserve_vcc 1
		.amdhsa_float_round_mode_32 0
		.amdhsa_float_round_mode_16_64 0
		.amdhsa_float_denorm_mode_32 3
		.amdhsa_float_denorm_mode_16_64 3
		.amdhsa_fp16_overflow 0
		.amdhsa_memory_ordered 1
		.amdhsa_forward_progress 1
		.amdhsa_inst_pref_size 5
		.amdhsa_round_robin_scheduling 0
		.amdhsa_exception_fp_ieee_invalid_op 0
		.amdhsa_exception_fp_denorm_src 0
		.amdhsa_exception_fp_ieee_div_zero 0
		.amdhsa_exception_fp_ieee_overflow 0
		.amdhsa_exception_fp_ieee_underflow 0
		.amdhsa_exception_fp_ieee_inexact 0
		.amdhsa_exception_int_div_zero 0
	.end_amdhsa_kernel
	.section	.text._ZN9rocsolver6v33100L21syevj_diag_rotate_orgILb0E19rocblas_complex_numIfEfPS3_EEvbiT2_iilPT0_Pi,"axG",@progbits,_ZN9rocsolver6v33100L21syevj_diag_rotate_orgILb0E19rocblas_complex_numIfEfPS3_EEvbiT2_iilPT0_Pi,comdat
.Lfunc_end88:
	.size	_ZN9rocsolver6v33100L21syevj_diag_rotate_orgILb0E19rocblas_complex_numIfEfPS3_EEvbiT2_iilPT0_Pi, .Lfunc_end88-_ZN9rocsolver6v33100L21syevj_diag_rotate_orgILb0E19rocblas_complex_numIfEfPS3_EEvbiT2_iilPT0_Pi
                                        ; -- End function
	.set _ZN9rocsolver6v33100L21syevj_diag_rotate_orgILb0E19rocblas_complex_numIfEfPS3_EEvbiT2_iilPT0_Pi.num_vgpr, 16
	.set _ZN9rocsolver6v33100L21syevj_diag_rotate_orgILb0E19rocblas_complex_numIfEfPS3_EEvbiT2_iilPT0_Pi.num_agpr, 0
	.set _ZN9rocsolver6v33100L21syevj_diag_rotate_orgILb0E19rocblas_complex_numIfEfPS3_EEvbiT2_iilPT0_Pi.numbered_sgpr, 18
	.set _ZN9rocsolver6v33100L21syevj_diag_rotate_orgILb0E19rocblas_complex_numIfEfPS3_EEvbiT2_iilPT0_Pi.num_named_barrier, 0
	.set _ZN9rocsolver6v33100L21syevj_diag_rotate_orgILb0E19rocblas_complex_numIfEfPS3_EEvbiT2_iilPT0_Pi.private_seg_size, 0
	.set _ZN9rocsolver6v33100L21syevj_diag_rotate_orgILb0E19rocblas_complex_numIfEfPS3_EEvbiT2_iilPT0_Pi.uses_vcc, 1
	.set _ZN9rocsolver6v33100L21syevj_diag_rotate_orgILb0E19rocblas_complex_numIfEfPS3_EEvbiT2_iilPT0_Pi.uses_flat_scratch, 0
	.set _ZN9rocsolver6v33100L21syevj_diag_rotate_orgILb0E19rocblas_complex_numIfEfPS3_EEvbiT2_iilPT0_Pi.has_dyn_sized_stack, 0
	.set _ZN9rocsolver6v33100L21syevj_diag_rotate_orgILb0E19rocblas_complex_numIfEfPS3_EEvbiT2_iilPT0_Pi.has_recursion, 0
	.set _ZN9rocsolver6v33100L21syevj_diag_rotate_orgILb0E19rocblas_complex_numIfEfPS3_EEvbiT2_iilPT0_Pi.has_indirect_call, 0
	.section	.AMDGPU.csdata,"",@progbits
; Kernel info:
; codeLenInByte = 584
; TotalNumSgprs: 20
; NumVgprs: 16
; ScratchSize: 0
; MemoryBound: 0
; FloatMode: 240
; IeeeMode: 1
; LDSByteSize: 0 bytes/workgroup (compile time only)
; SGPRBlocks: 0
; VGPRBlocks: 0
; NumSGPRsForWavesPerEU: 20
; NumVGPRsForWavesPerEU: 16
; NamedBarCnt: 0
; Occupancy: 16
; WaveLimiterHint : 0
; COMPUTE_PGM_RSRC2:SCRATCH_EN: 0
; COMPUTE_PGM_RSRC2:USER_SGPR: 2
; COMPUTE_PGM_RSRC2:TRAP_HANDLER: 0
; COMPUTE_PGM_RSRC2:TGID_X_EN: 1
; COMPUTE_PGM_RSRC2:TGID_Y_EN: 1
; COMPUTE_PGM_RSRC2:TGID_Z_EN: 1
; COMPUTE_PGM_RSRC2:TIDIG_COMP_CNT: 1
	.section	.text._ZN9rocsolver6v33100L21syevj_diag_rotate_orgILb1E19rocblas_complex_numIfEfPS3_EEvbiT2_iilPT0_Pi,"axG",@progbits,_ZN9rocsolver6v33100L21syevj_diag_rotate_orgILb1E19rocblas_complex_numIfEfPS3_EEvbiT2_iilPT0_Pi,comdat
	.globl	_ZN9rocsolver6v33100L21syevj_diag_rotate_orgILb1E19rocblas_complex_numIfEfPS3_EEvbiT2_iilPT0_Pi ; -- Begin function _ZN9rocsolver6v33100L21syevj_diag_rotate_orgILb1E19rocblas_complex_numIfEfPS3_EEvbiT2_iilPT0_Pi
	.p2align	8
	.type	_ZN9rocsolver6v33100L21syevj_diag_rotate_orgILb1E19rocblas_complex_numIfEfPS3_EEvbiT2_iilPT0_Pi,@function
_ZN9rocsolver6v33100L21syevj_diag_rotate_orgILb1E19rocblas_complex_numIfEfPS3_EEvbiT2_iilPT0_Pi: ; @_ZN9rocsolver6v33100L21syevj_diag_rotate_orgILb1E19rocblas_complex_numIfEfPS3_EEvbiT2_iilPT0_Pi
; %bb.0:
	s_clause 0x1
	s_load_b64 s[2:3], s[0:1], 0x0
	s_load_b64 s[4:5], s[0:1], 0x28
	s_wait_kmcnt 0x0
	s_bitcmp1_b32 s2, 0
	s_getreg_b32 s2, hwreg(HW_REG_IB_STS2, 6, 4)
	s_cselect_b32 s6, -1, 0
	s_bfe_u32 s8, ttmp6, 0x40014
	s_bfe_u32 s11, ttmp6, 0x40010
	;; [unrolled: 1-line block ×3, first 2 shown]
	s_lshr_b32 s7, ttmp7, 16
	s_and_b32 s10, ttmp7, 0xffff
	s_add_co_i32 s8, s8, 1
	s_add_co_i32 s11, s11, 1
	;; [unrolled: 1-line block ×3, first 2 shown]
	s_bfe_u32 s9, ttmp6, 0x40008
	s_bfe_u32 s12, ttmp6, 0x40004
	s_and_b32 s13, ttmp6, 15
	s_mul_i32 s8, s7, s8
	s_mul_i32 s11, s10, s11
	s_mul_i32 s14, ttmp9, s14
	s_add_co_i32 s9, s9, s8
	s_add_co_i32 s8, s12, s11
	;; [unrolled: 1-line block ×3, first 2 shown]
	s_cmp_eq_u32 s2, 0
	s_cselect_b32 s12, s7, s9
	s_cselect_b32 s15, ttmp9, s13
	s_load_b32 s4, s[4:5], s12 offset:0x4 scale_offset
	s_cselect_b32 s2, s10, s8
	s_mov_b32 s13, 0
	s_wait_kmcnt 0x0
	s_cmp_lg_u32 s4, 0
	s_cselect_b32 s4, -1, 0
	s_cmp_eq_u32 s15, s2
	s_cselect_b32 s5, -1, 0
	s_delay_alu instid0(SALU_CYCLE_1) | instskip(NEXT) | instid1(SALU_CYCLE_1)
	s_and_b32 s5, s5, s6
	s_or_b32 s4, s5, s4
	s_delay_alu instid0(SALU_CYCLE_1)
	s_and_b32 vcc_lo, exec_lo, s4
	s_cbranch_vccnz .LBB89_7
; %bb.1:
	s_load_b32 s4, s[0:1], 0x3c
	v_bfe_u32 v1, v0, 10, 10
	v_and_b32_e32 v0, 0x3ff, v0
	s_wait_kmcnt 0x0
	s_and_b32 s14, s4, 0xffff
	s_delay_alu instid0(VALU_DEP_2) | instid1(SALU_CYCLE_1)
	v_mad_u32 v1, s2, s14, v1
	s_mul_i32 s16, s15, s14
	s_mov_b32 s2, exec_lo
	v_add_nc_u32_e32 v4, s16, v0
	s_delay_alu instid0(VALU_DEP_1) | instskip(NEXT) | instid1(VALU_DEP_1)
	v_max_i32_e32 v2, v4, v1
	v_cmpx_gt_i32_e64 s3, v2
	s_cbranch_execz .LBB89_7
; %bb.2:
	s_load_b256 s[4:11], s[0:1], 0x8
	s_sub_co_i32 s2, s3, s16
	s_wait_kmcnt 0x0
	v_mul_lo_u32 v5, v1, s7
	s_min_i32 s7, s2, s14
	s_mul_u64 s[2:3], s[8:9], s[12:13]
	s_ashr_i32 s9, s6, 31
	s_lshl_b64 s[2:3], s[2:3], 3
	s_mov_b32 s8, s6
	s_add_nc_u64 s[2:3], s[4:5], s[2:3]
	s_lshl_b64 s[4:5], s[8:9], 3
	s_cmp_lt_i32 s7, 1
	s_add_nc_u64 s[2:3], s[2:3], s[4:5]
	s_cbranch_scc1 .LBB89_5
; %bb.3:
	s_add_nc_u64 s[0:1], s[0:1], 48
	v_dual_mov_b32 v1, 0 :: v_dual_lshlrev_b32 v0, 3, v0
	s_load_b32 s0, s[0:1], 0x0
	v_add_nc_u32_e32 v6, s16, v5
	s_wait_kmcnt 0x0
	s_mul_i32 s0, s0, s12
	s_delay_alu instid0(SALU_CYCLE_1) | instskip(NEXT) | instid1(SALU_CYCLE_1)
	s_add_co_i32 s0, s0, s15
	s_mul_i32 s0, s0, s14
	s_delay_alu instid0(SALU_CYCLE_1) | instskip(NEXT) | instid1(SALU_CYCLE_1)
	s_mul_i32 s0, s0, s14
	s_ashr_i32 s1, s0, 31
	s_delay_alu instid0(SALU_CYCLE_1) | instskip(NEXT) | instid1(SALU_CYCLE_1)
	s_lshl_b64 s[0:1], s[0:1], 3
	s_add_nc_u64 s[0:1], s[10:11], s[0:1]
	s_delay_alu instid0(SALU_CYCLE_1) | instskip(SKIP_3) | instid1(VALU_DEP_2)
	v_add_nc_u64_e32 v[2:3], s[0:1], v[0:1]
	v_mov_b32_e32 v0, v1
	s_mov_b32 s1, 0
	s_lshl_b32 s0, s14, 3
	v_add_nc_u64_e32 v[2:3], 4, v[2:3]
.LBB89_4:                               ; =>This Inner Loop Header: Depth=1
	global_load_b64 v[8:9], v[2:3], off offset:-4
	global_load_b64 v[10:11], v6, s[2:3] scale_offset
	s_wait_xcnt 0x1
	v_add_nc_u64_e32 v[2:3], s[0:1], v[2:3]
	s_add_co_i32 s7, s7, -1
	s_wait_xcnt 0x0
	v_add_nc_u32_e32 v6, 1, v6
	s_cmp_lg_u32 s7, 0
	s_wait_loadcnt 0x0
	v_pk_mul_f32 v[12:13], v[8:9], v[10:11] op_sel:[1,1] op_sel_hi:[1,0]
	s_delay_alu instid0(VALU_DEP_1) | instskip(SKIP_1) | instid1(VALU_DEP_2)
	v_pk_fma_f32 v[14:15], v[8:9], v[10:11], v[12:13] op_sel_hi:[0,1,1] neg_lo:[0,0,1] neg_hi:[0,0,1]
	v_pk_fma_f32 v[8:9], v[8:9], v[10:11], v[12:13]
	v_mov_b32_e32 v9, v15
	s_delay_alu instid0(VALU_DEP_1)
	v_pk_add_f32 v[0:1], v[0:1], v[8:9]
	s_cbranch_scc1 .LBB89_4
	s_branch .LBB89_6
.LBB89_5:
	v_mov_b32_e32 v1, 0
	s_delay_alu instid0(VALU_DEP_1)
	v_mov_b32_e32 v0, v1
.LBB89_6:
	v_add_nc_u32_e32 v2, v5, v4
	s_barrier_signal -1
	s_barrier_wait -1
	global_store_b64 v2, v[0:1], s[2:3] scale_offset
.LBB89_7:
	s_endpgm
	.section	.rodata,"a",@progbits
	.p2align	6, 0x0
	.amdhsa_kernel _ZN9rocsolver6v33100L21syevj_diag_rotate_orgILb1E19rocblas_complex_numIfEfPS3_EEvbiT2_iilPT0_Pi
		.amdhsa_group_segment_fixed_size 0
		.amdhsa_private_segment_fixed_size 0
		.amdhsa_kernarg_size 304
		.amdhsa_user_sgpr_count 2
		.amdhsa_user_sgpr_dispatch_ptr 0
		.amdhsa_user_sgpr_queue_ptr 0
		.amdhsa_user_sgpr_kernarg_segment_ptr 1
		.amdhsa_user_sgpr_dispatch_id 0
		.amdhsa_user_sgpr_kernarg_preload_length 0
		.amdhsa_user_sgpr_kernarg_preload_offset 0
		.amdhsa_user_sgpr_private_segment_size 0
		.amdhsa_wavefront_size32 1
		.amdhsa_uses_dynamic_stack 0
		.amdhsa_enable_private_segment 0
		.amdhsa_system_sgpr_workgroup_id_x 1
		.amdhsa_system_sgpr_workgroup_id_y 1
		.amdhsa_system_sgpr_workgroup_id_z 1
		.amdhsa_system_sgpr_workgroup_info 0
		.amdhsa_system_vgpr_workitem_id 1
		.amdhsa_next_free_vgpr 16
		.amdhsa_next_free_sgpr 17
		.amdhsa_named_barrier_count 0
		.amdhsa_reserve_vcc 1
		.amdhsa_float_round_mode_32 0
		.amdhsa_float_round_mode_16_64 0
		.amdhsa_float_denorm_mode_32 3
		.amdhsa_float_denorm_mode_16_64 3
		.amdhsa_fp16_overflow 0
		.amdhsa_memory_ordered 1
		.amdhsa_forward_progress 1
		.amdhsa_inst_pref_size 5
		.amdhsa_round_robin_scheduling 0
		.amdhsa_exception_fp_ieee_invalid_op 0
		.amdhsa_exception_fp_denorm_src 0
		.amdhsa_exception_fp_ieee_div_zero 0
		.amdhsa_exception_fp_ieee_overflow 0
		.amdhsa_exception_fp_ieee_underflow 0
		.amdhsa_exception_fp_ieee_inexact 0
		.amdhsa_exception_int_div_zero 0
	.end_amdhsa_kernel
	.section	.text._ZN9rocsolver6v33100L21syevj_diag_rotate_orgILb1E19rocblas_complex_numIfEfPS3_EEvbiT2_iilPT0_Pi,"axG",@progbits,_ZN9rocsolver6v33100L21syevj_diag_rotate_orgILb1E19rocblas_complex_numIfEfPS3_EEvbiT2_iilPT0_Pi,comdat
.Lfunc_end89:
	.size	_ZN9rocsolver6v33100L21syevj_diag_rotate_orgILb1E19rocblas_complex_numIfEfPS3_EEvbiT2_iilPT0_Pi, .Lfunc_end89-_ZN9rocsolver6v33100L21syevj_diag_rotate_orgILb1E19rocblas_complex_numIfEfPS3_EEvbiT2_iilPT0_Pi
                                        ; -- End function
	.set _ZN9rocsolver6v33100L21syevj_diag_rotate_orgILb1E19rocblas_complex_numIfEfPS3_EEvbiT2_iilPT0_Pi.num_vgpr, 16
	.set _ZN9rocsolver6v33100L21syevj_diag_rotate_orgILb1E19rocblas_complex_numIfEfPS3_EEvbiT2_iilPT0_Pi.num_agpr, 0
	.set _ZN9rocsolver6v33100L21syevj_diag_rotate_orgILb1E19rocblas_complex_numIfEfPS3_EEvbiT2_iilPT0_Pi.numbered_sgpr, 17
	.set _ZN9rocsolver6v33100L21syevj_diag_rotate_orgILb1E19rocblas_complex_numIfEfPS3_EEvbiT2_iilPT0_Pi.num_named_barrier, 0
	.set _ZN9rocsolver6v33100L21syevj_diag_rotate_orgILb1E19rocblas_complex_numIfEfPS3_EEvbiT2_iilPT0_Pi.private_seg_size, 0
	.set _ZN9rocsolver6v33100L21syevj_diag_rotate_orgILb1E19rocblas_complex_numIfEfPS3_EEvbiT2_iilPT0_Pi.uses_vcc, 1
	.set _ZN9rocsolver6v33100L21syevj_diag_rotate_orgILb1E19rocblas_complex_numIfEfPS3_EEvbiT2_iilPT0_Pi.uses_flat_scratch, 0
	.set _ZN9rocsolver6v33100L21syevj_diag_rotate_orgILb1E19rocblas_complex_numIfEfPS3_EEvbiT2_iilPT0_Pi.has_dyn_sized_stack, 0
	.set _ZN9rocsolver6v33100L21syevj_diag_rotate_orgILb1E19rocblas_complex_numIfEfPS3_EEvbiT2_iilPT0_Pi.has_recursion, 0
	.set _ZN9rocsolver6v33100L21syevj_diag_rotate_orgILb1E19rocblas_complex_numIfEfPS3_EEvbiT2_iilPT0_Pi.has_indirect_call, 0
	.section	.AMDGPU.csdata,"",@progbits
; Kernel info:
; codeLenInByte = 580
; TotalNumSgprs: 19
; NumVgprs: 16
; ScratchSize: 0
; MemoryBound: 0
; FloatMode: 240
; IeeeMode: 1
; LDSByteSize: 0 bytes/workgroup (compile time only)
; SGPRBlocks: 0
; VGPRBlocks: 0
; NumSGPRsForWavesPerEU: 19
; NumVGPRsForWavesPerEU: 16
; NamedBarCnt: 0
; Occupancy: 16
; WaveLimiterHint : 0
; COMPUTE_PGM_RSRC2:SCRATCH_EN: 0
; COMPUTE_PGM_RSRC2:USER_SGPR: 2
; COMPUTE_PGM_RSRC2:TRAP_HANDLER: 0
; COMPUTE_PGM_RSRC2:TGID_X_EN: 1
; COMPUTE_PGM_RSRC2:TGID_Y_EN: 1
; COMPUTE_PGM_RSRC2:TGID_Z_EN: 1
; COMPUTE_PGM_RSRC2:TIDIG_COMP_CNT: 1
	.section	.text._ZN9rocsolver6v33100L17syevj_diag_rotateILb0E19rocblas_complex_numIfEfPS3_EEvbiiT2_iilPT0_Pii,"axG",@progbits,_ZN9rocsolver6v33100L17syevj_diag_rotateILb0E19rocblas_complex_numIfEfPS3_EEvbiiT2_iilPT0_Pii,comdat
	.globl	_ZN9rocsolver6v33100L17syevj_diag_rotateILb0E19rocblas_complex_numIfEfPS3_EEvbiiT2_iilPT0_Pii ; -- Begin function _ZN9rocsolver6v33100L17syevj_diag_rotateILb0E19rocblas_complex_numIfEfPS3_EEvbiiT2_iilPT0_Pii
	.p2align	8
	.type	_ZN9rocsolver6v33100L17syevj_diag_rotateILb0E19rocblas_complex_numIfEfPS3_EEvbiiT2_iilPT0_Pii,@function
_ZN9rocsolver6v33100L17syevj_diag_rotateILb0E19rocblas_complex_numIfEfPS3_EEvbiiT2_iilPT0_Pii: ; @_ZN9rocsolver6v33100L17syevj_diag_rotateILb0E19rocblas_complex_numIfEfPS3_EEvbiiT2_iilPT0_Pii
; %bb.0:
	s_load_b96 s[24:26], s[0:1], 0x0
	s_mov_b64 s[22:23], s[0:1]
	v_mov_b32_e32 v41, v0
	s_mov_b32 s29, 0
	s_mov_b32 s32, 0
	s_wait_kmcnt 0x0
	s_abs_i32 s21, s25
	s_mul_i32 s27, s25, s25
	s_cvt_f32_u32 s0, s21
	s_cmp_lt_u32 s27, 0x2001
	s_delay_alu instid0(SALU_CYCLE_2) | instskip(SKIP_2) | instid1(TRANS32_DEP_1)
	v_rcp_iflag_f32_e32 v0, s0
	s_mov_b32 s0, -1
	v_nop
	v_readfirstlane_b32 s28, v0
	s_cbranch_scc1 .LBB90_2
; %bb.1:
	s_get_pc_i64 s[0:1]
	s_add_nc_u64 s[0:1], s[0:1], __PRETTY_FUNCTION__._ZN9rocsolver6v33100L17syevj_diag_rotateILb0E19rocblas_complex_numIfEfPS3_EEvbiiT2_iilPT0_Pii@rel64+4
	s_add_nc_u64 s[8:9], s[22:23], 64
	v_dual_mov_b32 v0, s0 :: v_dual_mov_b32 v1, s1
	s_get_pc_i64 s[2:3]
	s_add_nc_u64 s[2:3], s[2:3], __assert_fail@rel64+4
	s_delay_alu instid0(SALU_CYCLE_1)
	s_swap_pc_i64 s[30:31], s[2:3]
	; divergent unreachable
	s_mov_b32 s0, 0
.LBB90_2:
	s_delay_alu instid0(SALU_CYCLE_1)
	s_and_not1_b32 vcc_lo, exec_lo, s0
	s_cbranch_vccnz .LBB90_36
; %bb.3:
	s_load_b32 s30, s[22:23], 0x38
	s_bfe_u32 s0, ttmp6, 0x40014
	s_lshr_b32 s1, ttmp7, 16
	s_add_co_i32 s0, s0, 1
	s_bfe_u32 s3, ttmp6, 0x40008
	s_mul_i32 s2, s1, s0
	s_getreg_b32 s0, hwreg(HW_REG_IB_STS2, 6, 4)
	s_add_co_i32 s3, s3, s2
	s_cmp_eq_u32 s0, 0
	s_cselect_b32 s16, s1, s3
	s_mov_b32 s3, 0
	s_wait_kmcnt 0x0
	s_cmp_ge_u32 s16, s30
	s_cbranch_scc1 .LBB90_36
; %bb.4:
	s_mul_f32 s1, s28, 0x4f7ffffe
	s_clause 0x1
	s_load_b128 s[12:15], s[22:23], 0x40
	s_load_b64 s[18:19], s[22:23], 0x30
	s_sub_co_i32 s2, 0, s21
	s_cvt_u32_f32 s1, s1
	s_add_co_i32 s4, s26, -1
	s_ashr_i32 s17, s25, 31
	s_abs_i32 s28, s4
	s_mul_i32 s2, s2, s1
	s_ashr_i32 s20, s4, 31
	s_mul_hi_u32 s2, s1, s2
	s_mov_b32 s5, s29
	s_add_co_i32 s4, s1, s2
	s_cmp_lt_u32 s27, 0x1001
	s_mul_u64 s[34:35], s[28:29], s[4:5]
	s_cselect_b32 s31, -1, 0
	s_bitcmp1_b32 s24, 0
	v_bfe_u32 v7, v41, 10, 10
	s_cselect_b32 s24, -1, 0
	s_bfe_u32 s1, ttmp6, 0x40010
	s_bfe_u32 s4, ttmp6, 0x4000c
	s_and_b32 s2, ttmp7, 0xffff
	s_add_co_i32 s1, s1, 1
	s_add_co_i32 s4, s4, 1
	s_mul_i32 s1, s2, s1
	s_bfe_u32 s5, ttmp6, 0x40004
	s_and_b32 s6, ttmp6, 15
	s_mul_i32 s4, ttmp9, s4
	s_wait_kmcnt 0x0
	s_lshr_b32 s29, s15, 16
	s_and_b32 s15, s15, 0xffff
	s_add_co_i32 s1, s5, s1
	s_add_co_i32 s33, s6, s4
	s_load_b256 s[4:11], s[22:23], 0x10
	s_cmp_eq_u32 s0, 0
	s_mul_i32 s0, s35, s21
	s_cselect_b32 s33, ttmp9, s33
	s_cselect_b32 s34, s2, s1
	s_sub_co_i32 s0, s28, s0
	s_xor_b32 s1, s20, s17
	s_add_co_i32 s2, s35, 1
	s_sub_co_i32 s17, s0, s21
	s_cmp_ge_u32 s0, s21
	v_mul_lo_u32 v0, v7, s25
	s_cselect_b32 s2, s2, s35
	s_cselect_b32 s0, s17, s0
	s_add_co_i32 s17, s2, 1
	s_cmp_ge_u32 s0, s21
	v_and_b32_e32 v6, 0x3ff, v41
	s_cselect_b32 s0, s17, s2
	s_mov_b64 s[36:37], src_shared_base
	s_xor_b32 s0, s0, s1
	s_mul_i32 s39, s29, s15
	s_sub_co_i32 s28, s0, s1
	s_lshl_b32 s0, s27, 3
	s_add_co_i32 s35, s28, 1
	s_add_co_i32 s36, s0, 0
	s_wait_kmcnt 0x0
	s_ashr_i32 s23, s6, 31
	v_mad_u32_u24 v8, v7, s15, v6
	v_dual_lshlrev_b32 v0, 3, v0 :: v_dual_lshlrev_b32 v1, 3, v6
	s_cmp_lt_u32 s33, s35
	s_mul_i32 s0, s28, s25
	s_cselect_b32 s38, -1, 0
	s_sub_co_i32 s26, s26, s0
	s_mov_b32 s22, s6
	s_cmp_lt_u32 s34, s35
	v_cmp_gt_u32_e64 s0, s27, v8
	v_lshl_add_u32 v9, v8, 3, s36
	v_add3_u32 v10, v0, v1, 0
	v_dual_add_nc_u32 v11, 0, v1 :: v_dual_mov_b32 v1, 0
	s_cselect_b32 s40, -1, 0
	s_ashr_i32 s21, s7, 31
	s_mov_b32 s20, s7
	s_lshl_b64 s[6:7], s[22:23], 3
	s_mul_i32 s1, s25, s29
	s_add_nc_u64 s[4:5], s[4:5], s[6:7]
	s_lshl_b32 s41, s39, 3
	s_lshl_b32 s42, s1, 3
	s_lshl_b32 s43, s15, 3
	s_mul_i32 s44, s34, s25
	s_mul_i32 s45, s13, s25
	s_lshl_b32 s46, s25, 3
	s_branch .LBB90_6
.LBB90_5:                               ;   in Loop: Header=BB90_6 Depth=1
	s_add_co_i32 s16, s16, s14
	s_delay_alu instid0(SALU_CYCLE_1)
	s_cmp_lt_u32 s16, s30
	s_cbranch_scc0 .LBB90_36
.LBB90_6:                               ; =>This Loop Header: Depth=1
                                        ;     Child Loop BB90_10 Depth 2
                                        ;       Child Loop BB90_13 Depth 3
                                        ;       Child Loop BB90_19 Depth 3
                                        ;         Child Loop BB90_23 Depth 4
                                        ;           Child Loop BB90_25 Depth 5
                                        ;         Child Loop BB90_29 Depth 4
                                        ;           Child Loop BB90_33 Depth 5
                                        ;             Child Loop BB90_35 Depth 6
	s_wait_xcnt 0x0
	v_mov_b32_e32 v0, s16
	global_load_b32 v0, v0, s[18:19] offset:4 scale_offset
	s_wait_loadcnt 0x0
	v_cmp_ne_u32_e32 vcc_lo, 0, v0
	s_cbranch_vccnz .LBB90_5
; %bb.7:                                ;   in Loop: Header=BB90_6 Depth=1
	s_and_not1_b32 vcc_lo, exec_lo, s38
	s_cbranch_vccnz .LBB90_5
; %bb.8:                                ;   in Loop: Header=BB90_6 Depth=1
	s_mov_b32 s17, s3
	s_mov_b32 s47, s33
	s_mul_u64 s[6:7], s[8:9], s[16:17]
	s_mul_i32 s17, s16, s35
	s_lshl_b64 s[6:7], s[6:7], 3
	s_delay_alu instid0(SALU_CYCLE_1)
	s_add_nc_u64 s[6:7], s[4:5], s[6:7]
	s_branch .LBB90_10
.LBB90_9:                               ;   in Loop: Header=BB90_10 Depth=2
	s_add_co_i32 s47, s47, s12
	s_delay_alu instid0(SALU_CYCLE_1)
	s_cmp_ge_u32 s47, s35
	s_cbranch_scc1 .LBB90_5
.LBB90_10:                              ;   Parent Loop BB90_6 Depth=1
                                        ; =>  This Loop Header: Depth=2
                                        ;       Child Loop BB90_13 Depth 3
                                        ;       Child Loop BB90_19 Depth 3
                                        ;         Child Loop BB90_23 Depth 4
                                        ;           Child Loop BB90_25 Depth 5
                                        ;         Child Loop BB90_29 Depth 4
                                        ;           Child Loop BB90_33 Depth 5
                                        ;             Child Loop BB90_35 Depth 6
	s_add_co_i32 s1, s47, s17
	s_and_not1_b32 vcc_lo, exec_lo, s31
	s_mul_i32 s2, s1, s27
	s_delay_alu instid0(SALU_CYCLE_1) | instskip(NEXT) | instid1(SALU_CYCLE_1)
	s_lshl_b64 s[22:23], s[2:3], 3
	s_add_nc_u64 s[22:23], s[10:11], s[22:23]
	s_cbranch_vccnz .LBB90_15
; %bb.11:                               ;   in Loop: Header=BB90_10 Depth=2
	s_wait_storecnt 0x0
	s_barrier_signal -1
	s_barrier_wait -1
	s_wait_xcnt 0x0
	s_and_saveexec_b32 s1, s0
	s_cbranch_execz .LBB90_14
; %bb.12:                               ;   in Loop: Header=BB90_10 Depth=2
	v_dual_mov_b32 v0, v9 :: v_dual_mov_b32 v2, v8
	s_mov_b32 s2, 0
.LBB90_13:                              ;   Parent Loop BB90_6 Depth=1
                                        ;     Parent Loop BB90_10 Depth=2
                                        ; =>    This Inner Loop Header: Depth=3
	global_load_b64 v[4:5], v2, s[22:23] scale_offset
	s_wait_xcnt 0x0
	v_add_nc_u32_e32 v2, s39, v2
	s_wait_loadcnt 0x0
	ds_store_b64 v0, v[4:5]
	v_add_nc_u32_e32 v0, s41, v0
	v_cmp_le_u32_e32 vcc_lo, s27, v2
	s_or_b32 s2, vcc_lo, s2
	s_delay_alu instid0(SALU_CYCLE_1)
	s_and_not1_b32 exec_lo, exec_lo, s2
	s_cbranch_execnz .LBB90_13
.LBB90_14:                              ;   in Loop: Header=BB90_10 Depth=2
	s_or_b32 exec_lo, exec_lo, s1
	s_wait_dscnt 0x0
	s_barrier_signal -1
	s_barrier_wait -1
.LBB90_15:                              ;   in Loop: Header=BB90_10 Depth=2
	s_and_not1_b32 vcc_lo, exec_lo, s40
	s_cbranch_vccnz .LBB90_9
; %bb.16:                               ;   in Loop: Header=BB90_10 Depth=2
	s_and_b32 s1, s31, exec_lo
	s_cselect_b32 s23, s37, s23
	s_cselect_b32 s22, s36, s22
	s_cmp_eq_u32 s47, s28
	s_mul_i32 s50, s47, s25
	s_cselect_b32 s48, s26, s25
	s_mov_b32 s51, s44
	v_cmp_gt_u32_e64 s1, s48, v7
	s_cmp_gt_i32 s48, 0
	s_mov_b32 s52, s34
	s_cselect_b32 s49, -1, 0
	s_branch .LBB90_19
.LBB90_17:                              ;   in Loop: Header=BB90_19 Depth=3
	s_or_b32 exec_lo, exec_lo, s54
	s_wait_storecnt 0x0
	s_barrier_signal -1
	s_barrier_wait -1
.LBB90_18:                              ;   in Loop: Header=BB90_19 Depth=3
	s_add_co_i32 s52, s52, s13
	s_add_co_i32 s51, s51, s45
	s_cmp_ge_u32 s52, s35
	s_cbranch_scc1 .LBB90_9
.LBB90_19:                              ;   Parent Loop BB90_6 Depth=1
                                        ;     Parent Loop BB90_10 Depth=2
                                        ; =>    This Loop Header: Depth=3
                                        ;         Child Loop BB90_23 Depth 4
                                        ;           Child Loop BB90_25 Depth 5
                                        ;         Child Loop BB90_29 Depth 4
                                        ;           Child Loop BB90_33 Depth 5
                                        ;             Child Loop BB90_35 Depth 6
	s_cmp_eq_u32 s47, s52
	s_cselect_b32 s2, -1, 0
	s_delay_alu instid0(SALU_CYCLE_1) | instskip(NEXT) | instid1(SALU_CYCLE_1)
	s_and_b32 s2, s24, s2
	s_and_b32 vcc_lo, exec_lo, s2
	s_cbranch_vccnz .LBB90_18
; %bb.20:                               ;   in Loop: Header=BB90_19 Depth=3
	s_cmp_eq_u32 s52, s28
	s_wait_storecnt 0x0
	s_cselect_b32 s53, s26, s25
	s_barrier_signal -1
	s_barrier_wait -1
	s_wait_xcnt 0x0
	s_and_saveexec_b32 s54, s1
	s_cbranch_execz .LBB90_26
; %bb.21:                               ;   in Loop: Header=BB90_19 Depth=3
	v_dual_mov_b32 v4, v10 :: v_dual_mov_b32 v5, v7
	s_mov_b32 s55, 0
	v_cmp_gt_u32_e32 vcc_lo, s53, v6
	s_branch .LBB90_23
.LBB90_22:                              ;   in Loop: Header=BB90_23 Depth=4
	s_or_b32 exec_lo, exec_lo, s56
	v_dual_add_nc_u32 v5, s29, v5 :: v_dual_add_nc_u32 v4, s42, v4
	s_delay_alu instid0(VALU_DEP_1) | instskip(SKIP_1) | instid1(SALU_CYCLE_1)
	v_cmp_le_u32_e64 s2, s48, v5
	s_or_b32 s55, s2, s55
	s_and_not1_b32 exec_lo, exec_lo, s55
	s_cbranch_execz .LBB90_26
.LBB90_23:                              ;   Parent Loop BB90_6 Depth=1
                                        ;     Parent Loop BB90_10 Depth=2
                                        ;       Parent Loop BB90_19 Depth=3
                                        ; =>      This Loop Header: Depth=4
                                        ;           Child Loop BB90_25 Depth 5
	s_and_saveexec_b32 s56, vcc_lo
	s_cbranch_execz .LBB90_22
; %bb.24:                               ;   in Loop: Header=BB90_23 Depth=4
	v_dual_add_nc_u32 v0, s50, v5 :: v_dual_mov_b32 v12, v4
	v_mov_b32_e32 v13, v6
	s_mov_b32 s57, 0
	s_delay_alu instid0(VALU_DEP_2) | instskip(NEXT) | instid1(VALU_DEP_1)
	v_mul_u64_e32 v[2:3], s[20:21], v[0:1]
	v_lshl_add_u64 v[2:3], v[2:3], 3, s[6:7]
.LBB90_25:                              ;   Parent Loop BB90_6 Depth=1
                                        ;     Parent Loop BB90_10 Depth=2
                                        ;       Parent Loop BB90_19 Depth=3
                                        ;         Parent Loop BB90_23 Depth=4
                                        ; =>        This Inner Loop Header: Depth=5
	s_delay_alu instid0(VALU_DEP_3) | instskip(NEXT) | instid1(VALU_DEP_1)
	v_dual_add_nc_u32 v0, s51, v13 :: v_dual_add_nc_u32 v13, s15, v13
	v_lshl_add_u64 v[14:15], v[0:1], 3, v[2:3]
	s_delay_alu instid0(VALU_DEP_2)
	v_cmp_le_u32_e64 s2, s53, v13
	global_load_b64 v[14:15], v[14:15], off
	s_or_b32 s57, s2, s57
	s_wait_loadcnt 0x0
	ds_store_b64 v12, v[14:15]
	v_add_nc_u32_e32 v12, s43, v12
	s_wait_xcnt 0x0
	s_and_not1_b32 exec_lo, exec_lo, s57
	s_cbranch_execnz .LBB90_25
	s_branch .LBB90_22
.LBB90_26:                              ;   in Loop: Header=BB90_19 Depth=3
	s_or_b32 exec_lo, exec_lo, s54
	s_wait_dscnt 0x0
	s_barrier_signal -1
	s_barrier_wait -1
	s_and_saveexec_b32 s54, s1
	s_cbranch_execz .LBB90_17
; %bb.27:                               ;   in Loop: Header=BB90_19 Depth=3
	v_cmp_gt_u32_e64 s2, s53, v6
	v_mov_b32_e32 v12, v7
	s_mul_i32 s55, s52, s25
	s_mov_b32 s56, 0
	s_branch .LBB90_29
.LBB90_28:                              ;   in Loop: Header=BB90_29 Depth=4
	s_or_b32 exec_lo, exec_lo, s57
	v_add_nc_u32_e32 v12, s29, v12
	s_delay_alu instid0(VALU_DEP_1) | instskip(SKIP_1) | instid1(SALU_CYCLE_1)
	v_cmp_le_u32_e32 vcc_lo, s48, v12
	s_or_b32 s56, vcc_lo, s56
	s_and_not1_b32 exec_lo, exec_lo, s56
	s_cbranch_execz .LBB90_17
.LBB90_29:                              ;   Parent Loop BB90_6 Depth=1
                                        ;     Parent Loop BB90_10 Depth=2
                                        ;       Parent Loop BB90_19 Depth=3
                                        ; =>      This Loop Header: Depth=4
                                        ;           Child Loop BB90_33 Depth 5
                                        ;             Child Loop BB90_35 Depth 6
	s_and_saveexec_b32 s57, s2
	s_cbranch_execz .LBB90_28
; %bb.30:                               ;   in Loop: Header=BB90_29 Depth=4
	v_dual_mov_b32 v13, v11 :: v_dual_add_nc_u32 v0, s50, v12
	v_mov_b32_e32 v14, v6
	s_mov_b32 s58, 0
	s_delay_alu instid0(VALU_DEP_2) | instskip(NEXT) | instid1(VALU_DEP_1)
	v_mul_u64_e32 v[2:3], s[20:21], v[0:1]
	v_lshl_add_u64 v[2:3], v[2:3], 3, s[6:7]
	s_branch .LBB90_33
.LBB90_31:                              ;   in Loop: Header=BB90_33 Depth=5
	v_mov_b32_e32 v5, 0
	s_delay_alu instid0(VALU_DEP_1)
	v_mov_b32_e32 v4, v5
.LBB90_32:                              ;   in Loop: Header=BB90_33 Depth=5
	v_dual_add_nc_u32 v0, s55, v14 :: v_dual_add_nc_u32 v14, s15, v14
	v_add_nc_u32_e32 v13, s43, v13
	s_delay_alu instid0(VALU_DEP_2) | instskip(NEXT) | instid1(VALU_DEP_3)
	v_lshl_add_u64 v[16:17], v[0:1], 3, v[2:3]
	v_cmp_le_u32_e32 vcc_lo, s53, v14
	global_store_b64 v[16:17], v[4:5], off
	s_or_b32 s58, vcc_lo, s58
	s_wait_xcnt 0x0
	s_and_not1_b32 exec_lo, exec_lo, s58
	s_cbranch_execz .LBB90_28
.LBB90_33:                              ;   Parent Loop BB90_6 Depth=1
                                        ;     Parent Loop BB90_10 Depth=2
                                        ;       Parent Loop BB90_19 Depth=3
                                        ;         Parent Loop BB90_29 Depth=4
                                        ; =>        This Loop Header: Depth=5
                                        ;             Child Loop BB90_35 Depth 6
	s_and_not1_b32 vcc_lo, exec_lo, s49
	s_cbranch_vccnz .LBB90_31
; %bb.34:                               ;   in Loop: Header=BB90_33 Depth=5
	v_dual_mov_b32 v4, 0 :: v_dual_mov_b32 v0, v12
	v_mov_b32_e32 v15, v13
	s_mov_b32 s59, s48
	s_delay_alu instid0(VALU_DEP_2)
	v_mov_b32_e32 v5, v4
.LBB90_35:                              ;   Parent Loop BB90_6 Depth=1
                                        ;     Parent Loop BB90_10 Depth=2
                                        ;       Parent Loop BB90_19 Depth=3
                                        ;         Parent Loop BB90_29 Depth=4
                                        ;           Parent Loop BB90_33 Depth=5
                                        ; =>          This Inner Loop Header: Depth=6
	flat_load_b64 v[16:17], v0, s[22:23] scale_offset
	ds_load_b64 v[18:19], v15
	s_wait_xcnt 0x0
	v_add_nc_u32_e32 v0, s25, v0
	s_add_co_i32 s59, s59, -1
	v_add_nc_u32_e32 v15, s46, v15
	s_cmp_eq_u32 s59, 0
	s_wait_loadcnt_dscnt 0x0
	v_pk_mul_f32 v[20:21], v[16:17], v[18:19] op_sel:[1,1] op_sel_hi:[0,1]
	s_delay_alu instid0(VALU_DEP_1) | instskip(SKIP_1) | instid1(VALU_DEP_2)
	v_pk_fma_f32 v[22:23], v[16:17], v[18:19], v[20:21] op_sel_hi:[1,0,1]
	v_pk_fma_f32 v[16:17], v[16:17], v[18:19], v[20:21] neg_lo:[0,0,1] neg_hi:[0,0,1]
	v_mov_b32_e32 v17, v23
	s_delay_alu instid0(VALU_DEP_1)
	v_pk_add_f32 v[4:5], v[4:5], v[16:17]
	s_cbranch_scc0 .LBB90_35
	s_branch .LBB90_32
.LBB90_36:
	s_endpgm
	.section	.rodata,"a",@progbits
	.p2align	6, 0x0
	.amdhsa_kernel _ZN9rocsolver6v33100L17syevj_diag_rotateILb0E19rocblas_complex_numIfEfPS3_EEvbiiT2_iilPT0_Pii
		.amdhsa_group_segment_fixed_size 0
		.amdhsa_private_segment_fixed_size 64
		.amdhsa_kernarg_size 320
		.amdhsa_user_sgpr_count 2
		.amdhsa_user_sgpr_dispatch_ptr 0
		.amdhsa_user_sgpr_queue_ptr 0
		.amdhsa_user_sgpr_kernarg_segment_ptr 1
		.amdhsa_user_sgpr_dispatch_id 0
		.amdhsa_user_sgpr_kernarg_preload_length 0
		.amdhsa_user_sgpr_kernarg_preload_offset 0
		.amdhsa_user_sgpr_private_segment_size 0
		.amdhsa_wavefront_size32 1
		.amdhsa_uses_dynamic_stack 0
		.amdhsa_enable_private_segment 1
		.amdhsa_system_sgpr_workgroup_id_x 1
		.amdhsa_system_sgpr_workgroup_id_y 1
		.amdhsa_system_sgpr_workgroup_id_z 1
		.amdhsa_system_sgpr_workgroup_info 0
		.amdhsa_system_vgpr_workitem_id 1
		.amdhsa_next_free_vgpr 49
		.amdhsa_next_free_sgpr 60
		.amdhsa_named_barrier_count 0
		.amdhsa_reserve_vcc 1
		.amdhsa_float_round_mode_32 0
		.amdhsa_float_round_mode_16_64 0
		.amdhsa_float_denorm_mode_32 3
		.amdhsa_float_denorm_mode_16_64 3
		.amdhsa_fp16_overflow 0
		.amdhsa_memory_ordered 1
		.amdhsa_forward_progress 1
		.amdhsa_inst_pref_size 13
		.amdhsa_round_robin_scheduling 0
		.amdhsa_exception_fp_ieee_invalid_op 0
		.amdhsa_exception_fp_denorm_src 0
		.amdhsa_exception_fp_ieee_div_zero 0
		.amdhsa_exception_fp_ieee_overflow 0
		.amdhsa_exception_fp_ieee_underflow 0
		.amdhsa_exception_fp_ieee_inexact 0
		.amdhsa_exception_int_div_zero 0
	.end_amdhsa_kernel
	.section	.text._ZN9rocsolver6v33100L17syevj_diag_rotateILb0E19rocblas_complex_numIfEfPS3_EEvbiiT2_iilPT0_Pii,"axG",@progbits,_ZN9rocsolver6v33100L17syevj_diag_rotateILb0E19rocblas_complex_numIfEfPS3_EEvbiiT2_iilPT0_Pii,comdat
.Lfunc_end90:
	.size	_ZN9rocsolver6v33100L17syevj_diag_rotateILb0E19rocblas_complex_numIfEfPS3_EEvbiiT2_iilPT0_Pii, .Lfunc_end90-_ZN9rocsolver6v33100L17syevj_diag_rotateILb0E19rocblas_complex_numIfEfPS3_EEvbiiT2_iilPT0_Pii
                                        ; -- End function
	.set _ZN9rocsolver6v33100L17syevj_diag_rotateILb0E19rocblas_complex_numIfEfPS3_EEvbiiT2_iilPT0_Pii.num_vgpr, max(42, .L__assert_fail.num_vgpr)
	.set _ZN9rocsolver6v33100L17syevj_diag_rotateILb0E19rocblas_complex_numIfEfPS3_EEvbiiT2_iilPT0_Pii.num_agpr, max(0, .L__assert_fail.num_agpr)
	.set _ZN9rocsolver6v33100L17syevj_diag_rotateILb0E19rocblas_complex_numIfEfPS3_EEvbiiT2_iilPT0_Pii.numbered_sgpr, max(60, .L__assert_fail.numbered_sgpr)
	.set _ZN9rocsolver6v33100L17syevj_diag_rotateILb0E19rocblas_complex_numIfEfPS3_EEvbiiT2_iilPT0_Pii.num_named_barrier, max(0, .L__assert_fail.num_named_barrier)
	.set _ZN9rocsolver6v33100L17syevj_diag_rotateILb0E19rocblas_complex_numIfEfPS3_EEvbiiT2_iilPT0_Pii.private_seg_size, 0+max(.L__assert_fail.private_seg_size)
	.set _ZN9rocsolver6v33100L17syevj_diag_rotateILb0E19rocblas_complex_numIfEfPS3_EEvbiiT2_iilPT0_Pii.uses_vcc, or(1, .L__assert_fail.uses_vcc)
	.set _ZN9rocsolver6v33100L17syevj_diag_rotateILb0E19rocblas_complex_numIfEfPS3_EEvbiiT2_iilPT0_Pii.uses_flat_scratch, or(0, .L__assert_fail.uses_flat_scratch)
	.set _ZN9rocsolver6v33100L17syevj_diag_rotateILb0E19rocblas_complex_numIfEfPS3_EEvbiiT2_iilPT0_Pii.has_dyn_sized_stack, or(0, .L__assert_fail.has_dyn_sized_stack)
	.set _ZN9rocsolver6v33100L17syevj_diag_rotateILb0E19rocblas_complex_numIfEfPS3_EEvbiiT2_iilPT0_Pii.has_recursion, or(0, .L__assert_fail.has_recursion)
	.set _ZN9rocsolver6v33100L17syevj_diag_rotateILb0E19rocblas_complex_numIfEfPS3_EEvbiiT2_iilPT0_Pii.has_indirect_call, or(0, .L__assert_fail.has_indirect_call)
	.section	.AMDGPU.csdata,"",@progbits
; Kernel info:
; codeLenInByte = 1540
; TotalNumSgprs: 62
; NumVgprs: 49
; ScratchSize: 64
; MemoryBound: 0
; FloatMode: 240
; IeeeMode: 1
; LDSByteSize: 0 bytes/workgroup (compile time only)
; SGPRBlocks: 0
; VGPRBlocks: 3
; NumSGPRsForWavesPerEU: 62
; NumVGPRsForWavesPerEU: 49
; NamedBarCnt: 0
; Occupancy: 16
; WaveLimiterHint : 1
; COMPUTE_PGM_RSRC2:SCRATCH_EN: 1
; COMPUTE_PGM_RSRC2:USER_SGPR: 2
; COMPUTE_PGM_RSRC2:TRAP_HANDLER: 0
; COMPUTE_PGM_RSRC2:TGID_X_EN: 1
; COMPUTE_PGM_RSRC2:TGID_Y_EN: 1
; COMPUTE_PGM_RSRC2:TGID_Z_EN: 1
; COMPUTE_PGM_RSRC2:TIDIG_COMP_CNT: 1
	.section	.text._ZN9rocsolver6v33100L17syevj_diag_rotateILb1E19rocblas_complex_numIfEfPS3_EEvbiiT2_iilPT0_Pii,"axG",@progbits,_ZN9rocsolver6v33100L17syevj_diag_rotateILb1E19rocblas_complex_numIfEfPS3_EEvbiiT2_iilPT0_Pii,comdat
	.globl	_ZN9rocsolver6v33100L17syevj_diag_rotateILb1E19rocblas_complex_numIfEfPS3_EEvbiiT2_iilPT0_Pii ; -- Begin function _ZN9rocsolver6v33100L17syevj_diag_rotateILb1E19rocblas_complex_numIfEfPS3_EEvbiiT2_iilPT0_Pii
	.p2align	8
	.type	_ZN9rocsolver6v33100L17syevj_diag_rotateILb1E19rocblas_complex_numIfEfPS3_EEvbiiT2_iilPT0_Pii,@function
_ZN9rocsolver6v33100L17syevj_diag_rotateILb1E19rocblas_complex_numIfEfPS3_EEvbiiT2_iilPT0_Pii: ; @_ZN9rocsolver6v33100L17syevj_diag_rotateILb1E19rocblas_complex_numIfEfPS3_EEvbiiT2_iilPT0_Pii
; %bb.0:
	s_load_b96 s[24:26], s[0:1], 0x0
	s_mov_b64 s[22:23], s[0:1]
	v_mov_b32_e32 v41, v0
	s_mov_b32 s29, 0
	s_mov_b32 s32, 0
	s_wait_kmcnt 0x0
	s_abs_i32 s21, s25
	s_mul_i32 s27, s25, s25
	s_cvt_f32_u32 s0, s21
	s_cmp_lt_u32 s27, 0x2001
	s_delay_alu instid0(SALU_CYCLE_2) | instskip(SKIP_2) | instid1(TRANS32_DEP_1)
	v_rcp_iflag_f32_e32 v0, s0
	s_mov_b32 s0, -1
	v_nop
	v_readfirstlane_b32 s28, v0
	s_cbranch_scc1 .LBB91_2
; %bb.1:
	s_get_pc_i64 s[0:1]
	s_add_nc_u64 s[0:1], s[0:1], __PRETTY_FUNCTION__._ZN9rocsolver6v33100L17syevj_diag_rotateILb1E19rocblas_complex_numIfEfPS3_EEvbiiT2_iilPT0_Pii@rel64+4
	s_add_nc_u64 s[8:9], s[22:23], 64
	v_dual_mov_b32 v0, s0 :: v_dual_mov_b32 v1, s1
	s_get_pc_i64 s[2:3]
	s_add_nc_u64 s[2:3], s[2:3], __assert_fail@rel64+4
	s_delay_alu instid0(SALU_CYCLE_1)
	s_swap_pc_i64 s[30:31], s[2:3]
	; divergent unreachable
	s_mov_b32 s0, 0
.LBB91_2:
	s_delay_alu instid0(SALU_CYCLE_1)
	s_and_not1_b32 vcc_lo, exec_lo, s0
	s_cbranch_vccnz .LBB91_36
; %bb.3:
	s_load_b32 s30, s[22:23], 0x38
	s_bfe_u32 s0, ttmp6, 0x40014
	s_lshr_b32 s1, ttmp7, 16
	s_add_co_i32 s0, s0, 1
	s_bfe_u32 s3, ttmp6, 0x40008
	s_mul_i32 s2, s1, s0
	s_getreg_b32 s0, hwreg(HW_REG_IB_STS2, 6, 4)
	s_add_co_i32 s3, s3, s2
	s_cmp_eq_u32 s0, 0
	s_cselect_b32 s16, s1, s3
	s_mov_b32 s3, 0
	s_wait_kmcnt 0x0
	s_cmp_ge_u32 s16, s30
	s_cbranch_scc1 .LBB91_36
; %bb.4:
	s_mul_f32 s1, s28, 0x4f7ffffe
	s_clause 0x1
	s_load_b128 s[12:15], s[22:23], 0x40
	s_load_b64 s[18:19], s[22:23], 0x30
	s_sub_co_i32 s2, 0, s21
	s_cvt_u32_f32 s1, s1
	s_add_co_i32 s4, s26, -1
	s_ashr_i32 s17, s25, 31
	s_abs_i32 s28, s4
	s_mul_i32 s2, s2, s1
	s_ashr_i32 s20, s4, 31
	s_mul_hi_u32 s2, s1, s2
	s_mov_b32 s5, s29
	s_add_co_i32 s4, s1, s2
	s_cmp_lt_u32 s27, 0x1001
	s_mul_u64 s[34:35], s[28:29], s[4:5]
	s_cselect_b32 s31, -1, 0
	s_bitcmp1_b32 s24, 0
	v_bfe_u32 v7, v41, 10, 10
	s_cselect_b32 s24, -1, 0
	s_bfe_u32 s1, ttmp6, 0x40010
	s_bfe_u32 s4, ttmp6, 0x4000c
	s_and_b32 s2, ttmp7, 0xffff
	s_add_co_i32 s1, s1, 1
	s_add_co_i32 s4, s4, 1
	s_mul_i32 s1, s2, s1
	s_bfe_u32 s5, ttmp6, 0x40004
	s_and_b32 s6, ttmp6, 15
	s_mul_i32 s4, ttmp9, s4
	s_wait_kmcnt 0x0
	s_lshr_b32 s29, s15, 16
	s_and_b32 s15, s15, 0xffff
	s_add_co_i32 s1, s5, s1
	s_add_co_i32 s33, s6, s4
	s_load_b256 s[4:11], s[22:23], 0x10
	s_cmp_eq_u32 s0, 0
	s_mul_i32 s0, s35, s21
	s_cselect_b32 s33, ttmp9, s33
	s_cselect_b32 s34, s2, s1
	s_sub_co_i32 s0, s28, s0
	s_xor_b32 s1, s20, s17
	s_add_co_i32 s2, s35, 1
	s_sub_co_i32 s17, s0, s21
	s_cmp_ge_u32 s0, s21
	v_mul_lo_u32 v0, v7, s25
	s_cselect_b32 s2, s2, s35
	s_cselect_b32 s0, s17, s0
	s_add_co_i32 s17, s2, 1
	s_cmp_ge_u32 s0, s21
	v_and_b32_e32 v6, 0x3ff, v41
	s_cselect_b32 s0, s17, s2
	s_mov_b64 s[36:37], src_shared_base
	s_xor_b32 s0, s0, s1
	s_mul_i32 s39, s29, s15
	s_sub_co_i32 s28, s0, s1
	s_lshl_b32 s0, s27, 3
	s_add_co_i32 s35, s28, 1
	s_add_co_i32 s36, s0, 0
	s_wait_kmcnt 0x0
	s_ashr_i32 s23, s6, 31
	v_mad_u32_u24 v8, v7, s15, v6
	v_dual_lshlrev_b32 v0, 3, v0 :: v_dual_lshlrev_b32 v1, 3, v6
	s_cmp_lt_u32 s33, s35
	s_mul_i32 s0, s28, s25
	s_cselect_b32 s38, -1, 0
	s_sub_co_i32 s26, s26, s0
	s_mov_b32 s22, s6
	s_cmp_lt_u32 s34, s35
	v_cmp_gt_u32_e64 s0, s27, v8
	v_lshl_add_u32 v9, v8, 3, s36
	v_add3_u32 v10, v0, v1, 0
	v_dual_add_nc_u32 v11, 0, v0 :: v_dual_mov_b32 v1, 0
	s_cselect_b32 s40, -1, 0
	s_ashr_i32 s21, s7, 31
	s_mov_b32 s20, s7
	s_lshl_b64 s[6:7], s[22:23], 3
	s_mul_i32 s1, s25, s29
	s_add_nc_u64 s[4:5], s[4:5], s[6:7]
	s_lshl_b32 s41, s39, 3
	s_lshl_b32 s42, s1, 3
	;; [unrolled: 1-line block ×3, first 2 shown]
	s_mul_i32 s44, s33, s25
	s_mul_i32 s45, s12, s25
	s_branch .LBB91_6
.LBB91_5:                               ;   in Loop: Header=BB91_6 Depth=1
	s_add_co_i32 s16, s16, s14
	s_delay_alu instid0(SALU_CYCLE_1)
	s_cmp_lt_u32 s16, s30
	s_cbranch_scc0 .LBB91_36
.LBB91_6:                               ; =>This Loop Header: Depth=1
                                        ;     Child Loop BB91_10 Depth 2
                                        ;       Child Loop BB91_13 Depth 3
                                        ;       Child Loop BB91_19 Depth 3
                                        ;         Child Loop BB91_23 Depth 4
                                        ;           Child Loop BB91_25 Depth 5
                                        ;         Child Loop BB91_29 Depth 4
                                        ;           Child Loop BB91_33 Depth 5
                                        ;             Child Loop BB91_35 Depth 6
	s_wait_xcnt 0x0
	v_mov_b32_e32 v0, s16
	global_load_b32 v0, v0, s[18:19] offset:4 scale_offset
	s_wait_loadcnt 0x0
	v_cmp_ne_u32_e32 vcc_lo, 0, v0
	s_cbranch_vccnz .LBB91_5
; %bb.7:                                ;   in Loop: Header=BB91_6 Depth=1
	s_and_not1_b32 vcc_lo, exec_lo, s38
	s_cbranch_vccnz .LBB91_5
; %bb.8:                                ;   in Loop: Header=BB91_6 Depth=1
	s_mov_b32 s17, s3
	s_mov_b32 s46, s44
	s_mul_u64 s[6:7], s[8:9], s[16:17]
	s_mul_i32 s17, s16, s35
	s_lshl_b64 s[6:7], s[6:7], 3
	s_mov_b32 s47, s33
	s_add_nc_u64 s[6:7], s[4:5], s[6:7]
	s_branch .LBB91_10
.LBB91_9:                               ;   in Loop: Header=BB91_10 Depth=2
	s_add_co_i32 s47, s47, s12
	s_add_co_i32 s46, s46, s45
	s_cmp_ge_u32 s47, s35
	s_cbranch_scc1 .LBB91_5
.LBB91_10:                              ;   Parent Loop BB91_6 Depth=1
                                        ; =>  This Loop Header: Depth=2
                                        ;       Child Loop BB91_13 Depth 3
                                        ;       Child Loop BB91_19 Depth 3
                                        ;         Child Loop BB91_23 Depth 4
                                        ;           Child Loop BB91_25 Depth 5
                                        ;         Child Loop BB91_29 Depth 4
                                        ;           Child Loop BB91_33 Depth 5
                                        ;             Child Loop BB91_35 Depth 6
	s_add_co_i32 s1, s47, s17
	s_and_not1_b32 vcc_lo, exec_lo, s31
	s_mul_i32 s2, s1, s27
	s_delay_alu instid0(SALU_CYCLE_1) | instskip(NEXT) | instid1(SALU_CYCLE_1)
	s_lshl_b64 s[22:23], s[2:3], 3
	s_add_nc_u64 s[22:23], s[10:11], s[22:23]
	s_cbranch_vccnz .LBB91_15
; %bb.11:                               ;   in Loop: Header=BB91_10 Depth=2
	s_wait_storecnt 0x0
	s_barrier_signal -1
	s_barrier_wait -1
	s_wait_xcnt 0x0
	s_and_saveexec_b32 s1, s0
	s_cbranch_execz .LBB91_14
; %bb.12:                               ;   in Loop: Header=BB91_10 Depth=2
	v_dual_mov_b32 v0, v9 :: v_dual_mov_b32 v2, v8
	s_mov_b32 s2, 0
.LBB91_13:                              ;   Parent Loop BB91_6 Depth=1
                                        ;     Parent Loop BB91_10 Depth=2
                                        ; =>    This Inner Loop Header: Depth=3
	global_load_b64 v[4:5], v2, s[22:23] scale_offset
	s_wait_xcnt 0x0
	v_add_nc_u32_e32 v2, s39, v2
	s_wait_loadcnt 0x0
	ds_store_b64 v0, v[4:5]
	v_add_nc_u32_e32 v0, s41, v0
	v_cmp_le_u32_e32 vcc_lo, s27, v2
	s_or_b32 s2, vcc_lo, s2
	s_delay_alu instid0(SALU_CYCLE_1)
	s_and_not1_b32 exec_lo, exec_lo, s2
	s_cbranch_execnz .LBB91_13
.LBB91_14:                              ;   in Loop: Header=BB91_10 Depth=2
	s_or_b32 exec_lo, exec_lo, s1
	s_wait_dscnt 0x0
	s_barrier_signal -1
	s_barrier_wait -1
.LBB91_15:                              ;   in Loop: Header=BB91_10 Depth=2
	s_and_not1_b32 vcc_lo, exec_lo, s40
	s_cbranch_vccnz .LBB91_9
; %bb.16:                               ;   in Loop: Header=BB91_10 Depth=2
	s_and_b32 s1, s31, exec_lo
	s_cselect_b32 s23, s37, s23
	s_cselect_b32 s22, s36, s22
	s_cmp_eq_u32 s47, s28
	s_mul_i32 s50, s47, s25
	s_cselect_b32 s48, s26, s25
	s_mov_b32 s51, s34
	v_cmp_gt_u32_e64 s1, s48, v6
	s_cmp_gt_i32 s48, 0
	s_cselect_b32 s49, -1, 0
	s_branch .LBB91_19
.LBB91_17:                              ;   in Loop: Header=BB91_19 Depth=3
	s_or_b32 exec_lo, exec_lo, s2
	s_wait_storecnt 0x0
	s_barrier_signal -1
	s_barrier_wait -1
.LBB91_18:                              ;   in Loop: Header=BB91_19 Depth=3
	s_add_co_i32 s51, s51, s13
	s_delay_alu instid0(SALU_CYCLE_1)
	s_cmp_ge_u32 s51, s35
	s_cbranch_scc1 .LBB91_9
.LBB91_19:                              ;   Parent Loop BB91_6 Depth=1
                                        ;     Parent Loop BB91_10 Depth=2
                                        ; =>    This Loop Header: Depth=3
                                        ;         Child Loop BB91_23 Depth 4
                                        ;           Child Loop BB91_25 Depth 5
                                        ;         Child Loop BB91_29 Depth 4
                                        ;           Child Loop BB91_33 Depth 5
                                        ;             Child Loop BB91_35 Depth 6
	s_cmp_eq_u32 s47, s51
	s_cselect_b32 s2, -1, 0
	s_delay_alu instid0(SALU_CYCLE_1) | instskip(NEXT) | instid1(SALU_CYCLE_1)
	s_and_b32 s2, s24, s2
	s_and_b32 vcc_lo, exec_lo, s2
	s_cbranch_vccnz .LBB91_18
; %bb.20:                               ;   in Loop: Header=BB91_19 Depth=3
	s_cmp_eq_u32 s51, s28
	s_mul_i32 s53, s51, s25
	s_cselect_b32 s52, s26, s25
	s_wait_storecnt 0x0
	v_cmp_gt_u32_e32 vcc_lo, s52, v7
	s_barrier_signal -1
	s_barrier_wait -1
	s_wait_xcnt 0x0
	s_and_saveexec_b32 s54, vcc_lo
	s_cbranch_execz .LBB91_26
; %bb.21:                               ;   in Loop: Header=BB91_19 Depth=3
	v_dual_mov_b32 v4, v10 :: v_dual_mov_b32 v5, v7
	s_mov_b32 s55, 0
	s_branch .LBB91_23
.LBB91_22:                              ;   in Loop: Header=BB91_23 Depth=4
	s_or_b32 exec_lo, exec_lo, s56
	v_dual_add_nc_u32 v5, s29, v5 :: v_dual_add_nc_u32 v4, s42, v4
	s_delay_alu instid0(VALU_DEP_1) | instskip(SKIP_1) | instid1(SALU_CYCLE_1)
	v_cmp_le_u32_e64 s2, s52, v5
	s_or_b32 s55, s2, s55
	s_and_not1_b32 exec_lo, exec_lo, s55
	s_cbranch_execz .LBB91_26
.LBB91_23:                              ;   Parent Loop BB91_6 Depth=1
                                        ;     Parent Loop BB91_10 Depth=2
                                        ;       Parent Loop BB91_19 Depth=3
                                        ; =>      This Loop Header: Depth=4
                                        ;           Child Loop BB91_25 Depth 5
	s_and_saveexec_b32 s56, s1
	s_cbranch_execz .LBB91_22
; %bb.24:                               ;   in Loop: Header=BB91_23 Depth=4
	v_dual_add_nc_u32 v0, s53, v5 :: v_dual_mov_b32 v12, v4
	v_mov_b32_e32 v13, v6
	s_mov_b32 s57, 0
	s_delay_alu instid0(VALU_DEP_2) | instskip(NEXT) | instid1(VALU_DEP_1)
	v_mul_u64_e32 v[2:3], s[20:21], v[0:1]
	v_lshl_add_u64 v[2:3], v[2:3], 3, s[6:7]
.LBB91_25:                              ;   Parent Loop BB91_6 Depth=1
                                        ;     Parent Loop BB91_10 Depth=2
                                        ;       Parent Loop BB91_19 Depth=3
                                        ;         Parent Loop BB91_23 Depth=4
                                        ; =>        This Inner Loop Header: Depth=5
	s_delay_alu instid0(VALU_DEP_3) | instskip(NEXT) | instid1(VALU_DEP_1)
	v_dual_add_nc_u32 v0, s46, v13 :: v_dual_add_nc_u32 v13, s15, v13
	v_lshl_add_u64 v[14:15], v[0:1], 3, v[2:3]
	s_delay_alu instid0(VALU_DEP_2)
	v_cmp_le_u32_e64 s2, s48, v13
	global_load_b64 v[14:15], v[14:15], off
	s_or_b32 s57, s2, s57
	s_wait_loadcnt 0x0
	ds_store_b64 v12, v[14:15]
	v_add_nc_u32_e32 v12, s43, v12
	s_wait_xcnt 0x0
	s_and_not1_b32 exec_lo, exec_lo, s57
	s_cbranch_execnz .LBB91_25
	s_branch .LBB91_22
.LBB91_26:                              ;   in Loop: Header=BB91_19 Depth=3
	s_or_b32 exec_lo, exec_lo, s54
	s_wait_dscnt 0x0
	s_barrier_signal -1
	s_barrier_wait -1
	s_and_saveexec_b32 s2, vcc_lo
	s_cbranch_execz .LBB91_17
; %bb.27:                               ;   in Loop: Header=BB91_19 Depth=3
	v_dual_mov_b32 v12, v11 :: v_dual_mov_b32 v13, v7
	s_mov_b32 s54, 0
	s_branch .LBB91_29
.LBB91_28:                              ;   in Loop: Header=BB91_29 Depth=4
	s_or_b32 exec_lo, exec_lo, s55
	v_dual_add_nc_u32 v13, s29, v13 :: v_dual_add_nc_u32 v12, s42, v12
	s_delay_alu instid0(VALU_DEP_1) | instskip(SKIP_1) | instid1(SALU_CYCLE_1)
	v_cmp_le_u32_e32 vcc_lo, s52, v13
	s_or_b32 s54, vcc_lo, s54
	s_and_not1_b32 exec_lo, exec_lo, s54
	s_cbranch_execz .LBB91_17
.LBB91_29:                              ;   Parent Loop BB91_6 Depth=1
                                        ;     Parent Loop BB91_10 Depth=2
                                        ;       Parent Loop BB91_19 Depth=3
                                        ; =>      This Loop Header: Depth=4
                                        ;           Child Loop BB91_33 Depth 5
                                        ;             Child Loop BB91_35 Depth 6
	s_and_saveexec_b32 s55, s1
	s_cbranch_execz .LBB91_28
; %bb.30:                               ;   in Loop: Header=BB91_29 Depth=4
	v_dual_add_nc_u32 v0, s53, v13 :: v_dual_mov_b32 v14, v6
	s_mov_b32 s56, 0
	s_delay_alu instid0(VALU_DEP_1) | instskip(NEXT) | instid1(VALU_DEP_1)
	v_mul_u64_e32 v[2:3], s[20:21], v[0:1]
	v_lshl_add_u64 v[2:3], v[2:3], 3, s[6:7]
	s_branch .LBB91_33
.LBB91_31:                              ;   in Loop: Header=BB91_33 Depth=5
	v_mov_b32_e32 v5, 0
	s_delay_alu instid0(VALU_DEP_1)
	v_mov_b32_e32 v4, v5
.LBB91_32:                              ;   in Loop: Header=BB91_33 Depth=5
	v_dual_add_nc_u32 v0, s50, v14 :: v_dual_add_nc_u32 v14, s15, v14
	s_delay_alu instid0(VALU_DEP_1) | instskip(NEXT) | instid1(VALU_DEP_2)
	v_lshl_add_u64 v[16:17], v[0:1], 3, v[2:3]
	v_cmp_le_u32_e32 vcc_lo, s48, v14
	global_store_b64 v[16:17], v[4:5], off
	s_or_b32 s56, vcc_lo, s56
	s_wait_xcnt 0x0
	s_and_not1_b32 exec_lo, exec_lo, s56
	s_cbranch_execz .LBB91_28
.LBB91_33:                              ;   Parent Loop BB91_6 Depth=1
                                        ;     Parent Loop BB91_10 Depth=2
                                        ;       Parent Loop BB91_19 Depth=3
                                        ;         Parent Loop BB91_29 Depth=4
                                        ; =>        This Loop Header: Depth=5
                                        ;             Child Loop BB91_35 Depth 6
	s_and_not1_b32 vcc_lo, exec_lo, s49
	s_cbranch_vccnz .LBB91_31
; %bb.34:                               ;   in Loop: Header=BB91_33 Depth=5
	v_dual_mov_b32 v4, 0 :: v_dual_mov_b32 v0, v14
	v_mov_b32_e32 v15, v12
	s_mov_b32 s57, s48
	s_delay_alu instid0(VALU_DEP_2)
	v_mov_b32_e32 v5, v4
.LBB91_35:                              ;   Parent Loop BB91_6 Depth=1
                                        ;     Parent Loop BB91_10 Depth=2
                                        ;       Parent Loop BB91_19 Depth=3
                                        ;         Parent Loop BB91_29 Depth=4
                                        ;           Parent Loop BB91_33 Depth=5
                                        ; =>          This Inner Loop Header: Depth=6
	flat_load_b64 v[16:17], v0, s[22:23] scale_offset
	ds_load_b64 v[18:19], v15
	s_wait_xcnt 0x0
	v_add_nc_u32_e32 v0, s25, v0
	s_add_co_i32 s57, s57, -1
	v_add_nc_u32_e32 v15, 8, v15
	s_cmp_eq_u32 s57, 0
	s_wait_loadcnt_dscnt 0x0
	v_pk_mul_f32 v[20:21], v[16:17], v[18:19] op_sel:[1,1] op_sel_hi:[1,0]
	s_delay_alu instid0(VALU_DEP_1) | instskip(SKIP_1) | instid1(VALU_DEP_2)
	v_pk_fma_f32 v[22:23], v[16:17], v[18:19], v[20:21] op_sel_hi:[0,1,1] neg_lo:[0,0,1] neg_hi:[0,0,1]
	v_pk_fma_f32 v[16:17], v[16:17], v[18:19], v[20:21]
	v_mov_b32_e32 v17, v23
	s_delay_alu instid0(VALU_DEP_1)
	v_pk_add_f32 v[4:5], v[4:5], v[16:17]
	s_cbranch_scc0 .LBB91_35
	s_branch .LBB91_32
.LBB91_36:
	s_endpgm
	.section	.rodata,"a",@progbits
	.p2align	6, 0x0
	.amdhsa_kernel _ZN9rocsolver6v33100L17syevj_diag_rotateILb1E19rocblas_complex_numIfEfPS3_EEvbiiT2_iilPT0_Pii
		.amdhsa_group_segment_fixed_size 0
		.amdhsa_private_segment_fixed_size 64
		.amdhsa_kernarg_size 320
		.amdhsa_user_sgpr_count 2
		.amdhsa_user_sgpr_dispatch_ptr 0
		.amdhsa_user_sgpr_queue_ptr 0
		.amdhsa_user_sgpr_kernarg_segment_ptr 1
		.amdhsa_user_sgpr_dispatch_id 0
		.amdhsa_user_sgpr_kernarg_preload_length 0
		.amdhsa_user_sgpr_kernarg_preload_offset 0
		.amdhsa_user_sgpr_private_segment_size 0
		.amdhsa_wavefront_size32 1
		.amdhsa_uses_dynamic_stack 0
		.amdhsa_enable_private_segment 1
		.amdhsa_system_sgpr_workgroup_id_x 1
		.amdhsa_system_sgpr_workgroup_id_y 1
		.amdhsa_system_sgpr_workgroup_id_z 1
		.amdhsa_system_sgpr_workgroup_info 0
		.amdhsa_system_vgpr_workitem_id 1
		.amdhsa_next_free_vgpr 49
		.amdhsa_next_free_sgpr 58
		.amdhsa_named_barrier_count 0
		.amdhsa_reserve_vcc 1
		.amdhsa_float_round_mode_32 0
		.amdhsa_float_round_mode_16_64 0
		.amdhsa_float_denorm_mode_32 3
		.amdhsa_float_denorm_mode_16_64 3
		.amdhsa_fp16_overflow 0
		.amdhsa_memory_ordered 1
		.amdhsa_forward_progress 1
		.amdhsa_inst_pref_size 12
		.amdhsa_round_robin_scheduling 0
		.amdhsa_exception_fp_ieee_invalid_op 0
		.amdhsa_exception_fp_denorm_src 0
		.amdhsa_exception_fp_ieee_div_zero 0
		.amdhsa_exception_fp_ieee_overflow 0
		.amdhsa_exception_fp_ieee_underflow 0
		.amdhsa_exception_fp_ieee_inexact 0
		.amdhsa_exception_int_div_zero 0
	.end_amdhsa_kernel
	.section	.text._ZN9rocsolver6v33100L17syevj_diag_rotateILb1E19rocblas_complex_numIfEfPS3_EEvbiiT2_iilPT0_Pii,"axG",@progbits,_ZN9rocsolver6v33100L17syevj_diag_rotateILb1E19rocblas_complex_numIfEfPS3_EEvbiiT2_iilPT0_Pii,comdat
.Lfunc_end91:
	.size	_ZN9rocsolver6v33100L17syevj_diag_rotateILb1E19rocblas_complex_numIfEfPS3_EEvbiiT2_iilPT0_Pii, .Lfunc_end91-_ZN9rocsolver6v33100L17syevj_diag_rotateILb1E19rocblas_complex_numIfEfPS3_EEvbiiT2_iilPT0_Pii
                                        ; -- End function
	.set _ZN9rocsolver6v33100L17syevj_diag_rotateILb1E19rocblas_complex_numIfEfPS3_EEvbiiT2_iilPT0_Pii.num_vgpr, max(42, .L__assert_fail.num_vgpr)
	.set _ZN9rocsolver6v33100L17syevj_diag_rotateILb1E19rocblas_complex_numIfEfPS3_EEvbiiT2_iilPT0_Pii.num_agpr, max(0, .L__assert_fail.num_agpr)
	.set _ZN9rocsolver6v33100L17syevj_diag_rotateILb1E19rocblas_complex_numIfEfPS3_EEvbiiT2_iilPT0_Pii.numbered_sgpr, max(58, .L__assert_fail.numbered_sgpr)
	.set _ZN9rocsolver6v33100L17syevj_diag_rotateILb1E19rocblas_complex_numIfEfPS3_EEvbiiT2_iilPT0_Pii.num_named_barrier, max(0, .L__assert_fail.num_named_barrier)
	.set _ZN9rocsolver6v33100L17syevj_diag_rotateILb1E19rocblas_complex_numIfEfPS3_EEvbiiT2_iilPT0_Pii.private_seg_size, 0+max(.L__assert_fail.private_seg_size)
	.set _ZN9rocsolver6v33100L17syevj_diag_rotateILb1E19rocblas_complex_numIfEfPS3_EEvbiiT2_iilPT0_Pii.uses_vcc, or(1, .L__assert_fail.uses_vcc)
	.set _ZN9rocsolver6v33100L17syevj_diag_rotateILb1E19rocblas_complex_numIfEfPS3_EEvbiiT2_iilPT0_Pii.uses_flat_scratch, or(0, .L__assert_fail.uses_flat_scratch)
	.set _ZN9rocsolver6v33100L17syevj_diag_rotateILb1E19rocblas_complex_numIfEfPS3_EEvbiiT2_iilPT0_Pii.has_dyn_sized_stack, or(0, .L__assert_fail.has_dyn_sized_stack)
	.set _ZN9rocsolver6v33100L17syevj_diag_rotateILb1E19rocblas_complex_numIfEfPS3_EEvbiiT2_iilPT0_Pii.has_recursion, or(0, .L__assert_fail.has_recursion)
	.set _ZN9rocsolver6v33100L17syevj_diag_rotateILb1E19rocblas_complex_numIfEfPS3_EEvbiiT2_iilPT0_Pii.has_indirect_call, or(0, .L__assert_fail.has_indirect_call)
	.section	.AMDGPU.csdata,"",@progbits
; Kernel info:
; codeLenInByte = 1532
; TotalNumSgprs: 60
; NumVgprs: 49
; ScratchSize: 64
; MemoryBound: 0
; FloatMode: 240
; IeeeMode: 1
; LDSByteSize: 0 bytes/workgroup (compile time only)
; SGPRBlocks: 0
; VGPRBlocks: 3
; NumSGPRsForWavesPerEU: 60
; NumVGPRsForWavesPerEU: 49
; NamedBarCnt: 0
; Occupancy: 16
; WaveLimiterHint : 1
; COMPUTE_PGM_RSRC2:SCRATCH_EN: 1
; COMPUTE_PGM_RSRC2:USER_SGPR: 2
; COMPUTE_PGM_RSRC2:TRAP_HANDLER: 0
; COMPUTE_PGM_RSRC2:TGID_X_EN: 1
; COMPUTE_PGM_RSRC2:TGID_Y_EN: 1
; COMPUTE_PGM_RSRC2:TGID_Z_EN: 1
; COMPUTE_PGM_RSRC2:TIDIG_COMP_CNT: 1
	.section	.text._ZN9rocsolver6v33100L21syevj_offd_kernel_orgI19rocblas_complex_numIfEfPS3_EEviiT1_iilT0_PT_PiS9_S9_,"axG",@progbits,_ZN9rocsolver6v33100L21syevj_offd_kernel_orgI19rocblas_complex_numIfEfPS3_EEviiT1_iilT0_PT_PiS9_S9_,comdat
	.globl	_ZN9rocsolver6v33100L21syevj_offd_kernel_orgI19rocblas_complex_numIfEfPS3_EEviiT1_iilT0_PT_PiS9_S9_ ; -- Begin function _ZN9rocsolver6v33100L21syevj_offd_kernel_orgI19rocblas_complex_numIfEfPS3_EEviiT1_iilT0_PT_PiS9_S9_
	.p2align	8
	.type	_ZN9rocsolver6v33100L21syevj_offd_kernel_orgI19rocblas_complex_numIfEfPS3_EEviiT1_iilT0_PT_PiS9_S9_,@function
_ZN9rocsolver6v33100L21syevj_offd_kernel_orgI19rocblas_complex_numIfEfPS3_EEviiT1_iilT0_PT_PiS9_S9_: ; @_ZN9rocsolver6v33100L21syevj_offd_kernel_orgI19rocblas_complex_numIfEfPS3_EEviiT1_iilT0_PT_PiS9_S9_
; %bb.0:
	s_load_b256 s[4:11], s[0:1], 0x28
	s_bfe_u32 s2, ttmp6, 0x40014
	s_lshr_b32 s3, ttmp7, 16
	s_add_co_i32 s2, s2, 1
	s_bfe_u32 s13, ttmp6, 0x40008
	s_mul_i32 s12, s3, s2
	s_getreg_b32 s2, hwreg(HW_REG_IB_STS2, 6, 4)
	s_add_co_i32 s13, s13, s12
	s_cmp_eq_u32 s2, 0
	s_mov_b32 s17, 0
	s_cselect_b32 s16, s3, s13
	s_wait_kmcnt 0x0
	s_load_b32 s3, s[10:11], s16 offset:0x4 scale_offset
	s_wait_kmcnt 0x0
	s_cmp_lg_u32 s3, 0
	s_cbranch_scc1 .LBB92_51
; %bb.1:
	s_bfe_u32 s3, ttmp6, 0x4000c
	s_and_b32 s10, ttmp6, 15
	s_add_co_i32 s3, s3, 1
	s_delay_alu instid0(SALU_CYCLE_1) | instskip(NEXT) | instid1(SALU_CYCLE_1)
	s_mul_i32 s3, ttmp9, s3
	s_add_co_i32 s10, s10, s3
	s_cmp_eq_u32 s2, 0
	s_cselect_b32 s2, ttmp9, s10
	s_load_b32 s3, s[6:7], s2 offset:0x0 scale_offset
	s_load_b32 s12, s[8:9], s2 offset:0x0 scale_offset
	s_load_b64 s[10:11], s[0:1], 0x0
	s_wait_kmcnt 0x0
	s_max_i32 s20, s3, s12
	s_delay_alu instid0(SALU_CYCLE_1)
	s_cmp_ge_i32 s20, s10
	s_cbranch_scc1 .LBB92_51
; %bb.2:
	s_load_b32 s6, s[0:1], 0x54
	v_bfe_u32 v1, v0, 10, 10
	s_min_i32 s3, s3, s12
	s_wait_kmcnt 0x0
	s_and_b32 s18, s6, 0xffff
	s_mov_b32 s6, exec_lo
	s_mul_i32 s3, s3, s18
	s_delay_alu instid0(SALU_CYCLE_1) | instskip(NEXT) | instid1(VALU_DEP_1)
	v_add_nc_u32_e32 v21, s3, v1
	v_cmpx_gt_i32_e64 s11, v21
	s_cbranch_execz .LBB92_51
; %bb.3:
	s_cmp_eq_u64 s[4:5], 0
	s_mov_b64 s[12:13], 0
	s_cbranch_scc1 .LBB92_5
; %bb.4:
	s_add_nc_u64 s[6:7], s[0:1], 0x48
	s_load_b32 s6, s[6:7], 0x0
	s_wait_kmcnt 0x0
	s_mul_i32 s6, s6, s16
	s_delay_alu instid0(SALU_CYCLE_1) | instskip(NEXT) | instid1(SALU_CYCLE_1)
	s_add_co_i32 s2, s6, s2
	s_mul_i32 s2, s2, s18
	s_delay_alu instid0(SALU_CYCLE_1) | instskip(NEXT) | instid1(SALU_CYCLE_1)
	s_mul_i32 s2, s2, s18
	s_lshl_b32 s6, s2, 2
	s_delay_alu instid0(SALU_CYCLE_1) | instskip(NEXT) | instid1(SALU_CYCLE_1)
	s_ashr_i32 s7, s6, 31
	s_lshl_b64 s[6:7], s[6:7], 3
	s_delay_alu instid0(SALU_CYCLE_1)
	s_add_nc_u64 s[12:13], s[4:5], s[6:7]
.LBB92_5:
	v_and_b32_e32 v0, 0x3ff, v0
	v_add_nc_u32_e32 v2, s18, v1
	s_lshl_b32 s2, s18, 1
	s_cmp_lg_u64 s[12:13], 0
	s_cselect_b32 s19, -1, 0
	s_delay_alu instid0(VALU_DEP_1)
	v_mad_u32_u24 v4, v2, s2, v0
	s_cmp_eq_u64 s[12:13], 0
	s_cbranch_scc1 .LBB92_7
; %bb.6:
	v_cmp_eq_u32_e32 vcc_lo, v0, v1
	v_dual_add_nc_u32 v3, s18, v0 :: v_dual_mov_b32 v7, 0
	v_mov_b64_e32 v[8:9], 0
	v_mad_u32_u24 v5, s2, v1, v0
	v_cndmask_b32_e64 v6, 0, 1.0, vcc_lo
	s_delay_alu instid0(VALU_DEP_4)
	v_mad_u32_u24 v10, s2, v1, v3
	v_mad_u32_u24 v3, v2, s2, v3
	s_clause 0x3
	global_store_b64 v5, v[6:7], s[12:13] scale_offset
	global_store_b64 v4, v[8:9], s[12:13] scale_offset
	;; [unrolled: 1-line block ×4, first 2 shown]
.LBB92_7:
	s_cmp_eq_u32 s18, 0
	s_mov_b32 s15, 0
	s_cbranch_scc1 .LBB92_51
; %bb.8:
	s_clause 0x1
	s_load_b96 s[8:10], s[0:1], 0x18
	s_load_b128 s[4:7], s[0:1], 0x8
	s_wait_xcnt 0x0
	s_cvt_f32_u32 s1, s18
	v_dual_add_nc_u32 v32, s3, v0 :: v_dual_lshlrev_b32 v5, 3, v0
	s_lshl_b32 s21, s18, 2
	s_delay_alu instid0(SALU_CYCLE_1) | instskip(SKIP_1) | instid1(SALU_CYCLE_1)
	v_rcp_iflag_f32_e32 v6, s1
	s_mul_i32 s20, s20, s18
	v_dual_mov_b32 v3, 0 :: v_dual_add_nc_u32 v36, s20, v1
	v_add3_u32 v37, 0, s21, v5
	s_sub_co_i32 s3, 0, s18
	s_mov_b32 s14, 0x800000
	s_delay_alu instid0(TRANS32_DEP_1)
	v_readfirstlane_b32 s21, v6
	v_cmp_eq_u32_e64 s0, 0, v1
	v_mul_u32_u24_e32 v34, s2, v1
	v_dual_mov_b32 v5, v3 :: v_dual_mov_b32 v1, v3
	s_mul_f32 s21, s21, 0x4f7ffffe
	v_mul_u32_u24_e32 v35, s2, v2
	s_wait_kmcnt 0x0
	v_div_scale_f32 v7, null, s10, s10, 0x800000
	s_ashr_i32 s23, s6, 31
	s_mov_b32 s22, s6
	s_cvt_u32_f32 s6, s21
	v_rcp_f32_e32 v14, v7
	v_xor_b32_e32 v13, 0x80000000, v7
	v_mul_lo_u32 v38, v32, s7
	s_mul_i32 s3, s3, s6
	v_div_scale_f32 v15, vcc_lo, s14, s10, s14
	s_mul_hi_u32 s3, s6, s3
	s_delay_alu instid0(TRANS32_DEP_1)
	v_fma_f32 v6, v13, v14, 1.0
	s_add_co_i32 s14, s6, s3
	v_mul_lo_u32 v39, v21, s7
	v_mul_lo_u32 v40, v36, s7
	s_mul_u64 s[8:9], s[8:9], s[16:17]
	v_fmac_f32_e32 v14, v6, v14
	v_mul_u64_e32 v[6:7], s[14:15], v[0:1]
	v_add_lshl_u32 v2, v34, v0, 3
	s_lshl_b64 s[8:9], s[8:9], 3
	s_lshl_b64 s[16:17], s[22:23], 3
	v_dual_mul_f32 v17, v15, v14 :: v_dual_add_nc_u32 v8, v38, v32
	s_add_nc_u64 s[4:5], s[4:5], s[8:9]
	v_dual_add_nc_u32 v16, v39, v32 :: v_dual_add_nc_u32 v18, v40, v32
	s_delay_alu instid0(VALU_DEP_2)
	v_fma_f32 v1, v13, v17, v15
	v_add_nc_u32_e32 v10, v38, v21
	v_cmp_gt_i32_e64 s1, s11, v32
	v_add_nc_u64_e32 v[2:3], s[12:13], v[2:3]
	s_add_nc_u64 s[8:9], s[4:5], s[16:17]
	v_dual_fmac_f32 v17, v1, v14 :: v_dual_add_nc_u32 v12, v38, v36
	v_dual_ashrrev_i32 v11, 31, v10 :: v_dual_ashrrev_i32 v9, 31, v8
	v_lshl_add_u32 v33, v0, 2, 0
	s_delay_alu instid0(VALU_DEP_3) | instskip(SKIP_3) | instid1(VALU_DEP_4)
	v_dual_fmac_f32 v15, v13, v17 :: v_dual_ashrrev_i32 v13, 31, v12
	v_ashrrev_i32_e32 v19, 31, v18
	v_cmp_gt_i32_e64 s2, s11, v36
	v_lshl_add_u64 v[4:5], v[4:5], 3, s[12:13]
	v_div_fmas_f32 v1, v15, v14, v17
	v_ashrrev_i32_e32 v17, 31, v16
	v_mov_b64_e32 v[14:15], 0
	v_lshl_add_u64 v[8:9], v[8:9], 3, s[8:9]
	v_lshl_add_u64 v[10:11], v[10:11], 3, s[8:9]
	v_div_fixup_f32 v1, v1, s10, 0x800000
	v_lshl_add_u64 v[12:13], v[12:13], 3, s[8:9]
	v_lshl_add_u64 v[16:17], v[16:17], 3, s[8:9]
	;; [unrolled: 1-line block ×3, first 2 shown]
	s_and_b32 s5, s0, s1
	s_mov_b32 s6, s18
                                        ; implicit-def: $vgpr24
                                        ; implicit-def: $vgpr20
                                        ; implicit-def: $vgpr22
                                        ; implicit-def: $vgpr26_vgpr27
	s_branch .LBB92_10
.LBB92_9:                               ;   in Loop: Header=BB92_10 Depth=1
	s_wait_xcnt 0x0
	s_or_b32 exec_lo, exec_lo, s3
	v_add_nc_u64_e32 v[6:7], s[14:15], v[6:7]
	v_add_nc_u32_e32 v0, 1, v0
	s_add_co_i32 s6, s6, -1
	s_delay_alu instid0(SALU_CYCLE_1)
	s_cmp_lg_u32 s6, 0
	s_cbranch_scc0 .LBB92_51
.LBB92_10:                              ; =>This Inner Loop Header: Depth=1
	s_delay_alu instid0(VALU_DEP_2) | instskip(SKIP_1) | instid1(VALU_DEP_1)
	v_mul_lo_u32 v23, s18, v7
	v_not_b32_e32 v25, v7
	v_mad_u32 v25, s18, v25, v0
	s_delay_alu instid0(VALU_DEP_3) | instskip(NEXT) | instid1(VALU_DEP_1)
	v_sub_nc_u32_e32 v23, v0, v23
	v_cmp_le_u32_e32 vcc_lo, s18, v23
	s_delay_alu instid0(VALU_DEP_3) | instskip(NEXT) | instid1(VALU_DEP_1)
	v_cndmask_b32_e32 v23, v23, v25, vcc_lo
	v_subrev_nc_u32_e32 v25, s18, v23
	v_cmp_le_u32_e32 vcc_lo, s18, v23
	s_delay_alu instid0(VALU_DEP_2) | instskip(NEXT) | instid1(VALU_DEP_1)
	v_cndmask_b32_e32 v23, v23, v25, vcc_lo
	v_add_nc_u32_e32 v41, s20, v23
	s_delay_alu instid0(VALU_DEP_1) | instskip(SKIP_2) | instid1(SALU_CYCLE_1)
	v_mul_lo_u32 v42, v41, s7
	v_cmp_gt_i32_e64 s3, s11, v41
	s_and_b32 s4, s5, s3
	s_and_saveexec_b32 s10, s4
	s_cbranch_execz .LBB92_36
; %bb.11:                               ;   in Loop: Header=BB92_10 Depth=1
	v_add_nc_u32_e32 v24, v42, v32
                                        ; implicit-def: $vgpr25
	s_mov_b32 s4, exec_lo
	global_load_b64 v[28:29], v24, s[8:9] scale_offset
	s_wait_loadcnt 0x0
	v_cmp_gt_f32_e32 vcc_lo, 0, v28
	s_wait_xcnt 0x0
	v_cndmask_b32_e64 v24, v28, -v28, vcc_lo
	v_cmp_gt_f32_e32 vcc_lo, 0, v29
	v_cndmask_b32_e64 v26, v29, -v29, vcc_lo
	s_delay_alu instid0(VALU_DEP_1)
	v_cmpx_ngt_f32_e32 v24, v26
	s_xor_b32 s16, exec_lo, s4
	s_cbranch_execz .LBB92_15
; %bb.12:                               ;   in Loop: Header=BB92_10 Depth=1
	v_mov_b32_e32 v25, 0
	s_mov_b32 s17, exec_lo
	v_cmpx_neq_f32_e32 0, v29
	s_cbranch_execz .LBB92_14
; %bb.13:                               ;   in Loop: Header=BB92_10 Depth=1
	v_div_scale_f32 v25, null, v26, v26, v24
	v_div_scale_f32 v31, vcc_lo, v24, v26, v24
	s_delay_alu instid0(VALU_DEP_2) | instskip(SKIP_1) | instid1(TRANS32_DEP_1)
	v_rcp_f32_e32 v27, v25
	v_nop
	v_fma_f32 v30, -v25, v27, 1.0
	s_delay_alu instid0(VALU_DEP_1) | instskip(NEXT) | instid1(VALU_DEP_1)
	v_fmac_f32_e32 v27, v30, v27
	v_mul_f32_e32 v30, v31, v27
	s_delay_alu instid0(VALU_DEP_1) | instskip(NEXT) | instid1(VALU_DEP_1)
	v_fma_f32 v43, -v25, v30, v31
	v_fmac_f32_e32 v30, v43, v27
	s_delay_alu instid0(VALU_DEP_1) | instskip(NEXT) | instid1(VALU_DEP_1)
	v_fma_f32 v25, -v25, v30, v31
	v_div_fmas_f32 v25, v25, v27, v30
	s_delay_alu instid0(VALU_DEP_1) | instskip(NEXT) | instid1(VALU_DEP_1)
	v_div_fixup_f32 v24, v25, v26, v24
	v_fma_f32 v24, v24, v24, 1.0
	s_delay_alu instid0(VALU_DEP_1) | instskip(SKIP_1) | instid1(VALU_DEP_2)
	v_mul_f32_e32 v25, 0x4f800000, v24
	v_cmp_gt_f32_e32 vcc_lo, 0xf800000, v24
	v_cndmask_b32_e32 v24, v24, v25, vcc_lo
	s_delay_alu instid0(VALU_DEP_1) | instskip(SKIP_1) | instid1(TRANS32_DEP_1)
	v_sqrt_f32_e32 v25, v24
	v_nop
	v_dual_add_nc_u32 v27, -1, v25 :: v_dual_add_nc_u32 v30, 1, v25
	s_delay_alu instid0(VALU_DEP_1) | instskip(NEXT) | instid1(VALU_DEP_1)
	v_fma_f32 v31, -v27, v25, v24
	v_cmp_ge_f32_e64 s4, 0, v31
	s_delay_alu instid0(VALU_DEP_1) | instskip(NEXT) | instid1(VALU_DEP_1)
	v_dual_fma_f32 v43, -v30, v25, v24 :: v_dual_cndmask_b32 v25, v25, v27, s4
	v_cmp_lt_f32_e64 s4, 0, v43
	s_delay_alu instid0(VALU_DEP_1) | instskip(NEXT) | instid1(VALU_DEP_1)
	v_cndmask_b32_e64 v25, v25, v30, s4
	v_mul_f32_e32 v27, 0x37800000, v25
	s_delay_alu instid0(VALU_DEP_1) | instskip(SKIP_1) | instid1(VALU_DEP_2)
	v_cndmask_b32_e32 v25, v25, v27, vcc_lo
	v_cmp_class_f32_e64 vcc_lo, v24, 0x260
	v_cndmask_b32_e32 v24, v25, v24, vcc_lo
	s_delay_alu instid0(VALU_DEP_1)
	v_mul_f32_e32 v25, v26, v24
.LBB92_14:                              ;   in Loop: Header=BB92_10 Depth=1
	s_or_b32 exec_lo, exec_lo, s17
                                        ; implicit-def: $vgpr24
                                        ; implicit-def: $vgpr26
.LBB92_15:                              ;   in Loop: Header=BB92_10 Depth=1
	s_and_not1_saveexec_b32 s16, s16
	s_cbranch_execz .LBB92_17
; %bb.16:                               ;   in Loop: Header=BB92_10 Depth=1
	v_div_scale_f32 v25, null, v24, v24, v26
	v_div_scale_f32 v31, vcc_lo, v26, v24, v26
	s_delay_alu instid0(VALU_DEP_2) | instskip(SKIP_1) | instid1(TRANS32_DEP_1)
	v_rcp_f32_e32 v27, v25
	v_nop
	v_fma_f32 v30, -v25, v27, 1.0
	s_delay_alu instid0(VALU_DEP_1) | instskip(NEXT) | instid1(VALU_DEP_1)
	v_fmac_f32_e32 v27, v30, v27
	v_mul_f32_e32 v30, v31, v27
	s_delay_alu instid0(VALU_DEP_1) | instskip(NEXT) | instid1(VALU_DEP_1)
	v_fma_f32 v43, -v25, v30, v31
	v_fmac_f32_e32 v30, v43, v27
	s_delay_alu instid0(VALU_DEP_1) | instskip(NEXT) | instid1(VALU_DEP_1)
	v_fma_f32 v25, -v25, v30, v31
	v_div_fmas_f32 v25, v25, v27, v30
	s_delay_alu instid0(VALU_DEP_1) | instskip(NEXT) | instid1(VALU_DEP_1)
	v_div_fixup_f32 v25, v25, v24, v26
	v_fma_f32 v25, v25, v25, 1.0
	s_delay_alu instid0(VALU_DEP_1) | instskip(SKIP_1) | instid1(VALU_DEP_2)
	v_mul_f32_e32 v26, 0x4f800000, v25
	v_cmp_gt_f32_e32 vcc_lo, 0xf800000, v25
	v_cndmask_b32_e32 v25, v25, v26, vcc_lo
	s_delay_alu instid0(VALU_DEP_1) | instskip(SKIP_1) | instid1(TRANS32_DEP_1)
	v_sqrt_f32_e32 v26, v25
	v_nop
	v_dual_add_nc_u32 v27, -1, v26 :: v_dual_add_nc_u32 v30, 1, v26
	s_delay_alu instid0(VALU_DEP_1) | instskip(NEXT) | instid1(VALU_DEP_1)
	v_dual_fma_f32 v31, -v27, v26, v25 :: v_dual_fma_f32 v43, -v30, v26, v25
	v_cmp_ge_f32_e64 s4, 0, v31
	s_delay_alu instid0(VALU_DEP_1) | instskip(NEXT) | instid1(VALU_DEP_3)
	v_cndmask_b32_e64 v26, v26, v27, s4
	v_cmp_lt_f32_e64 s4, 0, v43
	s_delay_alu instid0(VALU_DEP_1) | instskip(NEXT) | instid1(VALU_DEP_1)
	v_cndmask_b32_e64 v26, v26, v30, s4
	v_mul_f32_e32 v27, 0x37800000, v26
	s_delay_alu instid0(VALU_DEP_1) | instskip(SKIP_1) | instid1(VALU_DEP_2)
	v_cndmask_b32_e32 v26, v26, v27, vcc_lo
	v_cmp_class_f32_e64 vcc_lo, v25, 0x260
	v_cndmask_b32_e32 v25, v26, v25, vcc_lo
	s_delay_alu instid0(VALU_DEP_1)
	v_mul_f32_e32 v25, v24, v25
.LBB92_17:                              ;   in Loop: Header=BB92_10 Depth=1
	s_or_b32 exec_lo, exec_lo, s16
	s_delay_alu instid0(VALU_DEP_1) | instskip(SKIP_1) | instid1(VALU_DEP_2)
	v_mul_f32_e32 v24, v25, v25
	v_mov_b64_e32 v[26:27], 0
	v_cmp_nlt_f32_e32 vcc_lo, v24, v1
	v_mov_b32_e32 v24, 1.0
	s_and_saveexec_b32 s16, vcc_lo
	s_cbranch_execz .LBB92_35
; %bb.18:                               ;   in Loop: Header=BB92_10 Depth=1
	v_add_nc_u32_e32 v26, v42, v41
	s_mov_b32 s4, exec_lo
	s_delay_alu instid0(VALU_DEP_1) | instskip(NEXT) | instid1(VALU_DEP_1)
	v_ashrrev_i32_e32 v27, 31, v26
	v_lshl_add_u64 v[26:27], v[26:27], 3, s[8:9]
	s_clause 0x1
	global_load_b32 v24, v[26:27], off
	global_load_b32 v30, v[8:9], off
	s_wait_loadcnt 0x0
	s_wait_xcnt 0x1
	v_dual_add_f32 v27, v25, v25 :: v_dual_sub_f32 v30, v24, v30
	s_delay_alu instid0(VALU_DEP_1) | instskip(NEXT) | instid1(VALU_DEP_1)
	v_max_num_f32_e64 v24, |v30|, |v27|
	v_cvt_f64_f32_e32 v[44:45], v24
	s_delay_alu instid0(VALU_DEP_1) | instskip(NEXT) | instid1(VALU_DEP_1)
	v_frexp_exp_i32_f64_e32 v26, v[44:45]
	v_sub_nc_u32_e32 v31, 0, v26
	s_delay_alu instid0(VALU_DEP_1) | instskip(SKIP_1) | instid1(VALU_DEP_2)
	v_ldexp_f32 v43, |v27|, v31
	v_ldexp_f32 v31, |v30|, v31
	v_mul_f32_e32 v43, v43, v43
	s_delay_alu instid0(VALU_DEP_1) | instskip(NEXT) | instid1(VALU_DEP_1)
	v_fmac_f32_e32 v43, v31, v31
                                        ; implicit-def: $vgpr31
	v_sqrt_f32_e32 v43, v43
	s_wait_xcnt 0x0
	v_cmpx_ngt_f32_e32 0, v30
	s_xor_b32 s4, exec_lo, s4
; %bb.19:                               ;   in Loop: Header=BB92_10 Depth=1
	s_delay_alu instid0(TRANS32_DEP_1) | instskip(SKIP_1) | instid1(VALU_DEP_2)
	v_ldexp_f32 v26, v43, v26
	v_cmp_neq_f32_e32 vcc_lo, 0x7f800000, v24
                                        ; implicit-def: $vgpr43
                                        ; implicit-def: $vgpr24
	v_cndmask_b32_e32 v31, 0x7f800000, v26, vcc_lo
                                        ; implicit-def: $vgpr26
; %bb.20:                               ;   in Loop: Header=BB92_10 Depth=1
	s_and_not1_saveexec_b32 s4, s4
; %bb.21:                               ;   in Loop: Header=BB92_10 Depth=1
	v_ldexp_f32 v26, -v43, v26
	v_cmp_neq_f32_e32 vcc_lo, 0x7f800000, v24
	s_delay_alu instid0(VALU_DEP_2)
	v_cndmask_b32_e32 v31, 0xff800000, v26, vcc_lo
; %bb.22:                               ;   in Loop: Header=BB92_10 Depth=1
	s_or_b32 exec_lo, exec_lo, s4
	v_dual_mov_b32 v26, 0 :: v_dual_mov_b32 v24, 1.0
	s_mov_b32 s17, exec_lo
	v_cmpx_neq_f32_e32 0, v27
	s_cbranch_execz .LBB92_30
; %bb.23:                               ;   in Loop: Header=BB92_10 Depth=1
	v_dual_add_f32 v30, v30, v31 :: v_dual_mov_b32 v24, 0
	v_mov_b32_e32 v26, 1.0
	s_mov_b32 s21, exec_lo
	s_delay_alu instid0(VALU_DEP_2)
	v_cmpx_neq_f32_e32 0, v30
	s_cbranch_execz .LBB92_29
; %bb.24:                               ;   in Loop: Header=BB92_10 Depth=1
	s_mov_b32 s22, exec_lo
                                        ; implicit-def: $vgpr24
                                        ; implicit-def: $vgpr26
	v_cmpx_ngt_f32_e64 |v27|, |v30|
	s_xor_b32 s22, exec_lo, s22
	s_cbranch_execz .LBB92_26
; %bb.25:                               ;   in Loop: Header=BB92_10 Depth=1
	v_div_scale_f32 v24, null, v30, v30, -v27
	v_div_scale_f32 v43, vcc_lo, -v27, v30, -v27
	s_delay_alu instid0(VALU_DEP_2) | instskip(SKIP_1) | instid1(TRANS32_DEP_1)
	v_rcp_f32_e32 v26, v24
	v_nop
	v_fma_f32 v31, -v24, v26, 1.0
	s_delay_alu instid0(VALU_DEP_1) | instskip(NEXT) | instid1(VALU_DEP_1)
	v_fmac_f32_e32 v26, v31, v26
	v_mul_f32_e32 v31, v43, v26
	s_delay_alu instid0(VALU_DEP_1) | instskip(NEXT) | instid1(VALU_DEP_1)
	v_fma_f32 v44, -v24, v31, v43
	v_fmac_f32_e32 v31, v44, v26
	s_delay_alu instid0(VALU_DEP_1) | instskip(NEXT) | instid1(VALU_DEP_1)
	v_fma_f32 v24, -v24, v31, v43
	v_div_fmas_f32 v24, v24, v26, v31
	s_delay_alu instid0(VALU_DEP_1) | instskip(NEXT) | instid1(VALU_DEP_1)
	v_div_fixup_f32 v26, v24, v30, -v27
	v_fma_f32 v24, v26, v26, 1.0
	s_delay_alu instid0(VALU_DEP_1) | instskip(SKIP_1) | instid1(VALU_DEP_2)
	v_mul_f32_e32 v27, 0x4f800000, v24
	v_cmp_gt_f32_e32 vcc_lo, 0xf800000, v24
	v_cndmask_b32_e32 v24, v24, v27, vcc_lo
	s_delay_alu instid0(VALU_DEP_1) | instskip(SKIP_1) | instid1(TRANS32_DEP_1)
	v_sqrt_f32_e32 v27, v24
	v_nop
	v_dual_add_nc_u32 v30, -1, v27 :: v_dual_add_nc_u32 v31, 1, v27
	s_delay_alu instid0(VALU_DEP_1) | instskip(NEXT) | instid1(VALU_DEP_1)
	v_dual_fma_f32 v43, -v30, v27, v24 :: v_dual_fma_f32 v44, -v31, v27, v24
	v_cmp_ge_f32_e64 s4, 0, v43
	s_delay_alu instid0(VALU_DEP_1) | instskip(NEXT) | instid1(VALU_DEP_3)
	v_cndmask_b32_e64 v27, v27, v30, s4
	v_cmp_lt_f32_e64 s4, 0, v44
	s_delay_alu instid0(VALU_DEP_1) | instskip(NEXT) | instid1(VALU_DEP_1)
	v_cndmask_b32_e64 v27, v27, v31, s4
	v_mul_f32_e32 v30, 0x37800000, v27
	s_delay_alu instid0(VALU_DEP_1) | instskip(SKIP_1) | instid1(VALU_DEP_2)
	v_cndmask_b32_e32 v27, v27, v30, vcc_lo
	v_cmp_class_f32_e64 vcc_lo, v24, 0x260
	v_cndmask_b32_e32 v24, v27, v24, vcc_lo
	s_delay_alu instid0(VALU_DEP_1) | instskip(NEXT) | instid1(VALU_DEP_1)
	v_div_scale_f32 v27, null, v24, v24, 1.0
	v_rcp_f32_e32 v30, v27
	v_nop
	s_delay_alu instid0(TRANS32_DEP_1) | instskip(NEXT) | instid1(VALU_DEP_1)
	v_fma_f32 v31, -v27, v30, 1.0
	v_fmac_f32_e32 v30, v31, v30
	v_div_scale_f32 v31, vcc_lo, 1.0, v24, 1.0
	s_delay_alu instid0(VALU_DEP_1) | instskip(NEXT) | instid1(VALU_DEP_1)
	v_mul_f32_e32 v43, v31, v30
	v_fma_f32 v44, -v27, v43, v31
	s_delay_alu instid0(VALU_DEP_1) | instskip(NEXT) | instid1(VALU_DEP_1)
	v_fmac_f32_e32 v43, v44, v30
	v_fma_f32 v27, -v27, v43, v31
	s_delay_alu instid0(VALU_DEP_1) | instskip(NEXT) | instid1(VALU_DEP_1)
	v_div_fmas_f32 v27, v27, v30, v43
                                        ; implicit-def: $vgpr30
	v_div_fixup_f32 v24, v27, v24, 1.0
                                        ; implicit-def: $vgpr27
	s_delay_alu instid0(VALU_DEP_1)
	v_mul_f32_e32 v26, v26, v24
.LBB92_26:                              ;   in Loop: Header=BB92_10 Depth=1
	s_and_not1_saveexec_b32 s22, s22
	s_cbranch_execz .LBB92_28
; %bb.27:                               ;   in Loop: Header=BB92_10 Depth=1
	v_div_scale_f32 v24, null, v27, v27, -v30
	v_div_scale_f32 v43, vcc_lo, -v30, v27, -v30
	s_delay_alu instid0(VALU_DEP_2) | instskip(SKIP_1) | instid1(TRANS32_DEP_1)
	v_rcp_f32_e32 v26, v24
	v_nop
	v_fma_f32 v31, -v24, v26, 1.0
	s_delay_alu instid0(VALU_DEP_1) | instskip(NEXT) | instid1(VALU_DEP_1)
	v_fmac_f32_e32 v26, v31, v26
	v_mul_f32_e32 v31, v43, v26
	s_delay_alu instid0(VALU_DEP_1) | instskip(NEXT) | instid1(VALU_DEP_1)
	v_fma_f32 v44, -v24, v31, v43
	v_fmac_f32_e32 v31, v44, v26
	s_delay_alu instid0(VALU_DEP_1) | instskip(NEXT) | instid1(VALU_DEP_1)
	v_fma_f32 v24, -v24, v31, v43
	v_div_fmas_f32 v24, v24, v26, v31
	s_delay_alu instid0(VALU_DEP_1) | instskip(NEXT) | instid1(VALU_DEP_1)
	v_div_fixup_f32 v24, v24, v27, -v30
	v_fma_f32 v26, v24, v24, 1.0
	s_delay_alu instid0(VALU_DEP_1) | instskip(SKIP_1) | instid1(VALU_DEP_2)
	v_mul_f32_e32 v27, 0x4f800000, v26
	v_cmp_gt_f32_e32 vcc_lo, 0xf800000, v26
	v_cndmask_b32_e32 v26, v26, v27, vcc_lo
	s_delay_alu instid0(VALU_DEP_1) | instskip(SKIP_1) | instid1(TRANS32_DEP_1)
	v_sqrt_f32_e32 v27, v26
	v_nop
	v_dual_add_nc_u32 v30, -1, v27 :: v_dual_add_nc_u32 v31, 1, v27
	s_delay_alu instid0(VALU_DEP_1) | instskip(NEXT) | instid1(VALU_DEP_1)
	v_dual_fma_f32 v43, -v30, v27, v26 :: v_dual_fma_f32 v44, -v31, v27, v26
	v_cmp_ge_f32_e64 s4, 0, v43
	s_delay_alu instid0(VALU_DEP_1) | instskip(NEXT) | instid1(VALU_DEP_3)
	v_cndmask_b32_e64 v27, v27, v30, s4
	v_cmp_lt_f32_e64 s4, 0, v44
	s_delay_alu instid0(VALU_DEP_1) | instskip(NEXT) | instid1(VALU_DEP_1)
	v_cndmask_b32_e64 v27, v27, v31, s4
	v_mul_f32_e32 v30, 0x37800000, v27
	s_delay_alu instid0(VALU_DEP_1) | instskip(SKIP_1) | instid1(VALU_DEP_2)
	v_cndmask_b32_e32 v27, v27, v30, vcc_lo
	v_cmp_class_f32_e64 vcc_lo, v26, 0x260
	v_cndmask_b32_e32 v26, v27, v26, vcc_lo
	s_delay_alu instid0(VALU_DEP_1) | instskip(NEXT) | instid1(VALU_DEP_1)
	v_div_scale_f32 v27, null, v26, v26, 1.0
	v_rcp_f32_e32 v30, v27
	v_nop
	s_delay_alu instid0(TRANS32_DEP_1) | instskip(NEXT) | instid1(VALU_DEP_1)
	v_fma_f32 v31, -v27, v30, 1.0
	v_fmac_f32_e32 v30, v31, v30
	v_div_scale_f32 v31, vcc_lo, 1.0, v26, 1.0
	s_delay_alu instid0(VALU_DEP_1) | instskip(NEXT) | instid1(VALU_DEP_1)
	v_mul_f32_e32 v43, v31, v30
	v_fma_f32 v44, -v27, v43, v31
	s_delay_alu instid0(VALU_DEP_1) | instskip(NEXT) | instid1(VALU_DEP_1)
	v_fmac_f32_e32 v43, v44, v30
	v_fma_f32 v27, -v27, v43, v31
	s_delay_alu instid0(VALU_DEP_1) | instskip(NEXT) | instid1(VALU_DEP_1)
	v_div_fmas_f32 v27, v27, v30, v43
	v_div_fixup_f32 v26, v27, v26, 1.0
	s_delay_alu instid0(VALU_DEP_1)
	v_mul_f32_e32 v24, v24, v26
.LBB92_28:                              ;   in Loop: Header=BB92_10 Depth=1
	s_or_b32 exec_lo, exec_lo, s22
.LBB92_29:                              ;   in Loop: Header=BB92_10 Depth=1
	s_delay_alu instid0(SALU_CYCLE_1)
	s_or_b32 exec_lo, exec_lo, s21
.LBB92_30:                              ;   in Loop: Header=BB92_10 Depth=1
	s_delay_alu instid0(SALU_CYCLE_1)
	s_or_b32 exec_lo, exec_lo, s17
	v_pk_mul_f32 v[28:29], v[28:29], v[26:27] op_sel_hi:[1,0]
	s_mov_b32 s4, exec_lo
                                        ; implicit-def: $vgpr26_vgpr27
	v_cmpx_lg_f32_e32 0, v25
	s_xor_b32 s4, exec_lo, s4
	s_cbranch_execz .LBB92_32
; %bb.31:                               ;   in Loop: Header=BB92_10 Depth=1
	v_div_scale_f32 v26, null, v25, v25, 0
	v_div_scale_f32 v31, vcc_lo, 0, v25, 0
	s_delay_alu instid0(VALU_DEP_2) | instskip(SKIP_1) | instid1(TRANS32_DEP_1)
	v_rcp_f32_e32 v27, v26
	v_nop
	v_fma_f32 v30, -v26, v27, 1.0
	s_delay_alu instid0(VALU_DEP_1) | instskip(NEXT) | instid1(VALU_DEP_1)
	v_fmac_f32_e32 v27, v30, v27
	v_mul_f32_e32 v30, v31, v27
	s_delay_alu instid0(VALU_DEP_1) | instskip(NEXT) | instid1(VALU_DEP_1)
	v_fma_f32 v43, -v26, v30, v31
	v_fmac_f32_e32 v30, v43, v27
	s_delay_alu instid0(VALU_DEP_1) | instskip(NEXT) | instid1(VALU_DEP_1)
	v_fma_f32 v26, -v26, v30, v31
	v_div_fmas_f32 v26, v26, v27, v30
	s_delay_alu instid0(VALU_DEP_1) | instskip(NEXT) | instid1(VALU_DEP_1)
	v_div_fixup_f32 v26, v26, v25, 0
	v_fmac_f32_e32 v25, 0, v26
	s_delay_alu instid0(VALU_DEP_1) | instskip(SKIP_1) | instid1(VALU_DEP_2)
	v_div_scale_f32 v27, null, v25, v25, 1.0
	v_div_scale_f32 v43, vcc_lo, 1.0, v25, 1.0
	v_rcp_f32_e32 v30, v27
	v_nop
	s_delay_alu instid0(TRANS32_DEP_1) | instskip(NEXT) | instid1(VALU_DEP_1)
	v_fma_f32 v31, -v27, v30, 1.0
	v_fmac_f32_e32 v30, v31, v30
	s_delay_alu instid0(VALU_DEP_1) | instskip(NEXT) | instid1(VALU_DEP_1)
	v_mul_f32_e32 v31, v43, v30
	v_fma_f32 v44, -v27, v31, v43
	s_delay_alu instid0(VALU_DEP_1) | instskip(NEXT) | instid1(VALU_DEP_1)
	v_fmac_f32_e32 v31, v44, v30
	v_fma_f32 v27, -v27, v31, v43
	s_delay_alu instid0(VALU_DEP_1) | instskip(SKIP_2) | instid1(VALU_DEP_3)
	v_div_fmas_f32 v43, v27, v30, v31
	v_pk_fma_f32 v[30:31], v[26:27], v[28:29], v[28:29] op_sel:[0,1,0] op_sel_hi:[0,0,1] neg_lo:[1,0,0] neg_hi:[1,0,0]
	v_pk_fma_f32 v[26:27], v[26:27], v[28:29], v[28:29] op_sel:[0,1,0] op_sel_hi:[1,0,1]
	v_div_fixup_f32 v28, v43, v25, 1.0
	s_delay_alu instid0(VALU_DEP_3) | instskip(NEXT) | instid1(VALU_DEP_1)
	v_mov_b32_e32 v27, v31
                                        ; implicit-def: $vgpr25
	v_pk_mul_f32 v[26:27], v[28:29], v[26:27] op_sel_hi:[0,1]
                                        ; implicit-def: $vgpr28_vgpr29
.LBB92_32:                              ;   in Loop: Header=BB92_10 Depth=1
	s_and_not1_saveexec_b32 s4, s4
	s_cbranch_execz .LBB92_34
; %bb.33:                               ;   in Loop: Header=BB92_10 Depth=1
	v_div_scale_f32 v26, null, 0, 0, v25
	v_div_scale_f32 v31, vcc_lo, v25, 0, v25
	s_delay_alu instid0(VALU_DEP_2) | instskip(SKIP_1) | instid1(TRANS32_DEP_1)
	v_rcp_f32_e32 v27, v26
	v_nop
	v_fma_f32 v30, -v26, v27, 1.0
	s_delay_alu instid0(VALU_DEP_1) | instskip(NEXT) | instid1(VALU_DEP_1)
	v_fmac_f32_e32 v27, v30, v27
	v_mul_f32_e32 v30, v31, v27
	s_delay_alu instid0(VALU_DEP_1) | instskip(NEXT) | instid1(VALU_DEP_1)
	v_fma_f32 v43, -v26, v30, v31
	v_fmac_f32_e32 v30, v43, v27
	s_delay_alu instid0(VALU_DEP_1) | instskip(NEXT) | instid1(VALU_DEP_1)
	v_fma_f32 v26, -v26, v30, v31
	v_div_fmas_f32 v26, v26, v27, v30
	s_delay_alu instid0(VALU_DEP_1) | instskip(NEXT) | instid1(VALU_DEP_1)
	v_div_fixup_f32 v26, v26, 0, v25
	v_fma_f32 v25, v25, v26, 0
	s_delay_alu instid0(VALU_DEP_1) | instskip(SKIP_1) | instid1(VALU_DEP_2)
	v_div_scale_f32 v27, null, v25, v25, 1.0
	v_div_scale_f32 v43, vcc_lo, 1.0, v25, 1.0
	v_rcp_f32_e32 v30, v27
	v_nop
	s_delay_alu instid0(TRANS32_DEP_1) | instskip(NEXT) | instid1(VALU_DEP_1)
	v_fma_f32 v31, -v27, v30, 1.0
	v_fmac_f32_e32 v30, v31, v30
	s_delay_alu instid0(VALU_DEP_1) | instskip(NEXT) | instid1(VALU_DEP_1)
	v_mul_f32_e32 v31, v43, v30
	v_fma_f32 v44, -v27, v31, v43
	s_delay_alu instid0(VALU_DEP_1) | instskip(NEXT) | instid1(VALU_DEP_1)
	v_fmac_f32_e32 v31, v44, v30
	v_fma_f32 v27, -v27, v31, v43
	s_delay_alu instid0(VALU_DEP_1) | instskip(SKIP_2) | instid1(VALU_DEP_3)
	v_div_fmas_f32 v43, v27, v30, v31
	v_pk_fma_f32 v[30:31], v[26:27], v[28:29], v[28:29] op_sel:[0,0,1] op_sel_hi:[0,1,0] neg_lo:[0,0,1] neg_hi:[0,0,1]
	v_pk_fma_f32 v[26:27], v[26:27], v[28:29], v[28:29] op_sel:[0,0,1] op_sel_hi:[1,1,0]
	v_div_fixup_f32 v28, v43, v25, 1.0
	s_delay_alu instid0(VALU_DEP_3) | instskip(NEXT) | instid1(VALU_DEP_1)
	v_mov_b32_e32 v27, v31
	v_pk_mul_f32 v[26:27], v[28:29], v[26:27] op_sel_hi:[0,1]
.LBB92_34:                              ;   in Loop: Header=BB92_10 Depth=1
	s_or_b32 exec_lo, exec_lo, s4
.LBB92_35:                              ;   in Loop: Header=BB92_10 Depth=1
	s_delay_alu instid0(SALU_CYCLE_1)
	s_or_b32 exec_lo, exec_lo, s16
	ds_store_b32 v33, v24
	ds_store_2addr_b32 v37, v26, v27 offset1:1
.LBB92_36:                              ;   in Loop: Header=BB92_10 Depth=1
	s_or_b32 exec_lo, exec_lo, s10
	s_and_b32 s4, s1, s3
	s_wait_storecnt_dscnt 0x0
	s_barrier_signal -1
	s_barrier_wait -1
	s_and_saveexec_b32 s10, s4
	s_cbranch_execz .LBB92_45
; %bb.37:                               ;   in Loop: Header=BB92_10 Depth=1
	ds_load_2addr_b32 v[26:27], v37 offset1:1
	ds_load_b32 v24, v33
	s_and_b32 vcc_lo, exec_lo, s19
	s_wait_dscnt 0x1
	v_xor_b32_e32 v20, 0x80000000, v27
	s_cbranch_vccz .LBB92_50
; %bb.38:                               ;   in Loop: Header=BB92_10 Depth=1
	v_dual_add_nc_u32 v25, s18, v23 :: v_dual_mov_b32 v23, v27
	v_xor_b32_e32 v22, 0x80000000, v27
	s_delay_alu instid0(VALU_DEP_2)
	v_add_nc_u32_e32 v43, v25, v34
	s_clause 0x1
	global_load_b64 v[28:29], v43, s[12:13] scale_offset
	global_load_b64 v[30:31], v[2:3], off
	s_wait_loadcnt 0x1
	v_pk_mul_f32 v[44:45], v[26:27], v[28:29] op_sel:[1,0]
	s_wait_loadcnt 0x0
	v_pk_mul_f32 v[48:49], v[22:23], v[30:31]
	s_delay_alu instid0(VALU_DEP_2) | instskip(SKIP_1) | instid1(VALU_DEP_2)
	v_pk_fma_f32 v[46:47], v[28:29], v[26:27], v[44:45] op_sel:[0,0,1] op_sel_hi:[1,0,0] neg_lo:[0,0,1] neg_hi:[0,0,1]
	v_pk_fma_f32 v[44:45], v[28:29], v[26:27], v[44:45] op_sel:[0,0,1] op_sel_hi:[1,1,0]
	v_mov_b32_e32 v45, v47
	s_delay_alu instid0(VALU_DEP_4) | instskip(SKIP_1) | instid1(VALU_DEP_2)
	v_pk_fma_f32 v[46:47], v[30:31], v[26:27], v[48:49] op_sel:[0,0,1] op_sel_hi:[1,0,0] neg_lo:[1,0,0] neg_hi:[1,0,0]
	s_wait_dscnt 0x0
	v_pk_fma_f32 v[30:31], v[24:25], v[30:31], v[44:45] op_sel_hi:[0,1,1]
	s_delay_alu instid0(VALU_DEP_2)
	v_pk_fma_f32 v[28:29], v[24:25], v[28:29], v[46:47] op_sel_hi:[0,1,1]
	s_clause 0x1
	global_store_b64 v[2:3], v[30:31], off
	global_store_b64 v43, v[28:29], s[12:13] scale_offset
	s_wait_xcnt 0x0
	s_and_saveexec_b32 s16, s2
	s_cbranch_execz .LBB92_40
; %bb.39:                               ;   in Loop: Header=BB92_10 Depth=1
	v_dual_mov_b32 v44, v27 :: v_dual_add_nc_u32 v43, v25, v35
	v_dual_mov_b32 v45, v27 :: v_dual_mov_b32 v46, v26
	v_dual_mov_b32 v47, v26 :: v_dual_mov_b32 v25, v24
	s_clause 0x1
	global_load_b64 v[28:29], v43, s[12:13] scale_offset
	global_load_b64 v[30:31], v[4:5], off
	s_wait_loadcnt 0x1
	v_pk_mul_f32 v[44:45], v[44:45], v[28:29]
	s_wait_loadcnt 0x0
	v_pk_mul_f32 v[50:51], v[22:23], v[30:31]
	s_delay_alu instid0(VALU_DEP_2) | instskip(SKIP_1) | instid1(VALU_DEP_3)
	v_pk_fma_f32 v[48:49], v[28:29], v[46:47], v[44:45] op_sel:[0,0,1] op_sel_hi:[1,1,0] neg_lo:[0,0,1] neg_hi:[0,0,1]
	v_pk_fma_f32 v[44:45], v[28:29], v[46:47], v[44:45] op_sel:[0,0,1] op_sel_hi:[1,1,0]
	v_pk_fma_f32 v[46:47], v[30:31], v[46:47], v[50:51] op_sel:[0,0,1] op_sel_hi:[1,1,0] neg_lo:[1,0,0] neg_hi:[1,0,0]
	s_delay_alu instid0(VALU_DEP_3) | instskip(NEXT) | instid1(VALU_DEP_2)
	v_mov_b32_e32 v45, v49
	v_pk_fma_f32 v[28:29], v[24:25], v[28:29], v[46:47]
	s_delay_alu instid0(VALU_DEP_2)
	v_pk_fma_f32 v[30:31], v[24:25], v[30:31], v[44:45]
	s_clause 0x1
	global_store_b64 v[4:5], v[30:31], off
	global_store_b64 v43, v[28:29], s[12:13] scale_offset
.LBB92_40:                              ;   in Loop: Header=BB92_10 Depth=1
	s_wait_xcnt 0x0
	s_or_b32 exec_lo, exec_lo, s16
	v_dual_mov_b32 v29, v26 :: v_dual_mov_b32 v30, v27
	v_dual_mov_b32 v31, v27 :: v_dual_mov_b32 v28, v26
	s_cbranch_execnz .LBB92_42
.LBB92_41:                              ;   in Loop: Header=BB92_10 Depth=1
	v_xor_b32_e32 v22, 0x80000000, v27
	v_dual_mov_b32 v23, v27 :: v_dual_mov_b32 v30, v27
	v_dual_mov_b32 v31, v27 :: v_dual_mov_b32 v28, v26
	v_mov_b32_e32 v29, v26
.LBB92_42:                              ;   in Loop: Header=BB92_10 Depth=1
	s_wait_dscnt 0x0
	v_dual_add_nc_u32 v43, v42, v21 :: v_dual_mov_b32 v25, v24
	s_clause 0x1
	global_load_b64 v[44:45], v43, s[8:9] scale_offset
	global_load_b64 v[46:47], v[10:11], off
	s_wait_loadcnt 0x1
	v_pk_mul_f32 v[48:49], v[30:31], v[44:45]
	s_wait_loadcnt 0x0
	v_pk_mul_f32 v[52:53], v[22:23], v[46:47]
	s_delay_alu instid0(VALU_DEP_2) | instskip(SKIP_1) | instid1(VALU_DEP_2)
	v_pk_fma_f32 v[50:51], v[44:45], v[28:29], v[48:49] op_sel:[0,0,1] op_sel_hi:[1,1,0] neg_lo:[0,0,1] neg_hi:[0,0,1]
	v_pk_fma_f32 v[48:49], v[44:45], v[28:29], v[48:49] op_sel:[0,0,1] op_sel_hi:[1,1,0]
	v_mov_b32_e32 v49, v51
	s_delay_alu instid0(VALU_DEP_4) | instskip(NEXT) | instid1(VALU_DEP_2)
	v_pk_fma_f32 v[50:51], v[46:47], v[28:29], v[52:53] op_sel:[0,0,1] op_sel_hi:[1,1,0] neg_lo:[1,0,0] neg_hi:[1,0,0]
	v_pk_fma_f32 v[46:47], v[24:25], v[46:47], v[48:49]
	s_delay_alu instid0(VALU_DEP_2)
	v_pk_fma_f32 v[44:45], v[24:25], v[44:45], v[50:51]
	s_clause 0x1
	global_store_b64 v[10:11], v[46:47], off
	global_store_b64 v43, v[44:45], s[8:9] scale_offset
	s_wait_xcnt 0x0
	s_and_saveexec_b32 s16, s2
	s_cbranch_execz .LBB92_44
; %bb.43:                               ;   in Loop: Header=BB92_10 Depth=1
	v_add_nc_u32_e32 v48, v42, v36
	s_clause 0x1
	global_load_b64 v[42:43], v48, s[8:9] scale_offset
	global_load_b64 v[44:45], v[12:13], off
	s_wait_loadcnt 0x1
	v_pk_mul_f32 v[30:31], v[30:31], v[42:43]
	s_wait_loadcnt 0x0
	v_pk_mul_f32 v[22:23], v[22:23], v[44:45]
	s_delay_alu instid0(VALU_DEP_2) | instskip(SKIP_1) | instid1(VALU_DEP_3)
	v_pk_fma_f32 v[46:47], v[42:43], v[28:29], v[30:31] op_sel:[0,0,1] op_sel_hi:[1,1,0] neg_lo:[0,0,1] neg_hi:[0,0,1]
	v_pk_fma_f32 v[30:31], v[42:43], v[28:29], v[30:31] op_sel:[0,0,1] op_sel_hi:[1,1,0]
	v_pk_fma_f32 v[22:23], v[44:45], v[28:29], v[22:23] op_sel:[0,0,1] op_sel_hi:[1,1,0] neg_lo:[1,0,0] neg_hi:[1,0,0]
	s_delay_alu instid0(VALU_DEP_3) | instskip(NEXT) | instid1(VALU_DEP_2)
	v_mov_b32_e32 v31, v47
	v_pk_fma_f32 v[22:23], v[24:25], v[42:43], v[22:23]
	s_delay_alu instid0(VALU_DEP_2)
	v_pk_fma_f32 v[28:29], v[24:25], v[44:45], v[30:31]
	s_clause 0x1
	global_store_b64 v[12:13], v[28:29], off
	global_store_b64 v48, v[22:23], s[8:9] scale_offset
.LBB92_44:                              ;   in Loop: Header=BB92_10 Depth=1
	s_wait_xcnt 0x0
	s_or_b32 exec_lo, exec_lo, s16
	v_mov_b32_e32 v22, v26
.LBB92_45:                              ;   in Loop: Header=BB92_10 Depth=1
	s_or_b32 exec_lo, exec_lo, s10
	s_wait_storecnt 0x0
	s_barrier_signal -1
	s_barrier_wait -1
	s_and_saveexec_b32 s10, s4
	s_cbranch_execz .LBB92_48
; %bb.46:                               ;   in Loop: Header=BB92_10 Depth=1
	v_add_nc_u32_e32 v23, v41, v39
	s_clause 0x1
	global_load_b64 v[28:29], v23, s[8:9] scale_offset
	global_load_b64 v[30:31], v[16:17], off
	s_wait_loadcnt 0x1
	v_pk_mul_f32 v[42:43], v[26:27], v[28:29] op_sel:[1,0]
	s_wait_loadcnt 0x0
	v_pk_mul_f32 v[46:47], v[20:21], v[30:31] op_sel_hi:[0,1] neg_lo:[1,0]
	s_delay_alu instid0(VALU_DEP_2) | instskip(SKIP_1) | instid1(VALU_DEP_2)
	v_pk_fma_f32 v[44:45], v[26:27], v[28:29], v[42:43] op_sel:[0,0,1] op_sel_hi:[0,1,0]
	v_pk_fma_f32 v[42:43], v[26:27], v[28:29], v[42:43] op_sel:[0,0,1] op_sel_hi:[1,1,0] neg_lo:[0,0,1] neg_hi:[0,0,1]
	v_mov_b32_e32 v43, v45
	s_delay_alu instid0(VALU_DEP_4) | instskip(NEXT) | instid1(VALU_DEP_2)
	v_pk_fma_f32 v[44:45], v[22:23], v[30:31], v[46:47] op_sel:[0,0,1] op_sel_hi:[0,1,0] neg_lo:[1,0,0] neg_hi:[1,0,0]
	v_pk_fma_f32 v[30:31], v[24:25], v[30:31], v[42:43] op_sel_hi:[0,1,1]
	s_delay_alu instid0(VALU_DEP_2)
	v_pk_fma_f32 v[28:29], v[24:25], v[28:29], v[44:45] op_sel_hi:[0,1,1]
	s_clause 0x1
	global_store_b64 v[16:17], v[30:31], off
	global_store_b64 v23, v[28:29], s[8:9] scale_offset
	s_wait_xcnt 0x0
	s_and_b32 exec_lo, exec_lo, s2
	s_cbranch_execz .LBB92_48
; %bb.47:                               ;   in Loop: Header=BB92_10 Depth=1
	v_dual_add_nc_u32 v50, v41, v40 :: v_dual_mov_b32 v42, v27
	v_dual_mov_b32 v43, v27 :: v_dual_mov_b32 v46, v26
	v_dual_mov_b32 v47, v26 :: v_dual_mov_b32 v45, v20
	s_clause 0x1
	global_load_b64 v[28:29], v50, s[8:9] scale_offset
	global_load_b64 v[30:31], v[18:19], off
	v_xor_b32_e32 v44, 0x80000000, v20
	v_dual_mov_b32 v23, v22 :: v_dual_mov_b32 v25, v24
	s_wait_loadcnt 0x1
	v_pk_mul_f32 v[42:43], v[42:43], v[28:29]
	s_wait_loadcnt 0x0
	v_pk_mul_f32 v[44:45], v[44:45], v[30:31]
	s_delay_alu instid0(VALU_DEP_2) | instskip(SKIP_1) | instid1(VALU_DEP_3)
	v_pk_fma_f32 v[48:49], v[46:47], v[28:29], v[42:43] op_sel:[0,0,1] op_sel_hi:[1,1,0]
	v_pk_fma_f32 v[42:43], v[46:47], v[28:29], v[42:43] op_sel:[0,0,1] op_sel_hi:[1,1,0] neg_lo:[0,0,1] neg_hi:[0,0,1]
	v_pk_fma_f32 v[44:45], v[22:23], v[30:31], v[44:45] op_sel:[0,0,1] op_sel_hi:[1,1,0] neg_lo:[1,0,0] neg_hi:[1,0,0]
	s_delay_alu instid0(VALU_DEP_3) | instskip(NEXT) | instid1(VALU_DEP_2)
	v_mov_b32_e32 v43, v49
	v_pk_fma_f32 v[28:29], v[24:25], v[28:29], v[44:45]
	s_delay_alu instid0(VALU_DEP_2)
	v_pk_fma_f32 v[30:31], v[24:25], v[30:31], v[42:43]
	s_clause 0x1
	global_store_b64 v[18:19], v[30:31], off
	global_store_b64 v50, v[28:29], s[8:9] scale_offset
.LBB92_48:                              ;   in Loop: Header=BB92_10 Depth=1
	s_wait_xcnt 0x0
	s_or_b32 exec_lo, exec_lo, s10
	s_and_b32 s4, s0, s3
	s_wait_storecnt 0x0
	s_barrier_signal -1
	s_barrier_wait -1
	s_and_saveexec_b32 s3, s4
	s_cbranch_execz .LBB92_9
; %bb.49:                               ;   in Loop: Header=BB92_10 Depth=1
	v_mad_u32 v23, v41, s7, v32
	v_add_nc_u32_e32 v25, v41, v38
	s_clause 0x1
	global_store_b64 v23, v[14:15], s[8:9] scale_offset
	global_store_b64 v25, v[14:15], s[8:9] scale_offset
	s_branch .LBB92_9
.LBB92_50:                              ;   in Loop: Header=BB92_10 Depth=1
                                        ; implicit-def: $vgpr29
                                        ; implicit-def: $vgpr30
                                        ; implicit-def: $vgpr22_vgpr23
	v_dual_mov_b32 v31, v27 :: v_dual_mov_b32 v28, v26
	s_branch .LBB92_41
.LBB92_51:
	s_endpgm
	.section	.rodata,"a",@progbits
	.p2align	6, 0x0
	.amdhsa_kernel _ZN9rocsolver6v33100L21syevj_offd_kernel_orgI19rocblas_complex_numIfEfPS3_EEviiT1_iilT0_PT_PiS9_S9_
		.amdhsa_group_segment_fixed_size 0
		.amdhsa_private_segment_fixed_size 0
		.amdhsa_kernarg_size 328
		.amdhsa_user_sgpr_count 2
		.amdhsa_user_sgpr_dispatch_ptr 0
		.amdhsa_user_sgpr_queue_ptr 0
		.amdhsa_user_sgpr_kernarg_segment_ptr 1
		.amdhsa_user_sgpr_dispatch_id 0
		.amdhsa_user_sgpr_kernarg_preload_length 0
		.amdhsa_user_sgpr_kernarg_preload_offset 0
		.amdhsa_user_sgpr_private_segment_size 0
		.amdhsa_wavefront_size32 1
		.amdhsa_uses_dynamic_stack 0
		.amdhsa_enable_private_segment 0
		.amdhsa_system_sgpr_workgroup_id_x 1
		.amdhsa_system_sgpr_workgroup_id_y 0
		.amdhsa_system_sgpr_workgroup_id_z 1
		.amdhsa_system_sgpr_workgroup_info 0
		.amdhsa_system_vgpr_workitem_id 1
		.amdhsa_next_free_vgpr 54
		.amdhsa_next_free_sgpr 24
		.amdhsa_named_barrier_count 0
		.amdhsa_reserve_vcc 1
		.amdhsa_float_round_mode_32 0
		.amdhsa_float_round_mode_16_64 0
		.amdhsa_float_denorm_mode_32 3
		.amdhsa_float_denorm_mode_16_64 3
		.amdhsa_fp16_overflow 0
		.amdhsa_memory_ordered 1
		.amdhsa_forward_progress 1
		.amdhsa_inst_pref_size 35
		.amdhsa_round_robin_scheduling 0
		.amdhsa_exception_fp_ieee_invalid_op 0
		.amdhsa_exception_fp_denorm_src 0
		.amdhsa_exception_fp_ieee_div_zero 0
		.amdhsa_exception_fp_ieee_overflow 0
		.amdhsa_exception_fp_ieee_underflow 0
		.amdhsa_exception_fp_ieee_inexact 0
		.amdhsa_exception_int_div_zero 0
	.end_amdhsa_kernel
	.section	.text._ZN9rocsolver6v33100L21syevj_offd_kernel_orgI19rocblas_complex_numIfEfPS3_EEviiT1_iilT0_PT_PiS9_S9_,"axG",@progbits,_ZN9rocsolver6v33100L21syevj_offd_kernel_orgI19rocblas_complex_numIfEfPS3_EEviiT1_iilT0_PT_PiS9_S9_,comdat
.Lfunc_end92:
	.size	_ZN9rocsolver6v33100L21syevj_offd_kernel_orgI19rocblas_complex_numIfEfPS3_EEviiT1_iilT0_PT_PiS9_S9_, .Lfunc_end92-_ZN9rocsolver6v33100L21syevj_offd_kernel_orgI19rocblas_complex_numIfEfPS3_EEviiT1_iilT0_PT_PiS9_S9_
                                        ; -- End function
	.set _ZN9rocsolver6v33100L21syevj_offd_kernel_orgI19rocblas_complex_numIfEfPS3_EEviiT1_iilT0_PT_PiS9_S9_.num_vgpr, 54
	.set _ZN9rocsolver6v33100L21syevj_offd_kernel_orgI19rocblas_complex_numIfEfPS3_EEviiT1_iilT0_PT_PiS9_S9_.num_agpr, 0
	.set _ZN9rocsolver6v33100L21syevj_offd_kernel_orgI19rocblas_complex_numIfEfPS3_EEviiT1_iilT0_PT_PiS9_S9_.numbered_sgpr, 24
	.set _ZN9rocsolver6v33100L21syevj_offd_kernel_orgI19rocblas_complex_numIfEfPS3_EEviiT1_iilT0_PT_PiS9_S9_.num_named_barrier, 0
	.set _ZN9rocsolver6v33100L21syevj_offd_kernel_orgI19rocblas_complex_numIfEfPS3_EEviiT1_iilT0_PT_PiS9_S9_.private_seg_size, 0
	.set _ZN9rocsolver6v33100L21syevj_offd_kernel_orgI19rocblas_complex_numIfEfPS3_EEviiT1_iilT0_PT_PiS9_S9_.uses_vcc, 1
	.set _ZN9rocsolver6v33100L21syevj_offd_kernel_orgI19rocblas_complex_numIfEfPS3_EEviiT1_iilT0_PT_PiS9_S9_.uses_flat_scratch, 0
	.set _ZN9rocsolver6v33100L21syevj_offd_kernel_orgI19rocblas_complex_numIfEfPS3_EEviiT1_iilT0_PT_PiS9_S9_.has_dyn_sized_stack, 0
	.set _ZN9rocsolver6v33100L21syevj_offd_kernel_orgI19rocblas_complex_numIfEfPS3_EEviiT1_iilT0_PT_PiS9_S9_.has_recursion, 0
	.set _ZN9rocsolver6v33100L21syevj_offd_kernel_orgI19rocblas_complex_numIfEfPS3_EEviiT1_iilT0_PT_PiS9_S9_.has_indirect_call, 0
	.section	.AMDGPU.csdata,"",@progbits
; Kernel info:
; codeLenInByte = 4424
; TotalNumSgprs: 26
; NumVgprs: 54
; ScratchSize: 0
; MemoryBound: 0
; FloatMode: 240
; IeeeMode: 1
; LDSByteSize: 0 bytes/workgroup (compile time only)
; SGPRBlocks: 0
; VGPRBlocks: 3
; NumSGPRsForWavesPerEU: 26
; NumVGPRsForWavesPerEU: 54
; NamedBarCnt: 0
; Occupancy: 16
; WaveLimiterHint : 0
; COMPUTE_PGM_RSRC2:SCRATCH_EN: 0
; COMPUTE_PGM_RSRC2:USER_SGPR: 2
; COMPUTE_PGM_RSRC2:TRAP_HANDLER: 0
; COMPUTE_PGM_RSRC2:TGID_X_EN: 1
; COMPUTE_PGM_RSRC2:TGID_Y_EN: 0
; COMPUTE_PGM_RSRC2:TGID_Z_EN: 1
; COMPUTE_PGM_RSRC2:TIDIG_COMP_CNT: 1
	.section	.text._ZN9rocsolver6v33100L17syevj_offd_kernelI19rocblas_complex_numIfEfPS3_EEviiT1_iilT0_PT_PiS9_S9_i,"axG",@progbits,_ZN9rocsolver6v33100L17syevj_offd_kernelI19rocblas_complex_numIfEfPS3_EEviiT1_iilT0_PT_PiS9_S9_i,comdat
	.globl	_ZN9rocsolver6v33100L17syevj_offd_kernelI19rocblas_complex_numIfEfPS3_EEviiT1_iilT0_PT_PiS9_S9_i ; -- Begin function _ZN9rocsolver6v33100L17syevj_offd_kernelI19rocblas_complex_numIfEfPS3_EEviiT1_iilT0_PT_PiS9_S9_i
	.p2align	8
	.type	_ZN9rocsolver6v33100L17syevj_offd_kernelI19rocblas_complex_numIfEfPS3_EEviiT1_iilT0_PT_PiS9_S9_i,@function
_ZN9rocsolver6v33100L17syevj_offd_kernelI19rocblas_complex_numIfEfPS3_EEviiT1_iilT0_PT_PiS9_S9_i: ; @_ZN9rocsolver6v33100L17syevj_offd_kernelI19rocblas_complex_numIfEfPS3_EEviiT1_iilT0_PT_PiS9_S9_i
; %bb.0:
	s_clause 0x1
	s_load_b64 s[20:21], s[0:1], 0x0
	s_load_b32 s33, s[0:1], 0x48
	s_bfe_u32 s5, ttmp6, 0x40014
	s_lshr_b32 s3, ttmp7, 16
	s_add_co_i32 s5, s5, 1
	s_getreg_b32 s19, hwreg(HW_REG_IB_STS2, 6, 4)
	s_mul_i32 s5, s3, s5
	s_mov_b32 s25, 0
	s_wait_kmcnt 0x0
	s_abs_i32 s4, s20
	s_delay_alu instid0(SALU_CYCLE_1) | instskip(NEXT) | instid1(SALU_CYCLE_3)
	s_cvt_f32_u32 s2, s4
	v_rcp_iflag_f32_e32 v1, s2
	s_bfe_u32 s2, ttmp6, 0x40008
	s_delay_alu instid0(SALU_CYCLE_1) | instskip(SKIP_3) | instid1(TRANS32_DEP_1)
	s_add_co_i32 s2, s2, s5
	s_cmp_eq_u32 s19, 0
	s_cselect_b32 s22, s3, s2
	v_nop
	v_readfirstlane_b32 s5, v1
	s_cmp_ge_u32 s22, s33
	s_cbranch_scc1 .LBB93_94
; %bb.1:
	s_mov_b64 s[2:3], src_shared_base
	s_mul_f32 s2, s5, 0x4f7ffffe
	s_sub_co_i32 s6, 0, s4
	s_add_co_i32 s5, s21, -1
	s_mov_b32 s7, s25
	s_cvt_u32_f32 s2, s2
	s_abs_i32 s24, s5
	s_clause 0x1
	s_load_b96 s[16:18], s[0:1], 0x18
	s_load_b128 s[12:15], s[0:1], 0x8
	s_mul_i32 s6, s6, s2
	s_ashr_i32 s31, s20, 31
	s_mul_hi_u32 s6, s2, s6
	s_clause 0x1
	s_load_b32 s39, s[0:1], 0x50
	s_load_b64 s[26:27], s[0:1], 0x58
	s_add_co_i32 s6, s2, s6
	s_ashr_i32 s2, s5, 31
	s_mul_u64 s[6:7], s[24:25], s[6:7]
	s_xor_b32 s2, s2, s31
	s_mul_i32 s5, s7, s4
	s_add_co_i32 s6, s7, 1
	s_sub_co_i32 s5, s24, s5
	v_and_b32_e32 v24, 0x3ff, v0
	s_sub_co_i32 s8, s5, s4
	s_cmp_ge_u32 s5, s4
	v_bfe_u32 v25, v0, 10, 10
	s_cselect_b32 s6, s6, s7
	s_cselect_b32 s5, s8, s5
	s_add_co_i32 s7, s6, 1
	s_cmp_ge_u32 s5, s4
	s_wait_kmcnt 0x0
	v_div_scale_f32 v1, null, s18, s18, 0x800000
	s_cselect_b32 s23, s7, s6
	s_load_b256 s[4:11], s[0:1], 0x28
	s_xor_b32 s23, s23, s2
	v_xor_b32_e32 v2, 0x80000000, v1
	s_sub_co_i32 s38, s23, s2
	v_rcp_f32_e32 v1, v1
	s_wait_xcnt 0x0
	s_add_co_i32 s0, s38, 1
	s_bfe_u32 s23, ttmp6, 0x4000c
	s_lshr_b32 s1, s0, 31
	s_add_co_i32 s23, s23, 1
	s_add_co_i32 s1, s0, s1
	s_and_b32 s2, ttmp6, 15
	s_and_b32 s1, s1, -2
	v_nop
	v_fma_f32 v0, v2, v1, 1.0
	s_sub_co_i32 s1, s0, s1
	s_mul_i32 s23, ttmp9, s23
	s_add_co_i32 s0, s1, s0
	s_add_co_i32 s2, s2, s23
	s_lshr_b32 s1, s0, 31
	v_fmac_f32_e32 v1, v0, v1
	s_add_co_i32 s0, s0, s1
	s_mov_b32 s30, s20
	s_ashr_i32 s40, s0, 1
	s_mov_b32 s0, 0x800000
	s_cmp_eq_u32 s19, 0
	v_div_scale_f32 v0, vcc_lo, s0, s18, s0
	s_cselect_b32 s41, ttmp9, s2
	s_lshl_b32 s47, s20, 2
	s_lshl_b32 s28, s20, 1
	v_mul_f32_e32 v3, v0, v1
	s_add_co_i32 s23, s47, 0
	s_lshl_b32 s0, s20, 3
	s_ashr_i32 s29, s28, 31
	s_add_co_i32 s43, s23, s0
	v_fma_f32 v4, v2, v3, v0
	s_mul_u64 s[0:1], s[28:29], s[28:29]
	s_mul_u64 s[30:31], s[30:31], 12
	s_lshl_b64 s[0:1], s[0:1], 3
	s_lshr_b32 s42, s27, 16
	v_fmac_f32_e32 v3, v4, v1
	s_add_nc_u64 s[0:1], s[0:1], s[30:31]
	s_and_b32 s27, s27, 0xffff
	v_cmp_gt_u64_e64 s44, 0x10001, s[0:1]
	s_cvt_f32_u32 s0, s20
	v_fmac_f32_e32 v0, v2, v3
	s_mov_b32 s29, s3
	s_ashr_i32 s3, s14, 31
	v_rcp_iflag_f32_e32 v2, s0
	s_cmp_lt_u32 s41, s40
	v_div_fmas_f32 v0, v0, v1, v3
	v_add_nc_u32_e32 v1, s20, v25
	s_mul_i32 s1, s38, s20
	s_mov_b32 s2, s14
	s_cselect_b32 s45, -1, 0
	v_div_fixup_f32 v26, v0, s18, 0x800000
	v_mul_lo_u32 v0, v25, s20
	v_readfirstlane_b32 s0, v2
	v_mul_lo_u32 v1, s20, v1
	s_sub_co_i32 s46, s21, s1
	s_wait_kmcnt 0x0
	s_cmp_lg_u64 s[4:5], 0
	s_mov_b32 s18, s15
	s_mul_f32 s14, s0, 0x4f7ffffe
	s_cselect_b32 s48, -1, 0
	s_cmp_gt_i32 s20, 0
	v_cmp_gt_u32_e64 s0, s20, v25
	s_cvt_u32_f32 s14, s14
	v_lshlrev_b32_e32 v27, 1, v0
	s_cselect_b32 s49, -1, 0
	s_sub_co_i32 s50, 0, s20
	v_lshl_add_u32 v31, v1, 1, v24
	v_mov_b64_e32 v[0:1], 0
	s_ashr_i32 s19, s15, 31
	s_mul_i32 s15, s50, s14
	s_lshl_b64 s[2:3], s[2:3], 3
	v_cmp_gt_u32_e64 s1, s20, v24
	v_lshl_add_u32 v28, v24, 2, 0
	v_lshl_add_u32 v29, v24, 3, s23
	v_dual_mov_b32 v3, 0 :: v_dual_add_nc_u32 v30, v24, v27
	s_mul_hi_u32 s15, s14, s15
	s_add_nc_u64 s[12:13], s[12:13], s[2:3]
	s_mul_i32 s2, s20, s42
	s_mul_i32 s47, s47, s20
	s_add_co_i32 s14, s14, s15
	s_mov_b32 s15, s25
	s_lshl_b32 s51, s2, 1
	s_lshl_b32 s52, s27, 2
	;; [unrolled: 1-line block ×3, first 2 shown]
	s_branch .LBB93_3
.LBB93_2:                               ;   in Loop: Header=BB93_3 Depth=1
	s_add_co_i32 s22, s22, s26
	s_delay_alu instid0(SALU_CYCLE_1)
	s_cmp_ge_u32 s22, s33
	s_cbranch_scc1 .LBB93_94
.LBB93_3:                               ; =>This Loop Header: Depth=1
                                        ;     Child Loop BB93_8 Depth 2
                                        ;       Child Loop BB93_16 Depth 3
                                        ;         Child Loop BB93_18 Depth 4
                                        ;       Child Loop BB93_23 Depth 3
                                        ;         Child Loop BB93_26 Depth 4
                                        ;           Child Loop BB93_31 Depth 5
                                        ;         Child Loop BB93_58 Depth 4
                                        ;           Child Loop BB93_61 Depth 5
	;; [unrolled: 2-line block ×4, first 2 shown]
                                        ;       Child Loop BB93_91 Depth 3
                                        ;         Child Loop BB93_93 Depth 4
	s_wait_xcnt 0x0
	v_mov_b32_e32 v2, s22
	global_load_b32 v2, v2, s[10:11] offset:4 scale_offset
	s_wait_loadcnt 0x0
	v_cmp_ne_u32_e32 vcc_lo, 0, v2
	s_cbranch_vccnz .LBB93_2
; %bb.4:                                ;   in Loop: Header=BB93_3 Depth=1
	s_and_not1_b32 vcc_lo, exec_lo, s45
	s_cbranch_vccnz .LBB93_2
; %bb.5:                                ;   in Loop: Header=BB93_3 Depth=1
	s_mov_b32 s23, s25
	s_mov_b32 s54, s41
	s_mul_u64 s[2:3], s[16:17], s[22:23]
	s_mul_i32 s23, s22, s40
	s_lshl_b64 s[2:3], s[2:3], 3
	s_delay_alu instid0(SALU_CYCLE_1)
	s_add_nc_u64 s[30:31], s[12:13], s[2:3]
	s_branch .LBB93_8
.LBB93_6:                               ;   in Loop: Header=BB93_8 Depth=2
	s_or_b32 exec_lo, exec_lo, s3
	s_wait_storecnt 0x0
	s_barrier_signal -1
	s_barrier_wait -1
.LBB93_7:                               ;   in Loop: Header=BB93_8 Depth=2
	s_add_co_i32 s54, s54, s39
	s_delay_alu instid0(SALU_CYCLE_1)
	s_cmp_lt_u32 s54, s40
	s_cbranch_scc0 .LBB93_2
.LBB93_8:                               ;   Parent Loop BB93_3 Depth=1
                                        ; =>  This Loop Header: Depth=2
                                        ;       Child Loop BB93_16 Depth 3
                                        ;         Child Loop BB93_18 Depth 4
                                        ;       Child Loop BB93_23 Depth 3
                                        ;         Child Loop BB93_26 Depth 4
                                        ;           Child Loop BB93_31 Depth 5
                                        ;         Child Loop BB93_58 Depth 4
                                        ;           Child Loop BB93_61 Depth 5
	;; [unrolled: 2-line block ×4, first 2 shown]
                                        ;       Child Loop BB93_91 Depth 3
                                        ;         Child Loop BB93_93 Depth 4
	s_wait_xcnt 0x0
	v_mov_b32_e32 v5, s54
	s_clause 0x1
	global_load_b32 v2, v5, s[6:7] scale_offset
	global_load_b32 v4, v5, s[8:9] scale_offset
	s_wait_loadcnt 0x1
	v_readfirstlane_b32 s2, v2
	s_wait_loadcnt 0x0
	v_readfirstlane_b32 s3, v4
	s_max_i32 s56, s2, s3
	s_delay_alu instid0(SALU_CYCLE_1)
	s_cmp_gt_i32 s56, s38
	s_cbranch_scc1 .LBB93_7
; %bb.9:                                ;   in Loop: Header=BB93_8 Depth=2
	s_and_not1_b32 vcc_lo, exec_lo, s48
	s_cbranch_vccnz .LBB93_11
; %bb.10:                               ;   in Loop: Header=BB93_8 Depth=2
	s_add_co_i32 s2, s54, s23
	s_delay_alu instid0(SALU_CYCLE_1) | instskip(NEXT) | instid1(SALU_CYCLE_1)
	s_mul_i32 s24, s47, s2
	s_lshl_b64 s[2:3], s[24:25], 3
	s_delay_alu instid0(SALU_CYCLE_1)
	s_add_nc_u64 s[34:35], s[4:5], s[2:3]
	s_branch .LBB93_12
.LBB93_11:                              ;   in Loop: Header=BB93_8 Depth=2
	s_mov_b64 s[34:35], 0
.LBB93_12:                              ;   in Loop: Header=BB93_8 Depth=2
	v_dual_mov_b32 v2, s46 :: v_dual_min_i32 v4, v4, v2
	s_cmp_eq_u32 s56, s38
	s_cselect_b32 s2, s46, s20
	s_delay_alu instid0(VALU_DEP_1)
	v_cmp_eq_u32_e32 vcc_lo, s38, v4
	s_and_b32 s3, s44, exec_lo
	s_cselect_b32 s37, s29, s35
	s_cselect_b32 s36, s43, s34
	s_cmp_lg_u64 s[34:35], 0
	v_cndmask_b32_e32 v2, s20, v2, vcc_lo
	s_cselect_b32 s24, -1, 0
	s_cmp_eq_u64 s[34:35], 0
	s_cselect_b32 s55, -1, 0
	s_delay_alu instid0(VALU_DEP_1) | instskip(SKIP_1) | instid1(VALU_DEP_1)
	v_add_nc_u32_e32 v32, s2, v2
	s_and_b32 vcc_lo, exec_lo, s55
	v_cmp_lt_u32_e64 s2, v25, v32
	s_cbranch_vccnz .LBB93_20
; %bb.13:                               ;   in Loop: Header=BB93_8 Depth=2
	s_barrier_signal -1
	s_barrier_wait -1
	s_wait_xcnt 0x0
	s_and_saveexec_b32 s57, s2
	s_cbranch_execz .LBB93_19
; %bb.14:                               ;   in Loop: Header=BB93_8 Depth=2
	v_dual_mov_b32 v5, v27 :: v_dual_mov_b32 v6, v25
	s_mov_b32 s58, 0
	v_cmp_lt_u32_e32 vcc_lo, v24, v32
	s_branch .LBB93_16
.LBB93_15:                              ;   in Loop: Header=BB93_16 Depth=3
	s_or_b32 exec_lo, exec_lo, s59
	v_dual_add_nc_u32 v6, s42, v6 :: v_dual_add_nc_u32 v5, s51, v5
	s_delay_alu instid0(VALU_DEP_1) | instskip(SKIP_1) | instid1(SALU_CYCLE_1)
	v_cmp_ge_u32_e64 s2, v6, v32
	s_or_b32 s58, s2, s58
	s_and_not1_b32 exec_lo, exec_lo, s58
	s_cbranch_execz .LBB93_19
.LBB93_16:                              ;   Parent Loop BB93_3 Depth=1
                                        ;     Parent Loop BB93_8 Depth=2
                                        ; =>    This Loop Header: Depth=3
                                        ;         Child Loop BB93_18 Depth 4
	s_and_saveexec_b32 s59, vcc_lo
	s_cbranch_execz .LBB93_15
; %bb.17:                               ;   in Loop: Header=BB93_16 Depth=3
	v_mov_b32_e32 v7, v24
	s_mov_b32 s60, 0
.LBB93_18:                              ;   Parent Loop BB93_3 Depth=1
                                        ;     Parent Loop BB93_8 Depth=2
                                        ;       Parent Loop BB93_16 Depth=3
                                        ; =>      This Inner Loop Header: Depth=4
	s_delay_alu instid0(VALU_DEP_1) | instskip(SKIP_1) | instid1(VALU_DEP_2)
	v_cmp_eq_u32_e64 s2, v6, v7
	v_dual_add_nc_u32 v8, v5, v7 :: v_dual_add_nc_u32 v7, s27, v7
	v_cndmask_b32_e64 v2, 0, 1.0, s2
	s_delay_alu instid0(VALU_DEP_2)
	v_cmp_ge_u32_e64 s3, v7, v32
	flat_store_b64 v8, v[2:3], s[36:37] scale_offset
	s_or_b32 s60, s3, s60
	s_wait_xcnt 0x0
	s_and_not1_b32 exec_lo, exec_lo, s60
	s_cbranch_execnz .LBB93_18
	s_branch .LBB93_15
.LBB93_19:                              ;   in Loop: Header=BB93_8 Depth=2
	s_or_b32 exec_lo, exec_lo, s57
	s_wait_storecnt_dscnt 0x0
	s_barrier_signal -1
	s_barrier_wait -1
.LBB93_20:                              ;   in Loop: Header=BB93_8 Depth=2
	s_and_not1_b32 vcc_lo, exec_lo, s49
	s_cbranch_vccnz .LBB93_87
; %bb.21:                               ;   in Loop: Header=BB93_8 Depth=2
	v_mul_lo_u32 v33, v4, s20
	s_mul_i32 s56, s56, s20
	s_mov_b32 s57, 0
	s_delay_alu instid0(VALU_DEP_1)
	v_dual_mov_b32 v35, v24 :: v_dual_add_nc_u32 v34, v24, v33
	s_branch .LBB93_23
.LBB93_22:                              ;   in Loop: Header=BB93_23 Depth=3
	s_or_b32 exec_lo, exec_lo, s3
	v_add_nc_u32_e32 v35, 1, v35
	s_add_co_i32 s57, s57, 1
	s_delay_alu instid0(SALU_CYCLE_1)
	s_cmp_eq_u32 s57, s20
	s_cbranch_scc1 .LBB93_87
.LBB93_23:                              ;   Parent Loop BB93_3 Depth=1
                                        ;     Parent Loop BB93_8 Depth=2
                                        ; =>    This Loop Header: Depth=3
                                        ;         Child Loop BB93_26 Depth 4
                                        ;           Child Loop BB93_31 Depth 5
                                        ;         Child Loop BB93_58 Depth 4
                                        ;           Child Loop BB93_61 Depth 5
                                        ;         Child Loop BB93_73 Depth 4
                                        ;           Child Loop BB93_76 Depth 5
                                        ;         Child Loop BB93_82 Depth 4
                                        ;           Child Loop BB93_85 Depth 5
	s_wait_xcnt 0x0
	s_and_saveexec_b32 s58, s0
	s_cbranch_execz .LBB93_55
; %bb.24:                               ;   in Loop: Header=BB93_23 Depth=3
	v_mov_b32_e32 v14, v25
	s_mov_b32 s59, 0
	s_branch .LBB93_26
.LBB93_25:                              ;   in Loop: Header=BB93_26 Depth=4
	s_or_b32 exec_lo, exec_lo, s60
	v_add_nc_u32_e32 v14, s42, v14
	s_delay_alu instid0(VALU_DEP_1) | instskip(SKIP_1) | instid1(SALU_CYCLE_1)
	v_cmp_le_u32_e32 vcc_lo, s20, v14
	s_or_b32 s59, vcc_lo, s59
	s_and_not1_b32 exec_lo, exec_lo, s59
	s_cbranch_execz .LBB93_55
.LBB93_26:                              ;   Parent Loop BB93_3 Depth=1
                                        ;     Parent Loop BB93_8 Depth=2
                                        ;       Parent Loop BB93_23 Depth=3
                                        ; =>      This Loop Header: Depth=4
                                        ;           Child Loop BB93_31 Depth 5
	s_and_saveexec_b32 s60, s1
	s_cbranch_execz .LBB93_25
; %bb.27:                               ;   in Loop: Header=BB93_26 Depth=4
	v_cmp_eq_u32_e64 s2, 0, v14
	v_dual_mov_b32 v15, v29 :: v_dual_mov_b32 v16, v28
	v_dual_mov_b32 v4, v35 :: v_dual_mov_b32 v17, v24
	s_mov_b32 s61, 0
	s_branch .LBB93_31
.LBB93_28:                              ;   in Loop: Header=BB93_31 Depth=5
	s_or_b32 exec_lo, exec_lo, s3
.LBB93_29:                              ;   in Loop: Header=BB93_31 Depth=5
	s_delay_alu instid0(SALU_CYCLE_1)
	s_or_b32 exec_lo, exec_lo, s63
	ds_store_b32 v16, v18
	ds_store_2addr_b32 v15, v12, v13 offset1:1
.LBB93_30:                              ;   in Loop: Header=BB93_31 Depth=5
	s_or_b32 exec_lo, exec_lo, s62
	v_dual_add_nc_u32 v17, s27, v17 :: v_dual_add_nc_u32 v4, s27, v4
	v_dual_add_nc_u32 v16, s52, v16 :: v_dual_add_nc_u32 v15, s53, v15
	s_delay_alu instid0(VALU_DEP_2) | instskip(SKIP_1) | instid1(SALU_CYCLE_1)
	v_cmp_le_u32_e32 vcc_lo, s20, v17
	s_or_b32 s61, vcc_lo, s61
	s_and_not1_b32 exec_lo, exec_lo, s61
	s_cbranch_execz .LBB93_25
.LBB93_31:                              ;   Parent Loop BB93_3 Depth=1
                                        ;     Parent Loop BB93_8 Depth=2
                                        ;       Parent Loop BB93_23 Depth=3
                                        ;         Parent Loop BB93_26 Depth=4
                                        ; =>        This Inner Loop Header: Depth=5
	s_delay_alu instid0(VALU_DEP_1) | instskip(NEXT) | instid1(VALU_DEP_1)
	v_dual_mov_b32 v5, v3 :: v_dual_add_nc_u32 v2, s57, v17
	v_mul_u64_e32 v[6:7], s[14:15], v[4:5]
	s_delay_alu instid0(VALU_DEP_1) | instskip(NEXT) | instid1(VALU_DEP_3)
	v_not_b32_e32 v5, v7
	v_mad_u32 v6, s50, v7, v2
	s_delay_alu instid0(VALU_DEP_2) | instskip(NEXT) | instid1(VALU_DEP_2)
	v_mad_u32 v2, s20, v5, v2
	v_cmp_le_u32_e32 vcc_lo, s20, v6
	s_delay_alu instid0(VALU_DEP_2) | instskip(NEXT) | instid1(VALU_DEP_1)
	v_cndmask_b32_e32 v2, v6, v2, vcc_lo
	v_subrev_nc_u32_e32 v5, s20, v2
	v_cmp_le_u32_e32 vcc_lo, s20, v2
	s_delay_alu instid0(VALU_DEP_2) | instskip(SKIP_1) | instid1(VALU_DEP_2)
	v_cndmask_b32_e32 v5, v2, v5, vcc_lo
	v_add_nc_u32_e32 v2, v33, v17
	v_add_nc_u32_e32 v8, s56, v5
	s_delay_alu instid0(VALU_DEP_2) | instskip(NEXT) | instid1(VALU_DEP_2)
	v_cmp_gt_u32_e32 vcc_lo, s21, v2
	v_cmp_gt_u32_e64 s3, s21, v8
	s_and_b32 s62, s2, vcc_lo
	s_delay_alu instid0(SALU_CYCLE_1) | instskip(NEXT) | instid1(SALU_CYCLE_1)
	s_and_b32 s3, s62, s3
	s_and_saveexec_b32 s62, s3
	s_cbranch_execz .LBB93_30
; %bb.32:                               ;   in Loop: Header=BB93_31 Depth=5
	v_mov_b32_e32 v9, v3
                                        ; implicit-def: $vgpr5
	s_mov_b32 s3, exec_lo
	s_delay_alu instid0(VALU_DEP_1) | instskip(NEXT) | instid1(VALU_DEP_1)
	v_mul_u64_e32 v[6:7], s[18:19], v[8:9]
	v_lshl_add_u64 v[10:11], v[6:7], 3, s[30:31]
	s_delay_alu instid0(VALU_DEP_1)
	v_lshl_add_u64 v[6:7], v[2:3], 3, v[10:11]
	global_load_b64 v[6:7], v[6:7], off
	s_wait_loadcnt 0x0
	v_cmp_gt_f32_e32 vcc_lo, 0, v6
	v_cndmask_b32_e64 v12, v6, -v6, vcc_lo
	v_cmp_gt_f32_e32 vcc_lo, 0, v7
	v_cndmask_b32_e64 v13, v7, -v7, vcc_lo
	s_wait_xcnt 0x0
	s_delay_alu instid0(VALU_DEP_1)
	v_cmpx_ngt_f32_e32 v12, v13
	s_xor_b32 s63, exec_lo, s3
	s_cbranch_execz .LBB93_36
; %bb.33:                               ;   in Loop: Header=BB93_31 Depth=5
	v_mov_b32_e32 v5, 0
	s_mov_b32 s64, exec_lo
	v_cmpx_neq_f32_e32 0, v7
	s_cbranch_execz .LBB93_35
; %bb.34:                               ;   in Loop: Header=BB93_31 Depth=5
	v_div_scale_f32 v5, null, v13, v13, v12
	v_div_scale_f32 v20, vcc_lo, v12, v13, v12
	s_delay_alu instid0(VALU_DEP_2) | instskip(SKIP_1) | instid1(TRANS32_DEP_1)
	v_rcp_f32_e32 v18, v5
	v_nop
	v_fma_f32 v19, -v5, v18, 1.0
	s_delay_alu instid0(VALU_DEP_1) | instskip(NEXT) | instid1(VALU_DEP_1)
	v_fmac_f32_e32 v18, v19, v18
	v_mul_f32_e32 v19, v20, v18
	s_delay_alu instid0(VALU_DEP_1) | instskip(NEXT) | instid1(VALU_DEP_1)
	v_fma_f32 v21, -v5, v19, v20
	v_fmac_f32_e32 v19, v21, v18
	s_delay_alu instid0(VALU_DEP_1) | instskip(NEXT) | instid1(VALU_DEP_1)
	v_fma_f32 v5, -v5, v19, v20
	v_div_fmas_f32 v5, v5, v18, v19
	s_delay_alu instid0(VALU_DEP_1) | instskip(NEXT) | instid1(VALU_DEP_1)
	v_div_fixup_f32 v5, v5, v13, v12
	v_fma_f32 v5, v5, v5, 1.0
	s_delay_alu instid0(VALU_DEP_1) | instskip(SKIP_1) | instid1(VALU_DEP_2)
	v_mul_f32_e32 v12, 0x4f800000, v5
	v_cmp_gt_f32_e32 vcc_lo, 0xf800000, v5
	v_cndmask_b32_e32 v5, v5, v12, vcc_lo
	s_delay_alu instid0(VALU_DEP_1) | instskip(SKIP_1) | instid1(TRANS32_DEP_1)
	v_sqrt_f32_e32 v12, v5
	v_nop
	v_dual_add_nc_u32 v18, -1, v12 :: v_dual_add_nc_u32 v19, 1, v12
	s_delay_alu instid0(VALU_DEP_1) | instskip(NEXT) | instid1(VALU_DEP_1)
	v_dual_fma_f32 v20, -v18, v12, v5 :: v_dual_fma_f32 v21, -v19, v12, v5
	v_cmp_ge_f32_e64 s3, 0, v20
	s_delay_alu instid0(VALU_DEP_1) | instskip(NEXT) | instid1(VALU_DEP_3)
	v_cndmask_b32_e64 v12, v12, v18, s3
	v_cmp_lt_f32_e64 s3, 0, v21
	s_delay_alu instid0(VALU_DEP_1) | instskip(NEXT) | instid1(VALU_DEP_1)
	v_cndmask_b32_e64 v12, v12, v19, s3
	v_mul_f32_e32 v18, 0x37800000, v12
	s_delay_alu instid0(VALU_DEP_1) | instskip(SKIP_1) | instid1(VALU_DEP_2)
	v_cndmask_b32_e32 v12, v12, v18, vcc_lo
	v_cmp_class_f32_e64 vcc_lo, v5, 0x260
	v_cndmask_b32_e32 v5, v12, v5, vcc_lo
	s_delay_alu instid0(VALU_DEP_1)
	v_mul_f32_e32 v5, v13, v5
.LBB93_35:                              ;   in Loop: Header=BB93_31 Depth=5
	s_or_b32 exec_lo, exec_lo, s64
                                        ; implicit-def: $vgpr12
                                        ; implicit-def: $vgpr13
.LBB93_36:                              ;   in Loop: Header=BB93_31 Depth=5
	s_and_not1_saveexec_b32 s63, s63
	s_cbranch_execz .LBB93_38
; %bb.37:                               ;   in Loop: Header=BB93_31 Depth=5
	v_div_scale_f32 v5, null, v12, v12, v13
	v_div_scale_f32 v20, vcc_lo, v13, v12, v13
	s_delay_alu instid0(VALU_DEP_2) | instskip(SKIP_1) | instid1(TRANS32_DEP_1)
	v_rcp_f32_e32 v18, v5
	v_nop
	v_fma_f32 v19, -v5, v18, 1.0
	s_delay_alu instid0(VALU_DEP_1) | instskip(NEXT) | instid1(VALU_DEP_1)
	v_fmac_f32_e32 v18, v19, v18
	v_mul_f32_e32 v19, v20, v18
	s_delay_alu instid0(VALU_DEP_1) | instskip(NEXT) | instid1(VALU_DEP_1)
	v_fma_f32 v21, -v5, v19, v20
	v_fmac_f32_e32 v19, v21, v18
	s_delay_alu instid0(VALU_DEP_1) | instskip(NEXT) | instid1(VALU_DEP_1)
	v_fma_f32 v5, -v5, v19, v20
	v_div_fmas_f32 v5, v5, v18, v19
	s_delay_alu instid0(VALU_DEP_1) | instskip(NEXT) | instid1(VALU_DEP_1)
	v_div_fixup_f32 v5, v5, v12, v13
	v_fma_f32 v5, v5, v5, 1.0
	s_delay_alu instid0(VALU_DEP_1) | instskip(SKIP_1) | instid1(VALU_DEP_2)
	v_mul_f32_e32 v13, 0x4f800000, v5
	v_cmp_gt_f32_e32 vcc_lo, 0xf800000, v5
	v_cndmask_b32_e32 v5, v5, v13, vcc_lo
	s_delay_alu instid0(VALU_DEP_1) | instskip(SKIP_1) | instid1(TRANS32_DEP_1)
	v_sqrt_f32_e32 v13, v5
	v_nop
	v_dual_add_nc_u32 v18, -1, v13 :: v_dual_add_nc_u32 v19, 1, v13
	s_delay_alu instid0(VALU_DEP_1) | instskip(NEXT) | instid1(VALU_DEP_1)
	v_dual_fma_f32 v20, -v18, v13, v5 :: v_dual_fma_f32 v21, -v19, v13, v5
	v_cmp_ge_f32_e64 s3, 0, v20
	s_delay_alu instid0(VALU_DEP_1) | instskip(NEXT) | instid1(VALU_DEP_3)
	v_cndmask_b32_e64 v13, v13, v18, s3
	v_cmp_lt_f32_e64 s3, 0, v21
	s_delay_alu instid0(VALU_DEP_1) | instskip(NEXT) | instid1(VALU_DEP_1)
	v_cndmask_b32_e64 v13, v13, v19, s3
	v_mul_f32_e32 v18, 0x37800000, v13
	s_delay_alu instid0(VALU_DEP_1) | instskip(SKIP_1) | instid1(VALU_DEP_2)
	v_cndmask_b32_e32 v13, v13, v18, vcc_lo
	v_cmp_class_f32_e64 vcc_lo, v5, 0x260
	v_cndmask_b32_e32 v5, v13, v5, vcc_lo
	s_delay_alu instid0(VALU_DEP_1)
	v_mul_f32_e32 v5, v12, v5
.LBB93_38:                              ;   in Loop: Header=BB93_31 Depth=5
	s_or_b32 exec_lo, exec_lo, s63
	s_delay_alu instid0(VALU_DEP_1) | instskip(SKIP_1) | instid1(VALU_DEP_2)
	v_dual_mul_f32 v12, v5, v5 :: v_dual_mov_b32 v18, 1.0
	v_mov_b32_e32 v13, 0
	v_cmp_nlt_f32_e32 vcc_lo, v12, v26
	v_mov_b32_e32 v12, 0
	s_and_saveexec_b32 s63, vcc_lo
	s_cbranch_execz .LBB93_29
; %bb.39:                               ;   in Loop: Header=BB93_31 Depth=5
	v_mul_u64_e32 v[12:13], s[18:19], v[2:3]
	v_lshl_add_u64 v[8:9], v[8:9], 3, v[10:11]
	s_mov_b32 s3, exec_lo
	s_delay_alu instid0(VALU_DEP_2) | instskip(NEXT) | instid1(VALU_DEP_1)
	v_lshl_add_u64 v[12:13], v[12:13], 3, s[30:31]
	v_lshl_add_u64 v[10:11], v[2:3], 3, v[12:13]
	s_clause 0x1
	global_load_b32 v2, v[8:9], off
	global_load_b32 v9, v[10:11], off
	v_add_f32_e32 v8, v5, v5
	s_wait_loadcnt 0x0
	v_sub_f32_e32 v9, v2, v9
	s_delay_alu instid0(VALU_DEP_1) | instskip(SKIP_1) | instid1(VALU_DEP_1)
	v_max_num_f32_e64 v2, |v9|, |v8|
	s_wait_xcnt 0x0
	v_cvt_f64_f32_e32 v[10:11], v2
	s_delay_alu instid0(VALU_DEP_1) | instskip(NEXT) | instid1(VALU_DEP_1)
	v_frexp_exp_i32_f64_e32 v11, v[10:11]
	v_sub_nc_u32_e32 v10, 0, v11
	s_delay_alu instid0(VALU_DEP_1) | instskip(NEXT) | instid1(VALU_DEP_1)
	v_ldexp_f32 v12, |v8|, v10
	v_mul_f32_e32 v12, v12, v12
	v_ldexp_f32 v10, |v9|, v10
	s_delay_alu instid0(VALU_DEP_1) | instskip(NEXT) | instid1(VALU_DEP_1)
	v_fmac_f32_e32 v12, v10, v10
                                        ; implicit-def: $vgpr10
	v_sqrt_f32_e32 v12, v12
	v_cmpx_ngt_f32_e32 0, v9
	s_xor_b32 s3, exec_lo, s3
; %bb.40:                               ;   in Loop: Header=BB93_31 Depth=5
	s_delay_alu instid0(TRANS32_DEP_1) | instskip(SKIP_1) | instid1(VALU_DEP_2)
	v_ldexp_f32 v10, v12, v11
	v_cmp_neq_f32_e32 vcc_lo, 0x7f800000, v2
                                        ; implicit-def: $vgpr12
                                        ; implicit-def: $vgpr11
                                        ; implicit-def: $vgpr2
	v_cndmask_b32_e32 v10, 0x7f800000, v10, vcc_lo
; %bb.41:                               ;   in Loop: Header=BB93_31 Depth=5
	s_and_not1_saveexec_b32 s3, s3
; %bb.42:                               ;   in Loop: Header=BB93_31 Depth=5
	v_ldexp_f32 v10, -v12, v11
	v_cmp_neq_f32_e32 vcc_lo, 0x7f800000, v2
	s_delay_alu instid0(VALU_DEP_2)
	v_cndmask_b32_e32 v10, 0xff800000, v10, vcc_lo
; %bb.43:                               ;   in Loop: Header=BB93_31 Depth=5
	s_or_b32 exec_lo, exec_lo, s3
	v_dual_mov_b32 v2, 0 :: v_dual_mov_b32 v18, 1.0
	s_mov_b32 s64, exec_lo
	v_cmpx_neq_f32_e32 0, v8
	s_cbranch_execz .LBB93_51
; %bb.44:                               ;   in Loop: Header=BB93_31 Depth=5
	v_dual_add_f32 v9, v9, v10 :: v_dual_mov_b32 v18, 0
	v_mov_b32_e32 v2, 1.0
	s_mov_b32 s65, exec_lo
	s_delay_alu instid0(VALU_DEP_2)
	v_cmpx_neq_f32_e32 0, v9
	s_cbranch_execz .LBB93_50
; %bb.45:                               ;   in Loop: Header=BB93_31 Depth=5
	s_mov_b32 s66, exec_lo
                                        ; implicit-def: $vgpr18
                                        ; implicit-def: $vgpr2
	v_cmpx_ngt_f32_e64 |v8|, |v9|
	s_xor_b32 s66, exec_lo, s66
	s_cbranch_execz .LBB93_47
; %bb.46:                               ;   in Loop: Header=BB93_31 Depth=5
	v_div_scale_f32 v2, null, v9, v9, -v8
	v_div_scale_f32 v12, vcc_lo, -v8, v9, -v8
	s_delay_alu instid0(VALU_DEP_2) | instskip(SKIP_1) | instid1(TRANS32_DEP_1)
	v_rcp_f32_e32 v10, v2
	v_nop
	v_fma_f32 v11, -v2, v10, 1.0
	s_delay_alu instid0(VALU_DEP_1) | instskip(NEXT) | instid1(VALU_DEP_1)
	v_fmac_f32_e32 v10, v11, v10
	v_mul_f32_e32 v11, v12, v10
	s_delay_alu instid0(VALU_DEP_1) | instskip(NEXT) | instid1(VALU_DEP_1)
	v_fma_f32 v13, -v2, v11, v12
	v_fmac_f32_e32 v11, v13, v10
	s_delay_alu instid0(VALU_DEP_1) | instskip(NEXT) | instid1(VALU_DEP_1)
	v_fma_f32 v2, -v2, v11, v12
	v_div_fmas_f32 v2, v2, v10, v11
	s_delay_alu instid0(VALU_DEP_1) | instskip(NEXT) | instid1(VALU_DEP_1)
	v_div_fixup_f32 v2, v2, v9, -v8
	v_fma_f32 v8, v2, v2, 1.0
	s_delay_alu instid0(VALU_DEP_1) | instskip(SKIP_1) | instid1(VALU_DEP_2)
	v_mul_f32_e32 v9, 0x4f800000, v8
	v_cmp_gt_f32_e32 vcc_lo, 0xf800000, v8
	v_cndmask_b32_e32 v8, v8, v9, vcc_lo
	s_delay_alu instid0(VALU_DEP_1) | instskip(SKIP_1) | instid1(TRANS32_DEP_1)
	v_sqrt_f32_e32 v9, v8
	v_nop
	v_dual_add_nc_u32 v10, -1, v9 :: v_dual_add_nc_u32 v11, 1, v9
	s_delay_alu instid0(VALU_DEP_1) | instskip(NEXT) | instid1(VALU_DEP_1)
	v_dual_fma_f32 v12, -v10, v9, v8 :: v_dual_fma_f32 v13, -v11, v9, v8
	v_cmp_ge_f32_e64 s3, 0, v12
	s_delay_alu instid0(VALU_DEP_1) | instskip(NEXT) | instid1(VALU_DEP_3)
	v_cndmask_b32_e64 v9, v9, v10, s3
	v_cmp_lt_f32_e64 s3, 0, v13
	s_delay_alu instid0(VALU_DEP_1) | instskip(NEXT) | instid1(VALU_DEP_1)
	v_cndmask_b32_e64 v9, v9, v11, s3
	v_mul_f32_e32 v10, 0x37800000, v9
	s_delay_alu instid0(VALU_DEP_1) | instskip(SKIP_1) | instid1(VALU_DEP_2)
	v_cndmask_b32_e32 v9, v9, v10, vcc_lo
	v_cmp_class_f32_e64 vcc_lo, v8, 0x260
	v_cndmask_b32_e32 v8, v9, v8, vcc_lo
	s_delay_alu instid0(VALU_DEP_1) | instskip(NEXT) | instid1(VALU_DEP_1)
	v_div_scale_f32 v9, null, v8, v8, 1.0
	v_rcp_f32_e32 v10, v9
	v_nop
	s_delay_alu instid0(TRANS32_DEP_1) | instskip(NEXT) | instid1(VALU_DEP_1)
	v_fma_f32 v11, -v9, v10, 1.0
	v_fmac_f32_e32 v10, v11, v10
	v_div_scale_f32 v11, vcc_lo, 1.0, v8, 1.0
	s_delay_alu instid0(VALU_DEP_1) | instskip(NEXT) | instid1(VALU_DEP_1)
	v_mul_f32_e32 v12, v11, v10
	v_fma_f32 v13, -v9, v12, v11
	s_delay_alu instid0(VALU_DEP_1) | instskip(NEXT) | instid1(VALU_DEP_1)
	v_fmac_f32_e32 v12, v13, v10
	v_fma_f32 v9, -v9, v12, v11
	s_delay_alu instid0(VALU_DEP_1) | instskip(NEXT) | instid1(VALU_DEP_1)
	v_div_fmas_f32 v9, v9, v10, v12
	v_div_fixup_f32 v18, v9, v8, 1.0
                                        ; implicit-def: $vgpr8
                                        ; implicit-def: $vgpr9
	s_delay_alu instid0(VALU_DEP_1)
	v_mul_f32_e32 v2, v2, v18
.LBB93_47:                              ;   in Loop: Header=BB93_31 Depth=5
	s_and_not1_saveexec_b32 s66, s66
	s_cbranch_execz .LBB93_49
; %bb.48:                               ;   in Loop: Header=BB93_31 Depth=5
	v_div_scale_f32 v2, null, v8, v8, -v9
	v_div_scale_f32 v12, vcc_lo, -v9, v8, -v9
	s_delay_alu instid0(VALU_DEP_2) | instskip(SKIP_1) | instid1(TRANS32_DEP_1)
	v_rcp_f32_e32 v10, v2
	v_nop
	v_fma_f32 v11, -v2, v10, 1.0
	s_delay_alu instid0(VALU_DEP_1) | instskip(NEXT) | instid1(VALU_DEP_1)
	v_fmac_f32_e32 v10, v11, v10
	v_mul_f32_e32 v11, v12, v10
	s_delay_alu instid0(VALU_DEP_1) | instskip(NEXT) | instid1(VALU_DEP_1)
	v_fma_f32 v13, -v2, v11, v12
	v_fmac_f32_e32 v11, v13, v10
	s_delay_alu instid0(VALU_DEP_1) | instskip(NEXT) | instid1(VALU_DEP_1)
	v_fma_f32 v2, -v2, v11, v12
	v_div_fmas_f32 v2, v2, v10, v11
	s_delay_alu instid0(VALU_DEP_1) | instskip(NEXT) | instid1(VALU_DEP_1)
	v_div_fixup_f32 v8, v2, v8, -v9
	v_fma_f32 v2, v8, v8, 1.0
	s_delay_alu instid0(VALU_DEP_1) | instskip(SKIP_1) | instid1(VALU_DEP_2)
	v_mul_f32_e32 v9, 0x4f800000, v2
	v_cmp_gt_f32_e32 vcc_lo, 0xf800000, v2
	v_cndmask_b32_e32 v2, v2, v9, vcc_lo
	s_delay_alu instid0(VALU_DEP_1) | instskip(SKIP_1) | instid1(TRANS32_DEP_1)
	v_sqrt_f32_e32 v9, v2
	v_nop
	v_dual_add_nc_u32 v10, -1, v9 :: v_dual_add_nc_u32 v11, 1, v9
	s_delay_alu instid0(VALU_DEP_1) | instskip(NEXT) | instid1(VALU_DEP_1)
	v_dual_fma_f32 v12, -v10, v9, v2 :: v_dual_fma_f32 v13, -v11, v9, v2
	v_cmp_ge_f32_e64 s3, 0, v12
	s_delay_alu instid0(VALU_DEP_1) | instskip(NEXT) | instid1(VALU_DEP_3)
	v_cndmask_b32_e64 v9, v9, v10, s3
	v_cmp_lt_f32_e64 s3, 0, v13
	s_delay_alu instid0(VALU_DEP_1) | instskip(NEXT) | instid1(VALU_DEP_1)
	v_cndmask_b32_e64 v9, v9, v11, s3
	v_mul_f32_e32 v10, 0x37800000, v9
	s_delay_alu instid0(VALU_DEP_1) | instskip(SKIP_1) | instid1(VALU_DEP_2)
	v_cndmask_b32_e32 v9, v9, v10, vcc_lo
	v_cmp_class_f32_e64 vcc_lo, v2, 0x260
	v_cndmask_b32_e32 v2, v9, v2, vcc_lo
	s_delay_alu instid0(VALU_DEP_1) | instskip(NEXT) | instid1(VALU_DEP_1)
	v_div_scale_f32 v9, null, v2, v2, 1.0
	v_rcp_f32_e32 v10, v9
	v_nop
	s_delay_alu instid0(TRANS32_DEP_1) | instskip(NEXT) | instid1(VALU_DEP_1)
	v_fma_f32 v11, -v9, v10, 1.0
	v_fmac_f32_e32 v10, v11, v10
	v_div_scale_f32 v11, vcc_lo, 1.0, v2, 1.0
	s_delay_alu instid0(VALU_DEP_1) | instskip(NEXT) | instid1(VALU_DEP_1)
	v_mul_f32_e32 v12, v11, v10
	v_fma_f32 v13, -v9, v12, v11
	s_delay_alu instid0(VALU_DEP_1) | instskip(NEXT) | instid1(VALU_DEP_1)
	v_fmac_f32_e32 v12, v13, v10
	v_fma_f32 v9, -v9, v12, v11
	s_delay_alu instid0(VALU_DEP_1) | instskip(NEXT) | instid1(VALU_DEP_1)
	v_div_fmas_f32 v9, v9, v10, v12
	v_div_fixup_f32 v2, v9, v2, 1.0
	s_delay_alu instid0(VALU_DEP_1)
	v_mul_f32_e32 v18, v8, v2
.LBB93_49:                              ;   in Loop: Header=BB93_31 Depth=5
	s_or_b32 exec_lo, exec_lo, s66
.LBB93_50:                              ;   in Loop: Header=BB93_31 Depth=5
	s_delay_alu instid0(SALU_CYCLE_1)
	s_or_b32 exec_lo, exec_lo, s65
.LBB93_51:                              ;   in Loop: Header=BB93_31 Depth=5
	s_delay_alu instid0(SALU_CYCLE_1)
	s_or_b32 exec_lo, exec_lo, s64
	v_pk_mul_f32 v[6:7], v[6:7], v[2:3] op_sel_hi:[1,0]
	s_mov_b32 s3, exec_lo
                                        ; implicit-def: $vgpr12_vgpr13
	v_cmpx_lg_f32_e32 0, v5
	s_xor_b32 s3, exec_lo, s3
	s_cbranch_execz .LBB93_53
; %bb.52:                               ;   in Loop: Header=BB93_31 Depth=5
	v_div_scale_f32 v2, null, v5, v5, 0
	v_div_scale_f32 v10, vcc_lo, 0, v5, 0
	s_delay_alu instid0(VALU_DEP_2) | instskip(SKIP_1) | instid1(TRANS32_DEP_1)
	v_rcp_f32_e32 v8, v2
	v_nop
	v_fma_f32 v9, -v2, v8, 1.0
	s_delay_alu instid0(VALU_DEP_1) | instskip(NEXT) | instid1(VALU_DEP_1)
	v_fmac_f32_e32 v8, v9, v8
	v_mul_f32_e32 v9, v10, v8
	s_delay_alu instid0(VALU_DEP_1) | instskip(NEXT) | instid1(VALU_DEP_1)
	v_fma_f32 v11, -v2, v9, v10
	v_fmac_f32_e32 v9, v11, v8
	s_delay_alu instid0(VALU_DEP_1) | instskip(NEXT) | instid1(VALU_DEP_1)
	v_fma_f32 v2, -v2, v9, v10
	v_div_fmas_f32 v2, v2, v8, v9
	s_delay_alu instid0(VALU_DEP_1) | instskip(NEXT) | instid1(VALU_DEP_1)
	v_div_fixup_f32 v2, v2, v5, 0
	v_fmac_f32_e32 v5, 0, v2
	s_delay_alu instid0(VALU_DEP_1) | instskip(SKIP_1) | instid1(VALU_DEP_2)
	v_div_scale_f32 v8, null, v5, v5, 1.0
	v_div_scale_f32 v11, vcc_lo, 1.0, v5, 1.0
	v_rcp_f32_e32 v9, v8
	v_nop
	s_delay_alu instid0(TRANS32_DEP_1) | instskip(NEXT) | instid1(VALU_DEP_1)
	v_fma_f32 v10, -v8, v9, 1.0
	v_fmac_f32_e32 v9, v10, v9
	s_delay_alu instid0(VALU_DEP_1) | instskip(NEXT) | instid1(VALU_DEP_1)
	v_mul_f32_e32 v10, v11, v9
	v_fma_f32 v12, -v8, v10, v11
	s_delay_alu instid0(VALU_DEP_1) | instskip(NEXT) | instid1(VALU_DEP_1)
	v_fmac_f32_e32 v10, v12, v9
	v_fma_f32 v8, -v8, v10, v11
	s_delay_alu instid0(VALU_DEP_1) | instskip(SKIP_2) | instid1(VALU_DEP_3)
	v_div_fmas_f32 v10, v8, v9, v10
	v_pk_fma_f32 v[8:9], v[2:3], v[6:7], v[6:7] op_sel:[0,1,0] op_sel_hi:[0,0,1] neg_lo:[1,0,0] neg_hi:[1,0,0]
	v_pk_fma_f32 v[6:7], v[2:3], v[6:7], v[6:7] op_sel:[0,1,0] op_sel_hi:[1,0,1]
	v_div_fixup_f32 v2, v10, v5, 1.0
	s_delay_alu instid0(VALU_DEP_3) | instskip(NEXT) | instid1(VALU_DEP_1)
	v_mov_b32_e32 v7, v9
                                        ; implicit-def: $vgpr5
	v_pk_mul_f32 v[12:13], v[2:3], v[6:7] op_sel_hi:[0,1]
                                        ; implicit-def: $vgpr6_vgpr7
.LBB93_53:                              ;   in Loop: Header=BB93_31 Depth=5
	s_and_not1_saveexec_b32 s3, s3
	s_cbranch_execz .LBB93_28
; %bb.54:                               ;   in Loop: Header=BB93_31 Depth=5
	v_div_scale_f32 v2, null, 0, 0, v5
	v_div_scale_f32 v10, vcc_lo, v5, 0, v5
	s_delay_alu instid0(VALU_DEP_2) | instskip(SKIP_1) | instid1(TRANS32_DEP_1)
	v_rcp_f32_e32 v8, v2
	v_nop
	v_fma_f32 v9, -v2, v8, 1.0
	s_delay_alu instid0(VALU_DEP_1) | instskip(NEXT) | instid1(VALU_DEP_1)
	v_fmac_f32_e32 v8, v9, v8
	v_mul_f32_e32 v9, v10, v8
	s_delay_alu instid0(VALU_DEP_1) | instskip(NEXT) | instid1(VALU_DEP_1)
	v_fma_f32 v11, -v2, v9, v10
	v_fmac_f32_e32 v9, v11, v8
	s_delay_alu instid0(VALU_DEP_1) | instskip(NEXT) | instid1(VALU_DEP_1)
	v_fma_f32 v2, -v2, v9, v10
	v_div_fmas_f32 v2, v2, v8, v9
	s_delay_alu instid0(VALU_DEP_1) | instskip(NEXT) | instid1(VALU_DEP_1)
	v_div_fixup_f32 v2, v2, 0, v5
	v_fma_f32 v5, v5, v2, 0
	s_delay_alu instid0(VALU_DEP_1) | instskip(SKIP_1) | instid1(VALU_DEP_2)
	v_div_scale_f32 v8, null, v5, v5, 1.0
	v_div_scale_f32 v11, vcc_lo, 1.0, v5, 1.0
	v_rcp_f32_e32 v9, v8
	v_nop
	s_delay_alu instid0(TRANS32_DEP_1) | instskip(NEXT) | instid1(VALU_DEP_1)
	v_fma_f32 v10, -v8, v9, 1.0
	v_fmac_f32_e32 v9, v10, v9
	s_delay_alu instid0(VALU_DEP_1) | instskip(NEXT) | instid1(VALU_DEP_1)
	v_mul_f32_e32 v10, v11, v9
	v_fma_f32 v12, -v8, v10, v11
	s_delay_alu instid0(VALU_DEP_1) | instskip(NEXT) | instid1(VALU_DEP_1)
	v_fmac_f32_e32 v10, v12, v9
	v_fma_f32 v8, -v8, v10, v11
	s_delay_alu instid0(VALU_DEP_1) | instskip(SKIP_2) | instid1(VALU_DEP_3)
	v_div_fmas_f32 v10, v8, v9, v10
	v_pk_fma_f32 v[8:9], v[2:3], v[6:7], v[6:7] op_sel:[0,0,1] op_sel_hi:[0,1,0] neg_lo:[0,0,1] neg_hi:[0,0,1]
	v_pk_fma_f32 v[6:7], v[2:3], v[6:7], v[6:7] op_sel:[0,0,1] op_sel_hi:[1,1,0]
	v_div_fixup_f32 v2, v10, v5, 1.0
	s_delay_alu instid0(VALU_DEP_3) | instskip(NEXT) | instid1(VALU_DEP_1)
	v_mov_b32_e32 v7, v9
	v_pk_mul_f32 v[12:13], v[2:3], v[6:7] op_sel_hi:[0,1]
	s_branch .LBB93_28
.LBB93_55:                              ;   in Loop: Header=BB93_23 Depth=3
	s_or_b32 exec_lo, exec_lo, s58
	s_wait_dscnt 0x0
	s_barrier_signal -1
	s_barrier_wait -1
	s_and_saveexec_b32 s3, s0
	s_cbranch_execz .LBB93_70
; %bb.56:                               ;   in Loop: Header=BB93_23 Depth=3
	v_dual_mov_b32 v36, v31 :: v_dual_mov_b32 v37, v30
	v_mov_b32_e32 v38, v25
	s_mov_b32 s58, 0
	s_branch .LBB93_58
.LBB93_57:                              ;   in Loop: Header=BB93_58 Depth=4
	s_or_b32 exec_lo, exec_lo, s59
	v_dual_add_nc_u32 v38, s42, v38 :: v_dual_add_nc_u32 v37, s51, v37
	v_add_nc_u32_e32 v36, s51, v36
	s_delay_alu instid0(VALU_DEP_2) | instskip(SKIP_1) | instid1(SALU_CYCLE_1)
	v_cmp_le_u32_e32 vcc_lo, s20, v38
	s_or_b32 s58, vcc_lo, s58
	s_and_not1_b32 exec_lo, exec_lo, s58
	s_cbranch_execz .LBB93_70
.LBB93_58:                              ;   Parent Loop BB93_3 Depth=1
                                        ;     Parent Loop BB93_8 Depth=2
                                        ;       Parent Loop BB93_23 Depth=3
                                        ; =>      This Loop Header: Depth=4
                                        ;           Child Loop BB93_61 Depth 5
	s_and_saveexec_b32 s59, s1
	s_cbranch_execz .LBB93_57
; %bb.59:                               ;   in Loop: Header=BB93_58 Depth=4
	v_dual_add_nc_u32 v4, s20, v38 :: v_dual_add_nc_u32 v6, s56, v38
	v_dual_mov_b32 v7, v3 :: v_dual_add_nc_u32 v2, v38, v33
	v_mul_lo_u32 v39, v38, s28
	s_delay_alu instid0(VALU_DEP_3) | instskip(NEXT) | instid1(VALU_DEP_4)
	v_mul_lo_u32 v40, v4, s28
	v_cmp_gt_u32_e64 s2, s21, v6
	s_delay_alu instid0(VALU_DEP_4)
	v_lshlrev_b64_e32 v[4:5], 3, v[2:3]
	v_lshlrev_b64_e32 v[6:7], 3, v[6:7]
	v_dual_mov_b32 v41, v29 :: v_dual_mov_b32 v42, v28
	v_mov_b32_e32 v2, v35
	s_mov_b32 s60, 0
	s_mov_b32 s61, 0
	s_branch .LBB93_61
.LBB93_60:                              ;   in Loop: Header=BB93_61 Depth=5
	s_wait_xcnt 0x0
	s_or_b32 exec_lo, exec_lo, s62
	s_add_co_i32 s61, s61, s27
	v_dual_add_nc_u32 v42, s52, v42 :: v_dual_add_nc_u32 v41, s53, v41
	v_dual_add_nc_u32 v8, s61, v24 :: v_dual_add_nc_u32 v2, s27, v2
	s_delay_alu instid0(VALU_DEP_1) | instskip(SKIP_1) | instid1(SALU_CYCLE_1)
	v_cmp_le_u32_e32 vcc_lo, s20, v8
	s_or_b32 s60, vcc_lo, s60
	s_and_not1_b32 exec_lo, exec_lo, s60
	s_cbranch_execz .LBB93_57
.LBB93_61:                              ;   Parent Loop BB93_3 Depth=1
                                        ;     Parent Loop BB93_8 Depth=2
                                        ;       Parent Loop BB93_23 Depth=3
                                        ;         Parent Loop BB93_58 Depth=4
                                        ; =>        This Inner Loop Header: Depth=5
	s_delay_alu instid0(VALU_DEP_1) | instskip(SKIP_3) | instid1(VALU_DEP_3)
	v_mul_u64_e32 v[8:9], s[14:15], v[2:3]
	v_add_nc_u32_e32 v10, s61, v24
	s_mov_b32 s62, exec_lo
	v_add_nc_u32_e32 v16, s61, v34
	v_mul_lo_u32 v8, s20, v9
	v_not_b32_e32 v9, v9
	s_delay_alu instid0(VALU_DEP_1) | instskip(NEXT) | instid1(VALU_DEP_3)
	v_mul_lo_u32 v9, s20, v9
	v_sub_nc_u32_e32 v8, s57, v8
	s_delay_alu instid0(VALU_DEP_1) | instskip(NEXT) | instid1(VALU_DEP_3)
	v_add_nc_u32_e32 v8, v10, v8
	v_add3_u32 v9, s57, v9, v10
	s_delay_alu instid0(VALU_DEP_2) | instskip(NEXT) | instid1(VALU_DEP_2)
	v_cmp_le_u32_e32 vcc_lo, s20, v8
	v_cndmask_b32_e32 v8, v8, v9, vcc_lo
	s_delay_alu instid0(VALU_DEP_1) | instskip(SKIP_1) | instid1(VALU_DEP_2)
	v_subrev_nc_u32_e32 v9, s20, v8
	v_cmp_le_u32_e32 vcc_lo, s20, v8
	v_cndmask_b32_e32 v10, v8, v9, vcc_lo
	s_delay_alu instid0(VALU_DEP_1) | instskip(NEXT) | instid1(VALU_DEP_1)
	v_add_nc_u32_e32 v18, s56, v10
	v_max_u32_e32 v8, v16, v18
	s_delay_alu instid0(VALU_DEP_1)
	v_cmpx_gt_u32_e64 s21, v8
	s_cbranch_execz .LBB93_60
; %bb.62:                               ;   in Loop: Header=BB93_61 Depth=5
	ds_load_2addr_b32 v[12:13], v41 offset1:1
	ds_load_b32 v9, v42
	s_and_not1_b32 vcc_lo, exec_lo, s55
	s_mov_b32 s63, -1
                                        ; implicit-def: $vgpr22_vgpr23
                                        ; implicit-def: $vgpr20_vgpr21
	s_wait_dscnt 0x1
	v_mov_b32_e32 v11, v12
	v_xor_b32_e32 v14, 0x80000000, v13
	s_cbranch_vccnz .LBB93_64
; %bb.63:                               ;   in Loop: Header=BB93_61 Depth=5
	v_mov_b64_e32 v[22:23], v[12:13]
	s_wait_dscnt 0x0
	v_dual_mov_b32 v8, v9 :: v_dual_mov_b32 v20, v13
	v_mov_b32_e32 v15, v13
	s_mov_b32 s63, 0
.LBB93_64:                              ;   in Loop: Header=BB93_61 Depth=5
	s_delay_alu instid0(SALU_CYCLE_1)
	s_and_not1_b32 vcc_lo, exec_lo, s63
	s_cbranch_vccnz .LBB93_68
; %bb.65:                               ;   in Loop: Header=BB93_61 Depth=5
	v_dual_add_nc_u32 v8, s20, v10 :: v_dual_add_nc_u32 v19, s61, v37
	v_dual_mov_b32 v15, v13 :: v_dual_mov_b32 v10, v13
	s_delay_alu instid0(VALU_DEP_2)
	v_add_nc_u32_e32 v17, v8, v39
	s_clause 0x1
	flat_load_b64 v[22:23], v19, s[36:37] scale_offset
	flat_load_b64 v[20:21], v17, s[36:37] scale_offset
	s_wait_loadcnt_dscnt 0x101
	v_pk_mul_f32 v[48:49], v[10:11], v[22:23] op_sel_hi:[0,1] neg_lo:[1,0]
	s_wait_loadcnt_dscnt 0x0
	v_pk_mul_f32 v[44:45], v[10:11], v[20:21] op_sel_hi:[0,1]
	s_delay_alu instid0(VALU_DEP_1) | instskip(SKIP_1) | instid1(VALU_DEP_2)
	v_pk_fma_f32 v[46:47], v[20:21], v[12:13], v[44:45] op_sel:[0,0,1] op_sel_hi:[1,0,0] neg_lo:[0,0,1] neg_hi:[0,0,1]
	v_pk_fma_f32 v[44:45], v[20:21], v[12:13], v[44:45] op_sel:[0,0,1] op_sel_hi:[1,1,0]
	v_dual_mov_b32 v10, v9 :: v_dual_mov_b32 v45, v47
	v_pk_fma_f32 v[46:47], v[22:23], v[12:13], v[48:49] op_sel:[0,0,1] op_sel_hi:[1,0,0] neg_lo:[1,0,0] neg_hi:[1,0,0]
	s_delay_alu instid0(VALU_DEP_2) | instskip(NEXT) | instid1(VALU_DEP_2)
	v_pk_fma_f32 v[22:23], v[10:11], v[22:23], v[44:45] op_sel_hi:[0,1,1]
	v_pk_fma_f32 v[20:21], v[10:11], v[20:21], v[46:47] op_sel_hi:[0,1,1]
	s_clause 0x1
	flat_store_b64 v19, v[22:23], s[36:37] scale_offset
	flat_store_b64 v17, v[20:21], s[36:37] scale_offset
	s_wait_xcnt 0x0
	s_and_saveexec_b32 s63, s2
	s_cbranch_execz .LBB93_67
; %bb.66:                               ;   in Loop: Header=BB93_61 Depth=5
	v_dual_mov_b32 v44, v13 :: v_dual_add_nc_u32 v17, v8, v40
	v_dual_add_nc_u32 v19, s61, v36 :: v_dual_mov_b32 v45, v13
	v_dual_mov_b32 v10, v12 :: v_dual_mov_b32 v8, v9
	s_clause 0x1
	flat_load_b64 v[20:21], v17, s[36:37] scale_offset
	flat_load_b64 v[22:23], v19, s[36:37] scale_offset
	s_wait_loadcnt_dscnt 0x101
	v_pk_mul_f32 v[44:45], v[44:45], v[20:21]
	s_wait_loadcnt_dscnt 0x0
	v_pk_mul_f32 v[48:49], v[14:15], v[22:23]
	s_delay_alu instid0(VALU_DEP_2) | instskip(SKIP_1) | instid1(VALU_DEP_2)
	v_pk_fma_f32 v[46:47], v[20:21], v[10:11], v[44:45] op_sel:[0,0,1] op_sel_hi:[1,1,0] neg_lo:[0,0,1] neg_hi:[0,0,1]
	v_pk_fma_f32 v[44:45], v[20:21], v[10:11], v[44:45] op_sel:[0,0,1] op_sel_hi:[1,1,0]
	v_mov_b32_e32 v45, v47
	s_delay_alu instid0(VALU_DEP_4) | instskip(NEXT) | instid1(VALU_DEP_2)
	v_pk_fma_f32 v[46:47], v[22:23], v[10:11], v[48:49] op_sel:[0,0,1] op_sel_hi:[1,1,0] neg_lo:[1,0,0] neg_hi:[1,0,0]
	v_pk_fma_f32 v[22:23], v[8:9], v[22:23], v[44:45]
	s_delay_alu instid0(VALU_DEP_2)
	v_pk_fma_f32 v[20:21], v[8:9], v[20:21], v[46:47]
	s_clause 0x1
	flat_store_b64 v19, v[22:23], s[36:37] scale_offset
	flat_store_b64 v17, v[20:21], s[36:37] scale_offset
.LBB93_67:                              ;   in Loop: Header=BB93_61 Depth=5
	s_wait_xcnt 0x0
	s_or_b32 exec_lo, exec_lo, s63
	v_mov_b64_e32 v[22:23], v[12:13]
	v_dual_mov_b32 v8, v9 :: v_dual_mov_b32 v20, v13
.LBB93_68:                              ;   in Loop: Header=BB93_61 Depth=5
	v_dual_mov_b32 v19, v3 :: v_dual_mov_b32 v17, v3
	s_delay_alu instid0(VALU_DEP_2) | instskip(NEXT) | instid1(VALU_DEP_2)
	v_dual_mov_b32 v12, v20 :: v_dual_mov_b32 v10, v22
	v_mul_u64_e32 v[18:19], s[18:19], v[18:19]
	s_delay_alu instid0(VALU_DEP_3) | instskip(NEXT) | instid1(VALU_DEP_2)
	v_mul_u64_e32 v[44:45], s[18:19], v[16:17]
	v_lshl_add_u64 v[16:17], v[18:19], 3, s[30:31]
	s_delay_alu instid0(VALU_DEP_2) | instskip(NEXT) | instid1(VALU_DEP_2)
	v_lshl_add_u64 v[18:19], v[44:45], 3, s[30:31]
	v_add_nc_u64_e32 v[46:47], v[16:17], v[4:5]
	s_delay_alu instid0(VALU_DEP_2)
	v_add_nc_u64_e32 v[44:45], v[18:19], v[4:5]
	s_clause 0x1
	global_load_b64 v[48:49], v[46:47], off
	global_load_b64 v[50:51], v[44:45], off
	s_wait_loadcnt 0x1
	v_pk_mul_f32 v[20:21], v[12:13], v[48:49]
	s_wait_loadcnt 0x0
	v_pk_mul_f32 v[54:55], v[14:15], v[50:51]
	s_delay_alu instid0(VALU_DEP_2) | instskip(SKIP_1) | instid1(VALU_DEP_3)
	v_pk_fma_f32 v[52:53], v[48:49], v[10:11], v[20:21] op_sel:[0,0,1] op_sel_hi:[1,1,0] neg_lo:[0,0,1] neg_hi:[0,0,1]
	v_pk_fma_f32 v[20:21], v[48:49], v[22:23], v[20:21] op_sel:[0,0,1] op_sel_hi:[1,1,0]
	v_pk_fma_f32 v[22:23], v[50:51], v[10:11], v[54:55] op_sel:[0,0,1] op_sel_hi:[1,1,0] neg_lo:[1,0,0] neg_hi:[1,0,0]
	s_delay_alu instid0(VALU_DEP_3) | instskip(SKIP_1) | instid1(VALU_DEP_2)
	v_mov_b32_e32 v21, v53
	s_wait_dscnt 0x0
	v_pk_fma_f32 v[22:23], v[8:9], v[48:49], v[22:23]
	s_delay_alu instid0(VALU_DEP_2)
	v_pk_fma_f32 v[20:21], v[8:9], v[50:51], v[20:21]
	s_clause 0x1
	global_store_b64 v[44:45], v[20:21], off
	global_store_b64 v[46:47], v[22:23], off
	s_wait_xcnt 0x0
	s_and_b32 exec_lo, exec_lo, s2
	s_cbranch_execz .LBB93_60
; %bb.69:                               ;   in Loop: Header=BB93_61 Depth=5
	v_add_nc_u64_e32 v[16:17], v[16:17], v[6:7]
	v_add_nc_u64_e32 v[18:19], v[18:19], v[6:7]
	s_clause 0x1
	global_load_b64 v[20:21], v[16:17], off
	global_load_b64 v[22:23], v[18:19], off
	s_wait_loadcnt 0x1
	v_pk_mul_f32 v[12:13], v[12:13], v[20:21]
	s_wait_loadcnt 0x0
	v_pk_mul_f32 v[14:15], v[14:15], v[22:23]
	s_delay_alu instid0(VALU_DEP_2) | instskip(SKIP_1) | instid1(VALU_DEP_3)
	v_pk_fma_f32 v[44:45], v[20:21], v[10:11], v[12:13] op_sel:[0,0,1] op_sel_hi:[1,1,0] neg_lo:[0,0,1] neg_hi:[0,0,1]
	v_pk_fma_f32 v[12:13], v[20:21], v[10:11], v[12:13] op_sel:[0,0,1] op_sel_hi:[1,1,0]
	v_pk_fma_f32 v[10:11], v[22:23], v[10:11], v[14:15] op_sel:[0,0,1] op_sel_hi:[1,1,0] neg_lo:[1,0,0] neg_hi:[1,0,0]
	s_delay_alu instid0(VALU_DEP_3) | instskip(NEXT) | instid1(VALU_DEP_1)
	v_mov_b32_e32 v13, v45
	v_pk_fma_f32 v[12:13], v[8:9], v[22:23], v[12:13]
	s_delay_alu instid0(VALU_DEP_3)
	v_pk_fma_f32 v[8:9], v[8:9], v[20:21], v[10:11]
	s_clause 0x1
	global_store_b64 v[18:19], v[12:13], off
	global_store_b64 v[16:17], v[8:9], off
	s_branch .LBB93_60
.LBB93_70:                              ;   in Loop: Header=BB93_23 Depth=3
	s_or_b32 exec_lo, exec_lo, s3
	s_wait_storecnt 0x0
	s_barrier_signal -1
	s_barrier_wait -1
	s_and_saveexec_b32 s3, s0
	s_cbranch_execz .LBB93_79
; %bb.71:                               ;   in Loop: Header=BB93_23 Depth=3
	v_mov_b32_e32 v16, v25
	s_mov_b32 s58, 0
	s_branch .LBB93_73
.LBB93_72:                              ;   in Loop: Header=BB93_73 Depth=4
	s_or_b32 exec_lo, exec_lo, s59
	v_add_nc_u32_e32 v16, s42, v16
	s_delay_alu instid0(VALU_DEP_1) | instskip(SKIP_1) | instid1(SALU_CYCLE_1)
	v_cmp_le_u32_e32 vcc_lo, s20, v16
	s_or_b32 s58, vcc_lo, s58
	s_and_not1_b32 exec_lo, exec_lo, s58
	s_cbranch_execz .LBB93_79
.LBB93_73:                              ;   Parent Loop BB93_3 Depth=1
                                        ;     Parent Loop BB93_8 Depth=2
                                        ;       Parent Loop BB93_23 Depth=3
                                        ; =>      This Loop Header: Depth=4
                                        ;           Child Loop BB93_76 Depth 5
	s_and_saveexec_b32 s59, s1
	s_cbranch_execz .LBB93_72
; %bb.74:                               ;   in Loop: Header=BB93_73 Depth=4
	v_dual_add_nc_u32 v6, s56, v16 :: v_dual_add_nc_u32 v2, v16, v33
	v_dual_mov_b32 v7, v3 :: v_dual_mov_b32 v17, v29
	v_dual_mov_b32 v18, v28 :: v_dual_mov_b32 v4, v35
	s_delay_alu instid0(VALU_DEP_3) | instskip(NEXT) | instid1(VALU_DEP_3)
	v_mul_u64_e32 v[8:9], s[18:19], v[2:3]
	v_mul_u64_e32 v[10:11], s[18:19], v[6:7]
	v_cmp_gt_u32_e32 vcc_lo, s21, v6
	v_mov_b32_e32 v19, v24
	s_mov_b32 s60, 0
	s_delay_alu instid0(VALU_DEP_4) | instskip(NEXT) | instid1(VALU_DEP_4)
	v_lshl_add_u64 v[6:7], v[8:9], 3, s[30:31]
	v_lshl_add_u64 v[8:9], v[10:11], 3, s[30:31]
	s_branch .LBB93_76
.LBB93_75:                              ;   in Loop: Header=BB93_76 Depth=5
	s_wait_xcnt 0x0
	s_or_b32 exec_lo, exec_lo, s61
	v_dual_add_nc_u32 v19, s27, v19 :: v_dual_add_nc_u32 v4, s27, v4
	v_dual_add_nc_u32 v18, s52, v18 :: v_dual_add_nc_u32 v17, s53, v17
	s_delay_alu instid0(VALU_DEP_2) | instskip(SKIP_1) | instid1(SALU_CYCLE_1)
	v_cmp_le_u32_e64 s2, s20, v19
	s_or_b32 s60, s2, s60
	s_and_not1_b32 exec_lo, exec_lo, s60
	s_cbranch_execz .LBB93_72
.LBB93_76:                              ;   Parent Loop BB93_3 Depth=1
                                        ;     Parent Loop BB93_8 Depth=2
                                        ;       Parent Loop BB93_23 Depth=3
                                        ;         Parent Loop BB93_73 Depth=4
                                        ; =>        This Inner Loop Header: Depth=5
	v_dual_mov_b32 v5, v3 :: v_dual_add_nc_u32 v2, s57, v19
	s_mov_b32 s61, exec_lo
	s_delay_alu instid0(VALU_DEP_1) | instskip(NEXT) | instid1(VALU_DEP_1)
	v_mul_u64_e32 v[10:11], s[14:15], v[4:5]
	v_not_b32_e32 v5, v11
	s_delay_alu instid0(VALU_DEP_3) | instskip(NEXT) | instid1(VALU_DEP_2)
	v_mad_u32 v10, s50, v11, v2
	v_mad_u32 v2, s20, v5, v2
	s_delay_alu instid0(VALU_DEP_2) | instskip(NEXT) | instid1(VALU_DEP_1)
	v_cmp_le_u32_e64 s2, s20, v10
	v_cndmask_b32_e64 v2, v10, v2, s2
	s_delay_alu instid0(VALU_DEP_1) | instskip(SKIP_1) | instid1(VALU_DEP_1)
	v_subrev_nc_u32_e32 v5, s20, v2
	v_cmp_le_u32_e64 s2, s20, v2
	v_dual_cndmask_b32 v5, v2, v5, s2 :: v_dual_add_nc_u32 v2, v33, v19
	s_delay_alu instid0(VALU_DEP_1) | instskip(NEXT) | instid1(VALU_DEP_1)
	v_add_nc_u32_e32 v12, s56, v5
	v_max_u32_e32 v5, v2, v12
	s_delay_alu instid0(VALU_DEP_1)
	v_cmpx_gt_u32_e64 s21, v5
	s_cbranch_execz .LBB93_75
; %bb.77:                               ;   in Loop: Header=BB93_76 Depth=5
	v_mov_b32_e32 v13, v3
	v_lshl_add_u64 v[36:37], v[2:3], 3, v[6:7]
	s_delay_alu instid0(VALU_DEP_2)
	v_lshl_add_u64 v[20:21], v[12:13], 3, v[6:7]
	s_clause 0x1
	global_load_b64 v[38:39], v[36:37], off
	global_load_b64 v[22:23], v[20:21], off
	ds_load_2addr_b32 v[14:15], v17 offset1:1
	ds_load_b32 v10, v18
	s_wait_loadcnt_dscnt 0x101
	v_pk_mul_f32 v[44:45], v[38:39], v[14:15] op_sel:[1,1] op_sel_hi:[1,0]
	s_wait_loadcnt 0x0
	v_pk_mul_f32 v[40:41], v[22:23], v[14:15] op_sel:[1,1] op_sel_hi:[1,0]
	s_delay_alu instid0(VALU_DEP_1) | instskip(SKIP_1) | instid1(VALU_DEP_2)
	v_pk_fma_f32 v[42:43], v[22:23], v[14:15], v[40:41] op_sel_hi:[0,1,1]
	v_pk_fma_f32 v[40:41], v[22:23], v[14:15], v[40:41] neg_lo:[0,0,1] neg_hi:[0,0,1]
	v_mov_b32_e32 v41, v43
	v_pk_fma_f32 v[42:43], v[38:39], v[14:15], v[44:45] op_sel_hi:[0,1,1] neg_lo:[0,1,1] neg_hi:[0,0,1]
	s_wait_dscnt 0x0
	s_delay_alu instid0(VALU_DEP_2) | instskip(NEXT) | instid1(VALU_DEP_2)
	v_pk_fma_f32 v[38:39], v[10:11], v[38:39], v[40:41] op_sel_hi:[0,1,1]
	v_pk_fma_f32 v[22:23], v[10:11], v[22:23], v[42:43] op_sel_hi:[0,1,1]
	s_clause 0x1
	global_store_b64 v[36:37], v[38:39], off
	global_store_b64 v[20:21], v[22:23], off
	s_wait_xcnt 0x0
	s_and_b32 exec_lo, exec_lo, vcc_lo
	s_cbranch_execz .LBB93_75
; %bb.78:                               ;   in Loop: Header=BB93_76 Depth=5
	v_lshl_add_u64 v[12:13], v[12:13], 3, v[8:9]
	v_lshl_add_u64 v[22:23], v[2:3], 3, v[8:9]
	v_dual_mov_b32 v38, v15 :: v_dual_mov_b32 v39, v14
	v_xor_b32_e32 v42, 0x80000000, v14
	s_clause 0x1
	global_load_b64 v[20:21], v[12:13], off
	global_load_b64 v[36:37], v[22:23], off
	v_dual_mov_b32 v43, v15 :: v_dual_mov_b32 v11, v10
	s_wait_loadcnt 0x1
	v_pk_mul_f32 v[40:41], v[20:21], v[38:39] op_sel:[1,0]
	s_wait_loadcnt 0x0
	v_pk_mul_f32 v[38:39], v[36:37], v[38:39] op_sel:[1,0]
	s_delay_alu instid0(VALU_DEP_2) | instskip(SKIP_1) | instid1(VALU_DEP_3)
	v_pk_fma_f32 v[44:45], v[20:21], v[14:15], v[40:41] op_sel_hi:[0,1,1]
	v_pk_fma_f32 v[14:15], v[20:21], v[14:15], v[40:41] neg_lo:[0,0,1] neg_hi:[0,0,1]
	v_pk_fma_f32 v[38:39], v[36:37], v[42:43], v[38:39] op_sel_hi:[0,1,1] neg_lo:[0,0,1] neg_hi:[0,0,1]
	s_delay_alu instid0(VALU_DEP_3) | instskip(NEXT) | instid1(VALU_DEP_1)
	v_mov_b32_e32 v15, v45
	v_pk_fma_f32 v[14:15], v[10:11], v[36:37], v[14:15]
	s_delay_alu instid0(VALU_DEP_3)
	v_pk_fma_f32 v[10:11], v[10:11], v[20:21], v[38:39]
	s_clause 0x1
	global_store_b64 v[22:23], v[14:15], off
	global_store_b64 v[12:13], v[10:11], off
	s_branch .LBB93_75
.LBB93_79:                              ;   in Loop: Header=BB93_23 Depth=3
	s_or_b32 exec_lo, exec_lo, s3
	s_wait_storecnt 0x0
	s_barrier_signal -1
	s_barrier_wait -1
	s_and_saveexec_b32 s3, s0
	s_cbranch_execz .LBB93_22
; %bb.80:                               ;   in Loop: Header=BB93_23 Depth=3
	v_mov_b32_e32 v6, v25
	s_mov_b32 s58, 0
	s_branch .LBB93_82
.LBB93_81:                              ;   in Loop: Header=BB93_82 Depth=4
	s_or_b32 exec_lo, exec_lo, s59
	v_add_nc_u32_e32 v6, s42, v6
	s_delay_alu instid0(VALU_DEP_1) | instskip(SKIP_1) | instid1(SALU_CYCLE_1)
	v_cmp_le_u32_e32 vcc_lo, s20, v6
	s_or_b32 s58, vcc_lo, s58
	s_and_not1_b32 exec_lo, exec_lo, s58
	s_cbranch_execz .LBB93_22
.LBB93_82:                              ;   Parent Loop BB93_3 Depth=1
                                        ;     Parent Loop BB93_8 Depth=2
                                        ;       Parent Loop BB93_23 Depth=3
                                        ; =>      This Loop Header: Depth=4
                                        ;           Child Loop BB93_85 Depth 5
	s_and_saveexec_b32 s59, s1
	s_cbranch_execz .LBB93_81
; %bb.83:                               ;   in Loop: Header=BB93_82 Depth=4
	v_dual_mov_b32 v2, v35 :: v_dual_mov_b32 v7, v24
	s_mov_b32 s60, 0
	v_cmp_eq_u32_e32 vcc_lo, 0, v6
	s_branch .LBB93_85
.LBB93_84:                              ;   in Loop: Header=BB93_85 Depth=5
	s_wait_xcnt 0x0
	s_or_b32 exec_lo, exec_lo, s2
	v_dual_add_nc_u32 v7, s27, v7 :: v_dual_add_nc_u32 v2, s27, v2
	s_delay_alu instid0(VALU_DEP_1) | instskip(SKIP_1) | instid1(SALU_CYCLE_1)
	v_cmp_le_u32_e64 s2, s20, v7
	s_or_b32 s60, s2, s60
	s_and_not1_b32 exec_lo, exec_lo, s60
	s_cbranch_execz .LBB93_81
.LBB93_85:                              ;   Parent Loop BB93_3 Depth=1
                                        ;     Parent Loop BB93_8 Depth=2
                                        ;       Parent Loop BB93_23 Depth=3
                                        ;         Parent Loop BB93_82 Depth=4
                                        ; =>        This Inner Loop Header: Depth=5
	s_delay_alu instid0(VALU_DEP_2) | instskip(SKIP_1) | instid1(VALU_DEP_2)
	v_mul_u64_e32 v[4:5], s[14:15], v[2:3]
	v_add_nc_u32_e32 v4, s57, v7
	v_not_b32_e32 v8, v5
	s_delay_alu instid0(VALU_DEP_2) | instskip(NEXT) | instid1(VALU_DEP_2)
	v_mad_u32 v5, s50, v5, v4
	v_mad_u32 v4, s20, v8, v4
	s_delay_alu instid0(VALU_DEP_2) | instskip(NEXT) | instid1(VALU_DEP_1)
	v_cmp_le_u32_e64 s2, s20, v5
	v_cndmask_b32_e64 v4, v5, v4, s2
	s_delay_alu instid0(VALU_DEP_1) | instskip(SKIP_1) | instid1(VALU_DEP_1)
	v_subrev_nc_u32_e32 v5, s20, v4
	v_cmp_le_u32_e64 s2, s20, v4
	v_cndmask_b32_e64 v4, v4, v5, s2
	s_delay_alu instid0(VALU_DEP_1) | instskip(NEXT) | instid1(VALU_DEP_1)
	v_add_nc_u32_e32 v4, s56, v4
	v_cmp_gt_u32_e64 s2, s21, v4
	s_and_b32 s61, vcc_lo, s2
	s_delay_alu instid0(SALU_CYCLE_1)
	s_and_saveexec_b32 s2, s61
	s_cbranch_execz .LBB93_84
; %bb.86:                               ;   in Loop: Header=BB93_85 Depth=5
	v_dual_mov_b32 v5, v3 :: v_dual_add_nc_u32 v8, v33, v7
	v_mov_b32_e32 v9, v3
	s_delay_alu instid0(VALU_DEP_2) | instskip(NEXT) | instid1(VALU_DEP_2)
	v_mul_u64_e32 v[10:11], s[18:19], v[4:5]
	v_mul_u64_e32 v[12:13], s[18:19], v[8:9]
	s_delay_alu instid0(VALU_DEP_2) | instskip(NEXT) | instid1(VALU_DEP_2)
	v_lshl_add_u64 v[10:11], v[10:11], 3, s[30:31]
	v_lshl_add_u64 v[12:13], v[12:13], 3, s[30:31]
	s_delay_alu instid0(VALU_DEP_2) | instskip(NEXT) | instid1(VALU_DEP_2)
	v_lshl_add_u64 v[8:9], v[8:9], 3, v[10:11]
	v_lshl_add_u64 v[4:5], v[4:5], 3, v[12:13]
	s_clause 0x1
	global_store_b64 v[8:9], v[0:1], off
	global_store_b64 v[4:5], v[0:1], off
	s_branch .LBB93_84
.LBB93_87:                              ;   in Loop: Header=BB93_8 Depth=2
	s_and_b32 s2, s24, s44
	s_delay_alu instid0(SALU_CYCLE_1)
	s_and_b32 vcc_lo, exec_lo, s2
	s_cbranch_vccz .LBB93_7
; %bb.88:                               ;   in Loop: Header=BB93_8 Depth=2
	s_mov_b32 s3, exec_lo
	s_wait_storecnt 0x0
	s_barrier_signal -1
	s_barrier_wait -1
	s_wait_xcnt 0x0
	v_cmpx_lt_u32_e64 v25, v32
	s_cbranch_execz .LBB93_6
; %bb.89:                               ;   in Loop: Header=BB93_8 Depth=2
	v_dual_mov_b32 v2, v27 :: v_dual_mov_b32 v4, v25
	s_mov_b32 s24, 0
	v_cmp_lt_u32_e32 vcc_lo, v24, v32
	s_branch .LBB93_91
.LBB93_90:                              ;   in Loop: Header=BB93_91 Depth=3
	s_or_b32 exec_lo, exec_lo, s55
	v_dual_add_nc_u32 v4, s42, v4 :: v_dual_add_nc_u32 v2, s51, v2
	s_delay_alu instid0(VALU_DEP_1) | instskip(SKIP_1) | instid1(SALU_CYCLE_1)
	v_cmp_ge_u32_e64 s2, v4, v32
	s_or_b32 s24, s2, s24
	s_and_not1_b32 exec_lo, exec_lo, s24
	s_cbranch_execz .LBB93_6
.LBB93_91:                              ;   Parent Loop BB93_3 Depth=1
                                        ;     Parent Loop BB93_8 Depth=2
                                        ; =>    This Loop Header: Depth=3
                                        ;         Child Loop BB93_93 Depth 4
	s_and_saveexec_b32 s55, vcc_lo
	s_cbranch_execz .LBB93_90
; %bb.92:                               ;   in Loop: Header=BB93_91 Depth=3
	v_mov_b32_e32 v5, v24
	s_mov_b32 s56, 0
.LBB93_93:                              ;   Parent Loop BB93_3 Depth=1
                                        ;     Parent Loop BB93_8 Depth=2
                                        ;       Parent Loop BB93_91 Depth=3
                                        ; =>      This Inner Loop Header: Depth=4
	s_delay_alu instid0(VALU_DEP_1)
	v_dual_add_nc_u32 v8, v2, v5 :: v_dual_add_nc_u32 v5, s27, v5
	flat_load_b64 v[6:7], v8, s[36:37] scale_offset
	v_cmp_ge_u32_e64 s2, v5, v32
	s_or_b32 s56, s2, s56
	s_wait_loadcnt_dscnt 0x0
	global_store_b64 v8, v[6:7], s[34:35] scale_offset
	s_wait_xcnt 0x0
	s_and_not1_b32 exec_lo, exec_lo, s56
	s_cbranch_execnz .LBB93_93
	s_branch .LBB93_90
.LBB93_94:
	s_endpgm
	.section	.rodata,"a",@progbits
	.p2align	6, 0x0
	.amdhsa_kernel _ZN9rocsolver6v33100L17syevj_offd_kernelI19rocblas_complex_numIfEfPS3_EEviiT1_iilT0_PT_PiS9_S9_i
		.amdhsa_group_segment_fixed_size 0
		.amdhsa_private_segment_fixed_size 0
		.amdhsa_kernarg_size 336
		.amdhsa_user_sgpr_count 2
		.amdhsa_user_sgpr_dispatch_ptr 0
		.amdhsa_user_sgpr_queue_ptr 0
		.amdhsa_user_sgpr_kernarg_segment_ptr 1
		.amdhsa_user_sgpr_dispatch_id 0
		.amdhsa_user_sgpr_kernarg_preload_length 0
		.amdhsa_user_sgpr_kernarg_preload_offset 0
		.amdhsa_user_sgpr_private_segment_size 0
		.amdhsa_wavefront_size32 1
		.amdhsa_uses_dynamic_stack 0
		.amdhsa_enable_private_segment 0
		.amdhsa_system_sgpr_workgroup_id_x 1
		.amdhsa_system_sgpr_workgroup_id_y 0
		.amdhsa_system_sgpr_workgroup_id_z 1
		.amdhsa_system_sgpr_workgroup_info 0
		.amdhsa_system_vgpr_workitem_id 1
		.amdhsa_next_free_vgpr 56
		.amdhsa_next_free_sgpr 67
		.amdhsa_named_barrier_count 0
		.amdhsa_reserve_vcc 1
		.amdhsa_float_round_mode_32 0
		.amdhsa_float_round_mode_16_64 0
		.amdhsa_float_denorm_mode_32 3
		.amdhsa_float_denorm_mode_16_64 3
		.amdhsa_fp16_overflow 0
		.amdhsa_memory_ordered 1
		.amdhsa_forward_progress 1
		.amdhsa_inst_pref_size 49
		.amdhsa_round_robin_scheduling 0
		.amdhsa_exception_fp_ieee_invalid_op 0
		.amdhsa_exception_fp_denorm_src 0
		.amdhsa_exception_fp_ieee_div_zero 0
		.amdhsa_exception_fp_ieee_overflow 0
		.amdhsa_exception_fp_ieee_underflow 0
		.amdhsa_exception_fp_ieee_inexact 0
		.amdhsa_exception_int_div_zero 0
	.end_amdhsa_kernel
	.section	.text._ZN9rocsolver6v33100L17syevj_offd_kernelI19rocblas_complex_numIfEfPS3_EEviiT1_iilT0_PT_PiS9_S9_i,"axG",@progbits,_ZN9rocsolver6v33100L17syevj_offd_kernelI19rocblas_complex_numIfEfPS3_EEviiT1_iilT0_PT_PiS9_S9_i,comdat
.Lfunc_end93:
	.size	_ZN9rocsolver6v33100L17syevj_offd_kernelI19rocblas_complex_numIfEfPS3_EEviiT1_iilT0_PT_PiS9_S9_i, .Lfunc_end93-_ZN9rocsolver6v33100L17syevj_offd_kernelI19rocblas_complex_numIfEfPS3_EEviiT1_iilT0_PT_PiS9_S9_i
                                        ; -- End function
	.set _ZN9rocsolver6v33100L17syevj_offd_kernelI19rocblas_complex_numIfEfPS3_EEviiT1_iilT0_PT_PiS9_S9_i.num_vgpr, 56
	.set _ZN9rocsolver6v33100L17syevj_offd_kernelI19rocblas_complex_numIfEfPS3_EEviiT1_iilT0_PT_PiS9_S9_i.num_agpr, 0
	.set _ZN9rocsolver6v33100L17syevj_offd_kernelI19rocblas_complex_numIfEfPS3_EEviiT1_iilT0_PT_PiS9_S9_i.numbered_sgpr, 67
	.set _ZN9rocsolver6v33100L17syevj_offd_kernelI19rocblas_complex_numIfEfPS3_EEviiT1_iilT0_PT_PiS9_S9_i.num_named_barrier, 0
	.set _ZN9rocsolver6v33100L17syevj_offd_kernelI19rocblas_complex_numIfEfPS3_EEviiT1_iilT0_PT_PiS9_S9_i.private_seg_size, 0
	.set _ZN9rocsolver6v33100L17syevj_offd_kernelI19rocblas_complex_numIfEfPS3_EEviiT1_iilT0_PT_PiS9_S9_i.uses_vcc, 1
	.set _ZN9rocsolver6v33100L17syevj_offd_kernelI19rocblas_complex_numIfEfPS3_EEviiT1_iilT0_PT_PiS9_S9_i.uses_flat_scratch, 1
	.set _ZN9rocsolver6v33100L17syevj_offd_kernelI19rocblas_complex_numIfEfPS3_EEviiT1_iilT0_PT_PiS9_S9_i.has_dyn_sized_stack, 0
	.set _ZN9rocsolver6v33100L17syevj_offd_kernelI19rocblas_complex_numIfEfPS3_EEviiT1_iilT0_PT_PiS9_S9_i.has_recursion, 0
	.set _ZN9rocsolver6v33100L17syevj_offd_kernelI19rocblas_complex_numIfEfPS3_EEviiT1_iilT0_PT_PiS9_S9_i.has_indirect_call, 0
	.section	.AMDGPU.csdata,"",@progbits
; Kernel info:
; codeLenInByte = 6164
; TotalNumSgprs: 69
; NumVgprs: 56
; ScratchSize: 0
; MemoryBound: 0
; FloatMode: 240
; IeeeMode: 1
; LDSByteSize: 0 bytes/workgroup (compile time only)
; SGPRBlocks: 0
; VGPRBlocks: 3
; NumSGPRsForWavesPerEU: 69
; NumVGPRsForWavesPerEU: 56
; NamedBarCnt: 0
; Occupancy: 16
; WaveLimiterHint : 1
; COMPUTE_PGM_RSRC2:SCRATCH_EN: 0
; COMPUTE_PGM_RSRC2:USER_SGPR: 2
; COMPUTE_PGM_RSRC2:TRAP_HANDLER: 0
; COMPUTE_PGM_RSRC2:TGID_X_EN: 1
; COMPUTE_PGM_RSRC2:TGID_Y_EN: 0
; COMPUTE_PGM_RSRC2:TGID_Z_EN: 1
; COMPUTE_PGM_RSRC2:TIDIG_COMP_CNT: 1
	.section	.text._ZN9rocsolver6v33100L21syevj_offd_rotate_orgILb0E19rocblas_complex_numIfEfPS3_EEvbiiT2_iilPT0_PiS8_S8_,"axG",@progbits,_ZN9rocsolver6v33100L21syevj_offd_rotate_orgILb0E19rocblas_complex_numIfEfPS3_EEvbiiT2_iilPT0_PiS8_S8_,comdat
	.globl	_ZN9rocsolver6v33100L21syevj_offd_rotate_orgILb0E19rocblas_complex_numIfEfPS3_EEvbiiT2_iilPT0_PiS8_S8_ ; -- Begin function _ZN9rocsolver6v33100L21syevj_offd_rotate_orgILb0E19rocblas_complex_numIfEfPS3_EEvbiiT2_iilPT0_PiS8_S8_
	.p2align	8
	.type	_ZN9rocsolver6v33100L21syevj_offd_rotate_orgILb0E19rocblas_complex_numIfEfPS3_EEvbiiT2_iilPT0_PiS8_S8_,@function
_ZN9rocsolver6v33100L21syevj_offd_rotate_orgILb0E19rocblas_complex_numIfEfPS3_EEvbiiT2_iilPT0_PiS8_S8_: ; @_ZN9rocsolver6v33100L21syevj_offd_rotate_orgILb0E19rocblas_complex_numIfEfPS3_EEvbiiT2_iilPT0_PiS8_S8_
; %bb.0:
	s_load_b64 s[4:5], s[0:1], 0x40
	s_bfe_u32 s2, ttmp6, 0x40014
	s_lshr_b32 s3, ttmp7, 16
	s_add_co_i32 s2, s2, 1
	s_bfe_u32 s6, ttmp6, 0x40008
	s_mul_i32 s2, s3, s2
	s_getreg_b32 s18, hwreg(HW_REG_IB_STS2, 6, 4)
	s_add_co_i32 s6, s6, s2
	s_cmp_eq_u32 s18, 0
	s_cselect_b32 s2, s3, s6
	s_wait_kmcnt 0x0
	s_load_b32 s3, s[4:5], s2 offset:0x4 scale_offset
	s_wait_kmcnt 0x0
	s_cmp_lg_u32 s3, 0
	s_mov_b32 s3, 0
	s_cbranch_scc0 .LBB94_2
.LBB94_1:
	s_endpgm
.LBB94_2:
	s_load_b256 s[4:11], s[0:1], 0x20
	s_bfe_u32 s12, ttmp6, 0x4000c
	s_and_b32 s13, ttmp6, 15
	s_add_co_i32 s12, s12, 1
	s_delay_alu instid0(SALU_CYCLE_1) | instskip(NEXT) | instid1(SALU_CYCLE_1)
	s_mul_i32 s12, ttmp9, s12
	s_add_co_i32 s13, s13, s12
	s_cmp_eq_u32 s18, 0
	s_cselect_b32 s16, ttmp9, s13
	s_delay_alu instid0(SALU_CYCLE_1) | instskip(NEXT) | instid1(SALU_CYCLE_1)
	s_ashr_i32 s17, s16, 31
	s_lshl_b64 s[12:13], s[16:17], 2
	s_wait_kmcnt 0x0
	s_add_nc_u64 s[20:21], s[8:9], s[12:13]
	s_add_nc_u64 s[10:11], s[10:11], s[12:13]
	s_load_b32 s8, s[20:21], 0x0
	s_load_b32 s9, s[10:11], 0x0
	s_load_b96 s[12:14], s[0:1], 0x0
	s_wait_kmcnt 0x0
	s_max_i32 s15, s8, s9
	s_delay_alu instid0(SALU_CYCLE_1)
	s_cmp_ge_i32 s15, s13
	s_cbranch_scc1 .LBB94_1
; %bb.3:
	s_bitcmp1_b32 s12, 0
	s_cselect_b32 s10, -1, 0
	s_bfe_u32 s11, ttmp6, 0x40010
	s_and_b32 s12, ttmp7, 0xffff
	s_add_co_i32 s11, s11, 1
	s_bfe_u32 s13, ttmp6, 0x40004
	s_mul_i32 s11, s12, s11
	s_xor_b32 s10, s10, -1
	s_add_co_i32 s13, s13, s11
	s_cmp_eq_u32 s18, 0
	s_cselect_b32 s17, s12, s13
	s_and_b32 vcc_lo, exec_lo, s10
	s_min_i32 s19, s8, s9
	s_cbranch_vccnz .LBB94_5
; %bb.4:
	s_lshr_b32 s8, s17, 1
	s_delay_alu instid0(SALU_CYCLE_1) | instskip(SKIP_3) | instid1(SALU_CYCLE_1)
	s_cmp_lg_u32 s8, s19
	s_cselect_b32 s9, -1, 0
	s_cmp_lg_u32 s8, s15
	s_cselect_b32 s8, -1, 0
	s_and_b32 s10, s9, s8
.LBB94_5:
	s_delay_alu instid0(SALU_CYCLE_1)
	s_and_not1_b32 vcc_lo, exec_lo, s10
	s_cbranch_vccnz .LBB94_1
; %bb.6:
	s_add_nc_u64 s[8:9], s[0:1], 0x48
	v_and_b32_e32 v4, 0x3ff, v0
	s_load_b32 s20, s[8:9], 0xc
	v_bfe_u32 v5, v0, 10, 10
	s_wait_kmcnt 0x0
	s_bfe_u32 s13, s20, 0xf0001
	s_delay_alu instid0(SALU_CYCLE_1) | instskip(SKIP_3) | instid1(SALU_CYCLE_1)
	s_mul_i32 s8, s19, s13
	v_cmp_gt_u32_e32 vcc_lo, s13, v4
	v_mov_b32_e32 v1, s8
	s_mul_i32 s18, s15, s13
	s_sub_co_i32 s8, s18, s13
	s_delay_alu instid0(VALU_DEP_1) | instid1(SALU_CYCLE_1)
	v_cndmask_b32_e32 v1, s8, v1, vcc_lo
	s_lshr_b32 s8, s20, 16
	s_delay_alu instid0(SALU_CYCLE_1) | instskip(SKIP_1) | instid1(VALU_DEP_1)
	s_mul_i32 s17, s17, s8
	s_mov_b32 s8, exec_lo
	v_dual_add_nc_u32 v2, v1, v4 :: v_dual_add_nc_u32 v3, s17, v5
	s_delay_alu instid0(VALU_DEP_1) | instskip(NEXT) | instid1(VALU_DEP_1)
	v_max_i32_e32 v0, v2, v3
	v_cmpx_gt_i32_e64 s14, v0
	s_cbranch_execz .LBB94_1
; %bb.7:
	s_clause 0x1
	s_load_b32 s21, s[0:1], 0x48
	s_load_b128 s[8:11], s[0:1], 0x10
	s_wait_xcnt 0x0
	s_mul_u64 s[0:1], s[4:5], s[2:3]
	s_lshl_b32 s12, s13, 1
	s_lshl_b64 s[0:1], s[0:1], 3
	s_wait_kmcnt 0x0
	s_mul_i32 s2, s21, s2
	s_ashr_i32 s3, s10, 31
	s_add_co_i32 s4, s2, s16
	s_mov_b32 s2, s10
	s_mul_i32 s4, s4, s13
	s_add_nc_u64 s[0:1], s[8:9], s[0:1]
	s_mul_i32 s4, s4, s13
	s_lshl_b64 s[2:3], s[2:3], 3
	s_lshl_b32 s4, s4, 2
	s_add_nc_u64 s[0:1], s[0:1], s[2:3]
	s_ashr_i32 s5, s4, 31
	s_and_b32 s8, 0xffff, s20
	s_lshl_b64 s[2:3], s[4:5], 3
	s_cmp_lt_u32 s8, 2
	s_add_nc_u64 s[2:3], s[6:7], s[2:3]
	s_cbranch_scc1 .LBB94_10
; %bb.8:
	v_dual_mov_b32 v0, 0 :: v_dual_mov_b32 v7, v4
	s_mul_i32 s4, s11, s19
	s_delay_alu instid0(SALU_CYCLE_1) | instskip(NEXT) | instid1(VALU_DEP_1)
	s_mul_i32 s4, s4, s13
	v_mov_b32_e32 v1, v0
	v_add3_u32 v6, s17, s4, v5
	s_mov_b32 s4, s13
.LBB94_9:                               ; =>This Inner Loop Header: Depth=1
	global_load_b64 v[8:9], v7, s[2:3] scale_offset
	global_load_b64 v[10:11], v6, s[0:1] scale_offset
	s_wait_xcnt 0x1
	v_add_nc_u32_e32 v7, s12, v7
	s_add_co_i32 s4, s4, -1
	s_wait_xcnt 0x0
	v_add_nc_u32_e32 v6, s11, v6
	s_cmp_eq_u32 s4, 0
	s_wait_loadcnt 0x0
	v_pk_mul_f32 v[12:13], v[10:11], v[8:9] op_sel:[1,1] op_sel_hi:[0,1]
	s_delay_alu instid0(VALU_DEP_1) | instskip(SKIP_1) | instid1(VALU_DEP_2)
	v_pk_fma_f32 v[14:15], v[10:11], v[8:9], v[12:13] op_sel_hi:[1,0,1]
	v_pk_fma_f32 v[8:9], v[10:11], v[8:9], v[12:13] neg_lo:[0,0,1] neg_hi:[0,0,1]
	v_mov_b32_e32 v9, v15
	s_delay_alu instid0(VALU_DEP_1)
	v_pk_add_f32 v[0:1], v[0:1], v[8:9]
	s_cbranch_scc0 .LBB94_9
	s_branch .LBB94_11
.LBB94_10:
	v_mov_b64_e32 v[0:1], 0
.LBB94_11:
	s_sub_co_i32 s4, s14, s18
	s_delay_alu instid0(SALU_CYCLE_1) | instskip(NEXT) | instid1(SALU_CYCLE_1)
	s_min_i32 s4, s4, s13
	s_cmp_lt_i32 s4, 1
	s_cbranch_scc1 .LBB94_14
; %bb.12:
	s_mul_i32 s5, s11, s15
	s_delay_alu instid0(SALU_CYCLE_1)
	s_mul_i32 s5, s5, s13
	s_mul_i32 s13, s13, s13
	v_add3_u32 v5, s17, s5, v5
	v_lshl_add_u32 v4, s13, 1, v4
.LBB94_13:                              ; =>This Inner Loop Header: Depth=1
	global_load_b64 v[6:7], v4, s[2:3] scale_offset
	global_load_b64 v[8:9], v5, s[0:1] scale_offset
	s_wait_xcnt 0x1
	v_add_nc_u32_e32 v4, s12, v4
	s_add_co_i32 s4, s4, -1
	s_wait_xcnt 0x0
	v_add_nc_u32_e32 v5, s11, v5
	s_cmp_lg_u32 s4, 0
	s_wait_loadcnt 0x0
	v_pk_mul_f32 v[10:11], v[8:9], v[6:7] op_sel:[1,1] op_sel_hi:[0,1]
	s_delay_alu instid0(VALU_DEP_1) | instskip(SKIP_1) | instid1(VALU_DEP_2)
	v_pk_fma_f32 v[12:13], v[8:9], v[6:7], v[10:11] op_sel_hi:[1,0,1]
	v_pk_fma_f32 v[6:7], v[8:9], v[6:7], v[10:11] neg_lo:[0,0,1] neg_hi:[0,0,1]
	v_mov_b32_e32 v7, v13
	s_delay_alu instid0(VALU_DEP_1)
	v_pk_add_f32 v[0:1], v[0:1], v[6:7]
	s_cbranch_scc1 .LBB94_13
.LBB94_14:
	v_mad_u32 v2, v2, s11, v3
	s_barrier_signal -1
	s_barrier_wait -1
	global_store_b64 v2, v[0:1], s[0:1] scale_offset
	s_endpgm
	.section	.rodata,"a",@progbits
	.p2align	6, 0x0
	.amdhsa_kernel _ZN9rocsolver6v33100L21syevj_offd_rotate_orgILb0E19rocblas_complex_numIfEfPS3_EEvbiiT2_iilPT0_PiS8_S8_
		.amdhsa_group_segment_fixed_size 0
		.amdhsa_private_segment_fixed_size 0
		.amdhsa_kernarg_size 328
		.amdhsa_user_sgpr_count 2
		.amdhsa_user_sgpr_dispatch_ptr 0
		.amdhsa_user_sgpr_queue_ptr 0
		.amdhsa_user_sgpr_kernarg_segment_ptr 1
		.amdhsa_user_sgpr_dispatch_id 0
		.amdhsa_user_sgpr_kernarg_preload_length 0
		.amdhsa_user_sgpr_kernarg_preload_offset 0
		.amdhsa_user_sgpr_private_segment_size 0
		.amdhsa_wavefront_size32 1
		.amdhsa_uses_dynamic_stack 0
		.amdhsa_enable_private_segment 0
		.amdhsa_system_sgpr_workgroup_id_x 1
		.amdhsa_system_sgpr_workgroup_id_y 1
		.amdhsa_system_sgpr_workgroup_id_z 1
		.amdhsa_system_sgpr_workgroup_info 0
		.amdhsa_system_vgpr_workitem_id 1
		.amdhsa_next_free_vgpr 16
		.amdhsa_next_free_sgpr 22
		.amdhsa_named_barrier_count 0
		.amdhsa_reserve_vcc 1
		.amdhsa_float_round_mode_32 0
		.amdhsa_float_round_mode_16_64 0
		.amdhsa_float_denorm_mode_32 3
		.amdhsa_float_denorm_mode_16_64 3
		.amdhsa_fp16_overflow 0
		.amdhsa_memory_ordered 1
		.amdhsa_forward_progress 1
		.amdhsa_inst_pref_size 7
		.amdhsa_round_robin_scheduling 0
		.amdhsa_exception_fp_ieee_invalid_op 0
		.amdhsa_exception_fp_denorm_src 0
		.amdhsa_exception_fp_ieee_div_zero 0
		.amdhsa_exception_fp_ieee_overflow 0
		.amdhsa_exception_fp_ieee_underflow 0
		.amdhsa_exception_fp_ieee_inexact 0
		.amdhsa_exception_int_div_zero 0
	.end_amdhsa_kernel
	.section	.text._ZN9rocsolver6v33100L21syevj_offd_rotate_orgILb0E19rocblas_complex_numIfEfPS3_EEvbiiT2_iilPT0_PiS8_S8_,"axG",@progbits,_ZN9rocsolver6v33100L21syevj_offd_rotate_orgILb0E19rocblas_complex_numIfEfPS3_EEvbiiT2_iilPT0_PiS8_S8_,comdat
.Lfunc_end94:
	.size	_ZN9rocsolver6v33100L21syevj_offd_rotate_orgILb0E19rocblas_complex_numIfEfPS3_EEvbiiT2_iilPT0_PiS8_S8_, .Lfunc_end94-_ZN9rocsolver6v33100L21syevj_offd_rotate_orgILb0E19rocblas_complex_numIfEfPS3_EEvbiiT2_iilPT0_PiS8_S8_
                                        ; -- End function
	.set _ZN9rocsolver6v33100L21syevj_offd_rotate_orgILb0E19rocblas_complex_numIfEfPS3_EEvbiiT2_iilPT0_PiS8_S8_.num_vgpr, 16
	.set _ZN9rocsolver6v33100L21syevj_offd_rotate_orgILb0E19rocblas_complex_numIfEfPS3_EEvbiiT2_iilPT0_PiS8_S8_.num_agpr, 0
	.set _ZN9rocsolver6v33100L21syevj_offd_rotate_orgILb0E19rocblas_complex_numIfEfPS3_EEvbiiT2_iilPT0_PiS8_S8_.numbered_sgpr, 22
	.set _ZN9rocsolver6v33100L21syevj_offd_rotate_orgILb0E19rocblas_complex_numIfEfPS3_EEvbiiT2_iilPT0_PiS8_S8_.num_named_barrier, 0
	.set _ZN9rocsolver6v33100L21syevj_offd_rotate_orgILb0E19rocblas_complex_numIfEfPS3_EEvbiiT2_iilPT0_PiS8_S8_.private_seg_size, 0
	.set _ZN9rocsolver6v33100L21syevj_offd_rotate_orgILb0E19rocblas_complex_numIfEfPS3_EEvbiiT2_iilPT0_PiS8_S8_.uses_vcc, 1
	.set _ZN9rocsolver6v33100L21syevj_offd_rotate_orgILb0E19rocblas_complex_numIfEfPS3_EEvbiiT2_iilPT0_PiS8_S8_.uses_flat_scratch, 0
	.set _ZN9rocsolver6v33100L21syevj_offd_rotate_orgILb0E19rocblas_complex_numIfEfPS3_EEvbiiT2_iilPT0_PiS8_S8_.has_dyn_sized_stack, 0
	.set _ZN9rocsolver6v33100L21syevj_offd_rotate_orgILb0E19rocblas_complex_numIfEfPS3_EEvbiiT2_iilPT0_PiS8_S8_.has_recursion, 0
	.set _ZN9rocsolver6v33100L21syevj_offd_rotate_orgILb0E19rocblas_complex_numIfEfPS3_EEvbiiT2_iilPT0_PiS8_S8_.has_indirect_call, 0
	.section	.AMDGPU.csdata,"",@progbits
; Kernel info:
; codeLenInByte = 864
; TotalNumSgprs: 24
; NumVgprs: 16
; ScratchSize: 0
; MemoryBound: 0
; FloatMode: 240
; IeeeMode: 1
; LDSByteSize: 0 bytes/workgroup (compile time only)
; SGPRBlocks: 0
; VGPRBlocks: 0
; NumSGPRsForWavesPerEU: 24
; NumVGPRsForWavesPerEU: 16
; NamedBarCnt: 0
; Occupancy: 16
; WaveLimiterHint : 0
; COMPUTE_PGM_RSRC2:SCRATCH_EN: 0
; COMPUTE_PGM_RSRC2:USER_SGPR: 2
; COMPUTE_PGM_RSRC2:TRAP_HANDLER: 0
; COMPUTE_PGM_RSRC2:TGID_X_EN: 1
; COMPUTE_PGM_RSRC2:TGID_Y_EN: 1
; COMPUTE_PGM_RSRC2:TGID_Z_EN: 1
; COMPUTE_PGM_RSRC2:TIDIG_COMP_CNT: 1
	.section	.text._ZN9rocsolver6v33100L17syevj_offd_rotateILb0E19rocblas_complex_numIfEfPS3_EEvbiiT2_iilPT0_PiS8_S8_i,"axG",@progbits,_ZN9rocsolver6v33100L17syevj_offd_rotateILb0E19rocblas_complex_numIfEfPS3_EEvbiiT2_iilPT0_PiS8_S8_i,comdat
	.globl	_ZN9rocsolver6v33100L17syevj_offd_rotateILb0E19rocblas_complex_numIfEfPS3_EEvbiiT2_iilPT0_PiS8_S8_i ; -- Begin function _ZN9rocsolver6v33100L17syevj_offd_rotateILb0E19rocblas_complex_numIfEfPS3_EEvbiiT2_iilPT0_PiS8_S8_i
	.p2align	8
	.type	_ZN9rocsolver6v33100L17syevj_offd_rotateILb0E19rocblas_complex_numIfEfPS3_EEvbiiT2_iilPT0_PiS8_S8_i,@function
_ZN9rocsolver6v33100L17syevj_offd_rotateILb0E19rocblas_complex_numIfEfPS3_EEvbiiT2_iilPT0_PiS8_S8_i: ; @_ZN9rocsolver6v33100L17syevj_offd_rotateILb0E19rocblas_complex_numIfEfPS3_EEvbiiT2_iilPT0_PiS8_S8_i
; %bb.0:
	s_clause 0x1
	s_load_b96 s[20:22], s[0:1], 0x0
	s_load_b32 s30, s[0:1], 0x48
	s_bfe_u32 s4, ttmp6, 0x40014
	s_lshr_b32 s3, ttmp7, 16
	s_add_co_i32 s4, s4, 1
	s_delay_alu instid0(SALU_CYCLE_1) | instskip(SKIP_3) | instid1(SALU_CYCLE_1)
	s_mul_i32 s6, s3, s4
	s_getreg_b32 s4, hwreg(HW_REG_IB_STS2, 6, 4)
	s_wait_kmcnt 0x0
	s_abs_i32 s5, s21
	s_cvt_f32_u32 s2, s5
	s_delay_alu instid0(SALU_CYCLE_3) | instskip(SKIP_1) | instid1(SALU_CYCLE_1)
	v_rcp_iflag_f32_e32 v1, s2
	s_bfe_u32 s2, ttmp6, 0x40008
	s_add_co_i32 s6, s2, s6
	s_cmp_eq_u32 s4, 0
	s_cselect_b32 s24, s3, s6
	v_nop
	s_delay_alu instid0(TRANS32_DEP_1)
	v_readfirstlane_b32 s2, v1
	s_cmp_ge_u32 s24, s30
	s_mov_b32 s3, 0
	s_cbranch_scc1 .LBB95_36
; %bb.1:
	s_mul_f32 s2, s2, 0x4f7ffffe
	s_add_co_i32 s6, s22, -1
	s_ashr_i32 s8, s21, 31
	s_mov_b32 s7, s3
	s_cvt_u32_f32 s9, s2
	s_sub_co_i32 s2, 0, s5
	s_ashr_i32 s10, s6, 31
	s_clause 0x1
	s_load_b128 s[12:15], s[0:1], 0x50
	s_load_b64 s[26:27], s[0:1], 0x40
	s_mul_i32 s2, s2, s9
	s_load_b128 s[16:19], s[0:1], 0x10
	s_mul_hi_u32 s11, s9, s2
	s_abs_i32 s2, s6
	s_add_co_i32 s6, s9, s11
	s_bitcmp1_b32 s20, 0
	s_mul_u64 s[6:7], s[2:3], s[6:7]
	s_cselect_b32 s6, -1, 0
	s_xor_b32 s8, s10, s8
	v_cndmask_b32_e64 v6, 0, 1, s6
	s_xor_b32 s20, s6, -1
	s_mul_i32 s6, s7, s5
	v_and_b32_e32 v7, 0x3ff, v0
	s_sub_co_i32 s2, s2, s6
	s_add_co_i32 s6, s7, 1
	s_sub_co_i32 s9, s2, s5
	s_cmp_ge_u32 s2, s5
	v_bfe_u32 v8, v0, 10, 10
	s_cselect_b32 s6, s6, s7
	s_cselect_b32 s2, s9, s2
	s_add_co_i32 s7, s6, 1
	s_cmp_ge_u32 s2, s5
	s_mov_b64 s[28:29], src_shared_base
	s_cselect_b32 s2, s7, s6
	s_bfe_u32 s5, ttmp6, 0x40010
	s_xor_b32 s2, s2, s8
	s_bfe_u32 s7, ttmp6, 0x4000c
	s_sub_co_i32 s31, s2, s8
	s_and_b32 s23, ttmp7, 0xffff
	s_add_co_i32 s34, s31, 1
	s_add_co_i32 s5, s5, 1
	s_lshr_b32 s2, s34, 31
	s_add_co_i32 s7, s7, 1
	s_add_co_i32 s2, s34, s2
	s_bfe_u32 s6, ttmp6, 0x40004
	s_and_b32 s2, s2, -2
	s_mul_i32 s5, s23, s5
	s_sub_co_i32 s2, s34, s2
	s_mul_i32 s7, ttmp9, s7
	s_add_co_i32 s2, s2, s34
	s_wait_kmcnt 0x0
	s_lshr_b32 s33, s15, 16
	s_lshr_b32 s8, s2, 31
	s_and_b32 s15, s15, 0xffff
	s_add_co_i32 s2, s2, s8
	s_add_co_i32 s25, s6, s5
	s_ashr_i32 s35, s2, 1
	s_and_b32 s2, ttmp6, 15
	v_mad_u32_u24 v9, v8, s15, v7
	s_add_co_i32 s2, s2, s7
	s_cmp_eq_u32 s4, 0
	s_load_b256 s[4:11], s[0:1], 0x20
	s_cselect_b32 s36, ttmp9, s2
	s_cselect_b32 s37, s23, s25
	s_lshl_b32 s38, s21, 1
	s_mov_b32 s40, s29
	s_wait_xcnt 0x0
	s_mul_i32 s0, s38, s21
	v_dual_lshlrev_b32 v0, 3, v9 :: v_dual_lshlrev_b32 v12, 3, v8
	s_lshl_b32 s1, s0, 3
	s_mul_i32 s0, s0, 3
	s_add_co_i32 s39, s1, 0
	s_cmp_lt_u32 s0, 0x2001
	s_mul_i32 s1, s21, s21
	s_cselect_b32 s41, -1, 0
	s_ashr_i32 s29, s18, 31
	s_lshl_b32 s42, s1, 2
	s_cmp_lt_u32 s36, s35
	s_mul_i32 s0, s31, s21
	s_cselect_b32 s43, -1, 0
	s_sub_co_i32 s44, s22, s0
	s_cmp_lt_u32 s37, s34
	s_mov_b32 s28, s18
	s_cselect_b32 s46, -1, 0
	s_lshl_b32 s1, s1, 4
	v_cmp_gt_u32_e64 s0, s42, v9
	v_add3_u32 v10, 0, s1, v0
	v_lshl_add_u32 v11, v7, 3, 0
	v_mov_b32_e32 v1, 0
	s_mul_i32 s45, s33, s15
	s_ashr_i32 s23, s19, 31
	s_mov_b32 s22, s19
	s_lshl_b64 s[18:19], s[28:29], 3
	s_lshl_b32 s47, s45, 3
	s_add_nc_u64 s[16:17], s[16:17], s[18:19]
	s_lshl_b32 s48, s33, 3
	s_lshl_b32 s49, s15, 3
	s_mul_i32 s50, s37, s21
	s_mul_i32 s51, s13, s21
	s_branch .LBB95_3
.LBB95_2:                               ;   in Loop: Header=BB95_3 Depth=1
	s_add_co_i32 s24, s24, s14
	s_delay_alu instid0(SALU_CYCLE_1)
	s_cmp_ge_u32 s24, s30
	s_cbranch_scc1 .LBB95_36
.LBB95_3:                               ; =>This Loop Header: Depth=1
                                        ;     Child Loop BB95_7 Depth 2
                                        ;       Child Loop BB95_11 Depth 3
                                        ;       Child Loop BB95_17 Depth 3
                                        ;         Child Loop BB95_23 Depth 4
                                        ;           Child Loop BB95_25 Depth 5
                                        ;         Child Loop BB95_29 Depth 4
                                        ;           Child Loop BB95_33 Depth 5
                                        ;             Child Loop BB95_35 Depth 6
	v_mov_b32_e32 v0, s24
	global_load_b32 v0, v0, s[26:27] offset:4 scale_offset
	s_wait_loadcnt 0x0
	v_cmp_ne_u32_e32 vcc_lo, 0, v0
	s_cbranch_vccnz .LBB95_2
; %bb.4:                                ;   in Loop: Header=BB95_3 Depth=1
	s_and_not1_b32 vcc_lo, exec_lo, s43
	s_cbranch_vccnz .LBB95_2
; %bb.5:                                ;   in Loop: Header=BB95_3 Depth=1
	s_mov_b32 s25, s3
	s_mov_b32 s52, s36
	s_wait_kmcnt 0x0
	s_mul_u64 s[18:19], s[4:5], s[24:25]
	s_mul_i32 s25, s24, s35
	s_lshl_b64 s[18:19], s[18:19], 3
	s_delay_alu instid0(SALU_CYCLE_1)
	s_add_nc_u64 s[18:19], s[16:17], s[18:19]
	s_branch .LBB95_7
.LBB95_6:                               ;   in Loop: Header=BB95_7 Depth=2
	s_add_co_i32 s52, s52, s12
	s_delay_alu instid0(SALU_CYCLE_1)
	s_cmp_lt_u32 s52, s35
	s_cbranch_scc0 .LBB95_2
.LBB95_7:                               ;   Parent Loop BB95_3 Depth=1
                                        ; =>  This Loop Header: Depth=2
                                        ;       Child Loop BB95_11 Depth 3
                                        ;       Child Loop BB95_17 Depth 3
                                        ;         Child Loop BB95_23 Depth 4
                                        ;           Child Loop BB95_25 Depth 5
                                        ;         Child Loop BB95_29 Depth 4
                                        ;           Child Loop BB95_33 Depth 5
                                        ;             Child Loop BB95_35 Depth 6
	v_mov_b32_e32 v0, s52
	s_clause 0x1
	global_load_b32 v2, v0, s[10:11] scale_offset
	global_load_b32 v3, v0, s[8:9] scale_offset
	s_wait_loadcnt 0x1
	v_readfirstlane_b32 s1, v2
	s_wait_loadcnt 0x0
	v_readfirstlane_b32 s54, v3
	s_max_i32 s53, s54, s1
	s_delay_alu instid0(SALU_CYCLE_1)
	s_cmp_gt_i32 s53, s31
	s_cbranch_scc1 .LBB95_6
; %bb.8:                                ;   in Loop: Header=BB95_7 Depth=2
	s_add_co_i32 s2, s52, s25
	s_and_not1_b32 vcc_lo, exec_lo, s41
	s_mul_i32 s2, s42, s2
	s_delay_alu instid0(SALU_CYCLE_1) | instskip(NEXT) | instid1(SALU_CYCLE_1)
	s_lshl_b64 s[28:29], s[2:3], 3
	s_add_nc_u64 s[28:29], s[6:7], s[28:29]
	s_cbranch_vccnz .LBB95_13
; %bb.9:                                ;   in Loop: Header=BB95_7 Depth=2
	s_barrier_signal -1
	s_barrier_wait -1
	s_and_saveexec_b32 s2, s0
	s_cbranch_execz .LBB95_12
; %bb.10:                               ;   in Loop: Header=BB95_7 Depth=2
	v_dual_mov_b32 v0, v10 :: v_dual_mov_b32 v2, v9
	s_mov_b32 s55, 0
.LBB95_11:                              ;   Parent Loop BB95_3 Depth=1
                                        ;     Parent Loop BB95_7 Depth=2
                                        ; =>    This Inner Loop Header: Depth=3
	global_load_b64 v[4:5], v2, s[28:29] scale_offset
	s_wait_xcnt 0x0
	v_add_nc_u32_e32 v2, s45, v2
	s_wait_loadcnt 0x0
	ds_store_b64 v0, v[4:5]
	v_add_nc_u32_e32 v0, s47, v0
	v_cmp_le_u32_e32 vcc_lo, s42, v2
	s_or_b32 s55, vcc_lo, s55
	s_delay_alu instid0(SALU_CYCLE_1)
	s_and_not1_b32 exec_lo, exec_lo, s55
	s_cbranch_execnz .LBB95_11
.LBB95_12:                              ;   in Loop: Header=BB95_7 Depth=2
	s_or_b32 exec_lo, exec_lo, s2
	s_wait_dscnt 0x0
	s_barrier_signal -1
	s_barrier_wait -1
.LBB95_13:                              ;   in Loop: Header=BB95_7 Depth=2
	s_and_not1_b32 vcc_lo, exec_lo, s46
	s_cbranch_vccnz .LBB95_6
; %bb.14:                               ;   in Loop: Header=BB95_7 Depth=2
	s_min_i32 s54, s1, s54
	s_mul_i32 s2, s53, s21
	s_cmp_eq_u32 s54, s31
	s_mul_i32 s59, s54, s21
	s_cselect_b32 s55, s44, s21
	s_cmp_eq_u32 s53, s31
	s_mov_b32 s60, s50
	s_cselect_b32 s1, s44, s21
	s_mov_b32 s61, s37
	s_add_co_i32 s56, s55, s1
	s_and_b32 s1, s41, exec_lo
	s_cselect_b32 s29, s40, s29
	s_cselect_b32 s28, s39, s28
	s_sub_co_i32 s57, s2, s55
	v_cmp_gt_u32_e64 s1, s56, v8
	s_cmp_gt_i32 s56, 0
	s_cselect_b32 s58, -1, 0
	s_branch .LBB95_17
.LBB95_15:                              ;   in Loop: Header=BB95_17 Depth=3
	s_or_b32 exec_lo, exec_lo, s63
	s_wait_storecnt 0x0
	s_barrier_signal -1
	s_barrier_wait -1
.LBB95_16:                              ;   in Loop: Header=BB95_17 Depth=3
	s_add_co_i32 s61, s61, s13
	s_add_co_i32 s60, s60, s51
	s_cmp_lt_u32 s61, s34
	s_cbranch_scc0 .LBB95_6
.LBB95_17:                              ;   Parent Loop BB95_3 Depth=1
                                        ;     Parent Loop BB95_7 Depth=2
                                        ; =>    This Loop Header: Depth=3
                                        ;         Child Loop BB95_23 Depth 4
                                        ;           Child Loop BB95_25 Depth 5
                                        ;         Child Loop BB95_29 Depth 4
                                        ;           Child Loop BB95_33 Depth 5
                                        ;             Child Loop BB95_35 Depth 6
	v_cmp_ne_u32_e32 vcc_lo, 1, v6
	s_mov_b32 s2, s20
	s_cbranch_vccz .LBB95_19
; %bb.18:                               ;   in Loop: Header=BB95_17 Depth=3
	s_and_not1_b32 vcc_lo, exec_lo, s2
	s_cbranch_vccnz .LBB95_16
	s_branch .LBB95_20
.LBB95_19:                              ;   in Loop: Header=BB95_17 Depth=3
	s_cmp_lg_u32 s61, s54
	s_cselect_b32 s2, -1, 0
	s_cmp_lg_u32 s61, s53
	s_cselect_b32 s62, -1, 0
	s_delay_alu instid0(SALU_CYCLE_1) | instskip(NEXT) | instid1(SALU_CYCLE_1)
	s_and_b32 s2, s2, s62
	s_and_not1_b32 vcc_lo, exec_lo, s2
	s_cbranch_vccnz .LBB95_16
.LBB95_20:                              ;   in Loop: Header=BB95_17 Depth=3
	s_cmp_eq_u32 s61, s31
	s_cselect_b32 s62, s44, s21
	s_barrier_signal -1
	s_barrier_wait -1
	s_and_saveexec_b32 s63, s1
	s_cbranch_execz .LBB95_26
; %bb.21:                               ;   in Loop: Header=BB95_17 Depth=3
	v_mad_u32 v4, v12, s62, v11
	v_mov_b32_e32 v5, v8
	s_mul_i32 s64, s48, s62
	s_mov_b32 s65, 0
	v_cmp_gt_u32_e32 vcc_lo, s62, v7
	s_branch .LBB95_23
.LBB95_22:                              ;   in Loop: Header=BB95_23 Depth=4
	s_or_b32 exec_lo, exec_lo, s66
	s_delay_alu instid0(VALU_DEP_3) | instskip(NEXT) | instid1(VALU_DEP_1)
	v_dual_add_nc_u32 v5, s33, v5 :: v_dual_add_nc_u32 v4, s64, v4
	v_cmp_le_u32_e64 s2, s56, v5
	s_or_b32 s65, s2, s65
	s_delay_alu instid0(SALU_CYCLE_1)
	s_and_not1_b32 exec_lo, exec_lo, s65
	s_cbranch_execz .LBB95_26
.LBB95_23:                              ;   Parent Loop BB95_3 Depth=1
                                        ;     Parent Loop BB95_7 Depth=2
                                        ;       Parent Loop BB95_17 Depth=3
                                        ; =>      This Loop Header: Depth=4
                                        ;           Child Loop BB95_25 Depth 5
	s_and_saveexec_b32 s66, vcc_lo
	s_cbranch_execz .LBB95_22
; %bb.24:                               ;   in Loop: Header=BB95_23 Depth=4
	s_delay_alu instid0(VALU_DEP_3) | instskip(SKIP_3) | instid1(VALU_DEP_1)
	v_dual_mov_b32 v0, s59 :: v_dual_mov_b32 v13, v4
	v_cmp_gt_u32_e64 s2, s55, v5
	s_mov_b32 s67, 0
	v_dual_mov_b32 v14, v7 :: v_dual_cndmask_b32 v0, s57, v0, s2
	v_add_nc_u32_e32 v0, v5, v0
	s_delay_alu instid0(VALU_DEP_1) | instskip(NEXT) | instid1(VALU_DEP_1)
	v_mul_u64_e32 v[2:3], s[22:23], v[0:1]
	v_lshl_add_u64 v[2:3], v[2:3], 3, s[18:19]
.LBB95_25:                              ;   Parent Loop BB95_3 Depth=1
                                        ;     Parent Loop BB95_7 Depth=2
                                        ;       Parent Loop BB95_17 Depth=3
                                        ;         Parent Loop BB95_23 Depth=4
                                        ; =>        This Inner Loop Header: Depth=5
	s_delay_alu instid0(VALU_DEP_4) | instskip(NEXT) | instid1(VALU_DEP_1)
	v_dual_add_nc_u32 v0, s60, v14 :: v_dual_add_nc_u32 v14, s15, v14
	v_lshl_add_u64 v[16:17], v[0:1], 3, v[2:3]
	s_delay_alu instid0(VALU_DEP_2)
	v_cmp_le_u32_e64 s2, s62, v14
	global_load_b64 v[16:17], v[16:17], off
	s_or_b32 s67, s2, s67
	s_wait_loadcnt 0x0
	ds_store_b64 v13, v[16:17]
	v_add_nc_u32_e32 v13, s49, v13
	s_wait_xcnt 0x0
	s_and_not1_b32 exec_lo, exec_lo, s67
	s_cbranch_execnz .LBB95_25
	s_branch .LBB95_22
.LBB95_26:                              ;   in Loop: Header=BB95_17 Depth=3
	s_or_b32 exec_lo, exec_lo, s63
	s_wait_dscnt 0x0
	s_barrier_signal -1
	s_barrier_wait -1
	s_and_saveexec_b32 s63, s1
	s_cbranch_execz .LBB95_15
; %bb.27:                               ;   in Loop: Header=BB95_17 Depth=3
	v_cmp_gt_u32_e64 s2, s62, v7
	v_mov_b32_e32 v13, v8
	s_mul_i32 s64, s61, s21
	s_lshl_b32 s65, s62, 3
	s_mov_b32 s66, 0
	s_branch .LBB95_29
.LBB95_28:                              ;   in Loop: Header=BB95_29 Depth=4
	s_or_b32 exec_lo, exec_lo, s67
	v_add_nc_u32_e32 v13, s33, v13
	s_delay_alu instid0(VALU_DEP_1) | instskip(SKIP_1) | instid1(SALU_CYCLE_1)
	v_cmp_le_u32_e32 vcc_lo, s56, v13
	s_or_b32 s66, vcc_lo, s66
	s_and_not1_b32 exec_lo, exec_lo, s66
	s_cbranch_execz .LBB95_15
.LBB95_29:                              ;   Parent Loop BB95_3 Depth=1
                                        ;     Parent Loop BB95_7 Depth=2
                                        ;       Parent Loop BB95_17 Depth=3
                                        ; =>      This Loop Header: Depth=4
                                        ;           Child Loop BB95_33 Depth 5
                                        ;             Child Loop BB95_35 Depth 6
	s_and_saveexec_b32 s67, s2
	s_cbranch_execz .LBB95_28
; %bb.30:                               ;   in Loop: Header=BB95_29 Depth=4
	v_dual_mov_b32 v0, s59 :: v_dual_mov_b32 v14, v11
	v_cmp_gt_u32_e32 vcc_lo, s55, v13
	s_mov_b32 s68, 0
	s_delay_alu instid0(VALU_DEP_2) | instskip(NEXT) | instid1(VALU_DEP_1)
	v_dual_mov_b32 v15, v7 :: v_dual_cndmask_b32 v0, s57, v0
	v_add_nc_u32_e32 v0, v13, v0
	s_delay_alu instid0(VALU_DEP_1) | instskip(NEXT) | instid1(VALU_DEP_1)
	v_mul_u64_e32 v[2:3], s[22:23], v[0:1]
	v_lshl_add_u64 v[2:3], v[2:3], 3, s[18:19]
	s_branch .LBB95_33
.LBB95_31:                              ;   in Loop: Header=BB95_33 Depth=5
	v_mov_b32_e32 v5, 0
	s_delay_alu instid0(VALU_DEP_1)
	v_mov_b32_e32 v4, v5
.LBB95_32:                              ;   in Loop: Header=BB95_33 Depth=5
	v_dual_add_nc_u32 v0, s64, v15 :: v_dual_add_nc_u32 v15, s15, v15
	v_add_nc_u32_e32 v14, s49, v14
	s_delay_alu instid0(VALU_DEP_2) | instskip(NEXT) | instid1(VALU_DEP_3)
	v_lshl_add_u64 v[16:17], v[0:1], 3, v[2:3]
	v_cmp_le_u32_e32 vcc_lo, s62, v15
	global_store_b64 v[16:17], v[4:5], off
	s_or_b32 s68, vcc_lo, s68
	s_wait_xcnt 0x0
	s_and_not1_b32 exec_lo, exec_lo, s68
	s_cbranch_execz .LBB95_28
.LBB95_33:                              ;   Parent Loop BB95_3 Depth=1
                                        ;     Parent Loop BB95_7 Depth=2
                                        ;       Parent Loop BB95_17 Depth=3
                                        ;         Parent Loop BB95_29 Depth=4
                                        ; =>        This Loop Header: Depth=5
                                        ;             Child Loop BB95_35 Depth 6
	s_and_not1_b32 vcc_lo, exec_lo, s58
	s_cbranch_vccnz .LBB95_31
; %bb.34:                               ;   in Loop: Header=BB95_33 Depth=5
	v_dual_mov_b32 v4, 0 :: v_dual_mov_b32 v0, v13
	v_mov_b32_e32 v16, v14
	s_mov_b32 s69, s56
	s_delay_alu instid0(VALU_DEP_2)
	v_mov_b32_e32 v5, v4
.LBB95_35:                              ;   Parent Loop BB95_3 Depth=1
                                        ;     Parent Loop BB95_7 Depth=2
                                        ;       Parent Loop BB95_17 Depth=3
                                        ;         Parent Loop BB95_29 Depth=4
                                        ;           Parent Loop BB95_33 Depth=5
                                        ; =>          This Inner Loop Header: Depth=6
	flat_load_b64 v[18:19], v0, s[28:29] scale_offset
	ds_load_b64 v[20:21], v16
	s_wait_xcnt 0x0
	v_add_nc_u32_e32 v0, s38, v0
	s_add_co_i32 s69, s69, -1
	v_add_nc_u32_e32 v16, s65, v16
	s_cmp_eq_u32 s69, 0
	s_wait_loadcnt_dscnt 0x0
	v_pk_mul_f32 v[22:23], v[18:19], v[20:21] op_sel:[1,1] op_sel_hi:[0,1]
	s_delay_alu instid0(VALU_DEP_1) | instskip(SKIP_1) | instid1(VALU_DEP_2)
	v_pk_fma_f32 v[24:25], v[18:19], v[20:21], v[22:23] op_sel_hi:[1,0,1]
	v_pk_fma_f32 v[18:19], v[18:19], v[20:21], v[22:23] neg_lo:[0,0,1] neg_hi:[0,0,1]
	v_mov_b32_e32 v19, v25
	s_delay_alu instid0(VALU_DEP_1)
	v_pk_add_f32 v[4:5], v[4:5], v[18:19]
	s_cbranch_scc0 .LBB95_35
	s_branch .LBB95_32
.LBB95_36:
	s_endpgm
	.section	.rodata,"a",@progbits
	.p2align	6, 0x0
	.amdhsa_kernel _ZN9rocsolver6v33100L17syevj_offd_rotateILb0E19rocblas_complex_numIfEfPS3_EEvbiiT2_iilPT0_PiS8_S8_i
		.amdhsa_group_segment_fixed_size 0
		.amdhsa_private_segment_fixed_size 0
		.amdhsa_kernarg_size 336
		.amdhsa_user_sgpr_count 2
		.amdhsa_user_sgpr_dispatch_ptr 0
		.amdhsa_user_sgpr_queue_ptr 0
		.amdhsa_user_sgpr_kernarg_segment_ptr 1
		.amdhsa_user_sgpr_dispatch_id 0
		.amdhsa_user_sgpr_kernarg_preload_length 0
		.amdhsa_user_sgpr_kernarg_preload_offset 0
		.amdhsa_user_sgpr_private_segment_size 0
		.amdhsa_wavefront_size32 1
		.amdhsa_uses_dynamic_stack 0
		.amdhsa_enable_private_segment 0
		.amdhsa_system_sgpr_workgroup_id_x 1
		.amdhsa_system_sgpr_workgroup_id_y 1
		.amdhsa_system_sgpr_workgroup_id_z 1
		.amdhsa_system_sgpr_workgroup_info 0
		.amdhsa_system_vgpr_workitem_id 1
		.amdhsa_next_free_vgpr 26
		.amdhsa_next_free_sgpr 70
		.amdhsa_named_barrier_count 0
		.amdhsa_reserve_vcc 1
		.amdhsa_float_round_mode_32 0
		.amdhsa_float_round_mode_16_64 0
		.amdhsa_float_denorm_mode_32 3
		.amdhsa_float_denorm_mode_16_64 3
		.amdhsa_fp16_overflow 0
		.amdhsa_memory_ordered 1
		.amdhsa_forward_progress 1
		.amdhsa_inst_pref_size 13
		.amdhsa_round_robin_scheduling 0
		.amdhsa_exception_fp_ieee_invalid_op 0
		.amdhsa_exception_fp_denorm_src 0
		.amdhsa_exception_fp_ieee_div_zero 0
		.amdhsa_exception_fp_ieee_overflow 0
		.amdhsa_exception_fp_ieee_underflow 0
		.amdhsa_exception_fp_ieee_inexact 0
		.amdhsa_exception_int_div_zero 0
	.end_amdhsa_kernel
	.section	.text._ZN9rocsolver6v33100L17syevj_offd_rotateILb0E19rocblas_complex_numIfEfPS3_EEvbiiT2_iilPT0_PiS8_S8_i,"axG",@progbits,_ZN9rocsolver6v33100L17syevj_offd_rotateILb0E19rocblas_complex_numIfEfPS3_EEvbiiT2_iilPT0_PiS8_S8_i,comdat
.Lfunc_end95:
	.size	_ZN9rocsolver6v33100L17syevj_offd_rotateILb0E19rocblas_complex_numIfEfPS3_EEvbiiT2_iilPT0_PiS8_S8_i, .Lfunc_end95-_ZN9rocsolver6v33100L17syevj_offd_rotateILb0E19rocblas_complex_numIfEfPS3_EEvbiiT2_iilPT0_PiS8_S8_i
                                        ; -- End function
	.set _ZN9rocsolver6v33100L17syevj_offd_rotateILb0E19rocblas_complex_numIfEfPS3_EEvbiiT2_iilPT0_PiS8_S8_i.num_vgpr, 26
	.set _ZN9rocsolver6v33100L17syevj_offd_rotateILb0E19rocblas_complex_numIfEfPS3_EEvbiiT2_iilPT0_PiS8_S8_i.num_agpr, 0
	.set _ZN9rocsolver6v33100L17syevj_offd_rotateILb0E19rocblas_complex_numIfEfPS3_EEvbiiT2_iilPT0_PiS8_S8_i.numbered_sgpr, 70
	.set _ZN9rocsolver6v33100L17syevj_offd_rotateILb0E19rocblas_complex_numIfEfPS3_EEvbiiT2_iilPT0_PiS8_S8_i.num_named_barrier, 0
	.set _ZN9rocsolver6v33100L17syevj_offd_rotateILb0E19rocblas_complex_numIfEfPS3_EEvbiiT2_iilPT0_PiS8_S8_i.private_seg_size, 0
	.set _ZN9rocsolver6v33100L17syevj_offd_rotateILb0E19rocblas_complex_numIfEfPS3_EEvbiiT2_iilPT0_PiS8_S8_i.uses_vcc, 1
	.set _ZN9rocsolver6v33100L17syevj_offd_rotateILb0E19rocblas_complex_numIfEfPS3_EEvbiiT2_iilPT0_PiS8_S8_i.uses_flat_scratch, 0
	.set _ZN9rocsolver6v33100L17syevj_offd_rotateILb0E19rocblas_complex_numIfEfPS3_EEvbiiT2_iilPT0_PiS8_S8_i.has_dyn_sized_stack, 0
	.set _ZN9rocsolver6v33100L17syevj_offd_rotateILb0E19rocblas_complex_numIfEfPS3_EEvbiiT2_iilPT0_PiS8_S8_i.has_recursion, 0
	.set _ZN9rocsolver6v33100L17syevj_offd_rotateILb0E19rocblas_complex_numIfEfPS3_EEvbiiT2_iilPT0_PiS8_S8_i.has_indirect_call, 0
	.section	.AMDGPU.csdata,"",@progbits
; Kernel info:
; codeLenInByte = 1660
; TotalNumSgprs: 72
; NumVgprs: 26
; ScratchSize: 0
; MemoryBound: 0
; FloatMode: 240
; IeeeMode: 1
; LDSByteSize: 0 bytes/workgroup (compile time only)
; SGPRBlocks: 0
; VGPRBlocks: 1
; NumSGPRsForWavesPerEU: 72
; NumVGPRsForWavesPerEU: 26
; NamedBarCnt: 0
; Occupancy: 16
; WaveLimiterHint : 1
; COMPUTE_PGM_RSRC2:SCRATCH_EN: 0
; COMPUTE_PGM_RSRC2:USER_SGPR: 2
; COMPUTE_PGM_RSRC2:TRAP_HANDLER: 0
; COMPUTE_PGM_RSRC2:TGID_X_EN: 1
; COMPUTE_PGM_RSRC2:TGID_Y_EN: 1
; COMPUTE_PGM_RSRC2:TGID_Z_EN: 1
; COMPUTE_PGM_RSRC2:TIDIG_COMP_CNT: 1
	.section	.text._ZN9rocsolver6v33100L21syevj_offd_rotate_orgILb1E19rocblas_complex_numIfEfPS3_EEvbiiT2_iilPT0_PiS8_S8_,"axG",@progbits,_ZN9rocsolver6v33100L21syevj_offd_rotate_orgILb1E19rocblas_complex_numIfEfPS3_EEvbiiT2_iilPT0_PiS8_S8_,comdat
	.globl	_ZN9rocsolver6v33100L21syevj_offd_rotate_orgILb1E19rocblas_complex_numIfEfPS3_EEvbiiT2_iilPT0_PiS8_S8_ ; -- Begin function _ZN9rocsolver6v33100L21syevj_offd_rotate_orgILb1E19rocblas_complex_numIfEfPS3_EEvbiiT2_iilPT0_PiS8_S8_
	.p2align	8
	.type	_ZN9rocsolver6v33100L21syevj_offd_rotate_orgILb1E19rocblas_complex_numIfEfPS3_EEvbiiT2_iilPT0_PiS8_S8_,@function
_ZN9rocsolver6v33100L21syevj_offd_rotate_orgILb1E19rocblas_complex_numIfEfPS3_EEvbiiT2_iilPT0_PiS8_S8_: ; @_ZN9rocsolver6v33100L21syevj_offd_rotate_orgILb1E19rocblas_complex_numIfEfPS3_EEvbiiT2_iilPT0_PiS8_S8_
; %bb.0:
	s_load_b64 s[4:5], s[0:1], 0x40
	s_bfe_u32 s2, ttmp6, 0x40014
	s_lshr_b32 s3, ttmp7, 16
	s_add_co_i32 s2, s2, 1
	s_bfe_u32 s6, ttmp6, 0x40008
	s_mul_i32 s2, s3, s2
	s_getreg_b32 s15, hwreg(HW_REG_IB_STS2, 6, 4)
	s_add_co_i32 s6, s6, s2
	s_cmp_eq_u32 s15, 0
	s_cselect_b32 s2, s3, s6
	s_wait_kmcnt 0x0
	s_load_b32 s3, s[4:5], s2 offset:0x4 scale_offset
	s_wait_kmcnt 0x0
	s_cmp_lg_u32 s3, 0
	s_mov_b32 s3, 0
	s_cbranch_scc0 .LBB96_2
.LBB96_1:
	s_endpgm
.LBB96_2:
	s_load_b256 s[4:11], s[0:1], 0x20
	s_bfe_u32 s12, ttmp6, 0x4000c
	s_and_b32 s13, ttmp6, 15
	s_add_co_i32 s12, s12, 1
	s_delay_alu instid0(SALU_CYCLE_1) | instskip(NEXT) | instid1(SALU_CYCLE_1)
	s_mul_i32 s12, ttmp9, s12
	s_add_co_i32 s13, s13, s12
	s_cmp_eq_u32 s15, 0
	s_cselect_b32 s16, ttmp9, s13
	s_delay_alu instid0(SALU_CYCLE_1) | instskip(NEXT) | instid1(SALU_CYCLE_1)
	s_ashr_i32 s17, s16, 31
	s_lshl_b64 s[12:13], s[16:17], 2
	s_wait_kmcnt 0x0
	s_add_nc_u64 s[8:9], s[8:9], s[12:13]
	s_add_nc_u64 s[18:19], s[10:11], s[12:13]
	s_load_b32 s10, s[8:9], 0x0
	s_load_b32 s11, s[18:19], 0x0
	s_load_b96 s[12:14], s[0:1], 0x0
	s_wait_kmcnt 0x0
	s_max_i32 s8, s10, s11
	s_delay_alu instid0(SALU_CYCLE_1)
	s_cmp_ge_i32 s8, s13
	s_cbranch_scc1 .LBB96_1
; %bb.3:
	s_bitcmp1_b32 s12, 0
	s_cselect_b32 s9, -1, 0
	s_bfe_u32 s12, ttmp6, 0x40010
	s_and_b32 s13, ttmp7, 0xffff
	s_add_co_i32 s12, s12, 1
	s_bfe_u32 s17, ttmp6, 0x40004
	s_mul_i32 s18, s13, s12
	s_xor_b32 s12, s9, -1
	s_add_co_i32 s17, s17, s18
	s_cmp_eq_u32 s15, 0
	s_cselect_b32 s9, s13, s17
	s_and_b32 vcc_lo, exec_lo, s12
	s_min_i32 s15, s10, s11
	s_cbranch_vccnz .LBB96_5
; %bb.4:
	s_lshr_b32 s10, s9, 1
	s_delay_alu instid0(SALU_CYCLE_1) | instskip(SKIP_3) | instid1(SALU_CYCLE_1)
	s_cmp_lg_u32 s10, s15
	s_cselect_b32 s11, -1, 0
	s_cmp_lg_u32 s10, s8
	s_cselect_b32 s10, -1, 0
	s_and_b32 s12, s11, s10
.LBB96_5:
	s_delay_alu instid0(SALU_CYCLE_1)
	s_and_not1_b32 vcc_lo, exec_lo, s12
	s_cbranch_vccnz .LBB96_1
; %bb.6:
	s_add_nc_u64 s[10:11], s[0:1], 0x48
	v_and_b32_e32 v3, 0x3ff, v0
	s_load_b32 s17, s[10:11], 0xc
	v_bfe_u32 v0, v0, 10, 10
	s_wait_kmcnt 0x0
	s_bfe_u32 s12, s17, 0xf0001
	s_delay_alu instid0(SALU_CYCLE_1)
	s_mul_i32 s15, s15, s12
	v_cmp_gt_u32_e32 vcc_lo, s12, v3
	v_mov_b32_e32 v1, s15
	s_mul_i32 s13, s8, s12
	s_lshr_b32 s8, s17, 16
	s_sub_co_i32 s10, s13, s12
	v_mad_u32 v0, s9, s8, v0
	v_cndmask_b32_e32 v1, s10, v1, vcc_lo
	s_mov_b32 s8, exec_lo
	s_delay_alu instid0(VALU_DEP_1) | instskip(NEXT) | instid1(VALU_DEP_1)
	v_add_nc_u32_e32 v2, v1, v3
	v_max_i32_e32 v1, v2, v0
	s_delay_alu instid0(VALU_DEP_1)
	v_cmpx_gt_i32_e64 s14, v1
	s_cbranch_execz .LBB96_1
; %bb.7:
	s_clause 0x1
	s_load_b32 s18, s[0:1], 0x48
	s_load_b128 s[8:11], s[0:1], 0x10
	s_wait_xcnt 0x0
	s_mul_u64 s[0:1], s[4:5], s[2:3]
	s_lshl_b32 s4, s12, 1
	s_lshl_b64 s[0:1], s[0:1], 3
	s_wait_kmcnt 0x0
	s_mul_i32 s2, s18, s2
	v_mul_lo_u32 v5, v0, s11
	s_add_co_i32 s5, s2, s16
	s_ashr_i32 s3, s10, 31
	s_mul_i32 s5, s5, s12
	s_mov_b32 s2, s10
	s_mul_i32 s5, s5, s12
	s_add_nc_u64 s[0:1], s[8:9], s[0:1]
	s_lshl_b32 s8, s5, 2
	s_lshl_b64 s[2:3], s[2:3], 3
	s_ashr_i32 s9, s8, 31
	s_add_nc_u64 s[0:1], s[0:1], s[2:3]
	s_and_b32 s5, 0xffff, s17
	s_lshl_b64 s[2:3], s[8:9], 3
	s_cmp_gt_u32 s5, 1
	s_add_nc_u64 s[2:3], s[6:7], s[2:3]
	s_cbranch_scc0 .LBB96_11
; %bb.8:
	v_mul_lo_u32 v4, v0, s11
	v_dual_mov_b32 v0, 0 :: v_dual_mov_b32 v6, v3
	s_mov_b32 s5, s12
	s_delay_alu instid0(VALU_DEP_1)
	v_dual_mov_b32 v1, v0 :: v_dual_add_nc_u32 v7, s15, v4
.LBB96_9:                               ; =>This Inner Loop Header: Depth=1
	global_load_b64 v[8:9], v6, s[2:3] scale_offset
	global_load_b64 v[10:11], v7, s[0:1] scale_offset
	s_wait_xcnt 0x0
	v_add_nc_u32_e32 v7, 1, v7
	s_add_co_i32 s5, s5, -1
	v_add_nc_u32_e32 v6, s4, v6
	s_cmp_eq_u32 s5, 0
	s_wait_loadcnt 0x0
	v_pk_mul_f32 v[12:13], v[8:9], v[10:11] op_sel:[1,1] op_sel_hi:[1,0]
	s_delay_alu instid0(VALU_DEP_1) | instskip(SKIP_1) | instid1(VALU_DEP_2)
	v_pk_fma_f32 v[14:15], v[8:9], v[10:11], v[12:13] op_sel_hi:[0,1,1] neg_lo:[0,0,1] neg_hi:[0,0,1]
	v_pk_fma_f32 v[8:9], v[8:9], v[10:11], v[12:13]
	v_mov_b32_e32 v9, v15
	s_delay_alu instid0(VALU_DEP_1)
	v_pk_add_f32 v[0:1], v[0:1], v[8:9]
	s_cbranch_scc0 .LBB96_9
; %bb.10:
	s_mov_b32 s5, 0
	s_branch .LBB96_12
.LBB96_11:
	s_mov_b32 s5, -1
                                        ; implicit-def: $vgpr0_vgpr1
                                        ; implicit-def: $vgpr4
.LBB96_12:
	s_delay_alu instid0(SALU_CYCLE_1)
	s_and_b32 vcc_lo, exec_lo, s5
	s_cbranch_vccz .LBB96_14
; %bb.13:
	v_mov_b64_e32 v[0:1], 0
	v_mov_b32_e32 v4, v5
.LBB96_14:
	s_sub_co_i32 s5, s14, s13
	s_delay_alu instid0(SALU_CYCLE_1) | instskip(NEXT) | instid1(SALU_CYCLE_1)
	s_min_i32 s5, s5, s12
	s_cmp_lt_i32 s5, 1
	s_cbranch_scc1 .LBB96_17
; %bb.15:
	s_mul_i32 s12, s12, s12
	v_add_nc_u32_e32 v5, s13, v4
	v_lshl_add_u32 v3, s12, 1, v3
.LBB96_16:                              ; =>This Inner Loop Header: Depth=1
	global_load_b64 v[6:7], v3, s[2:3] scale_offset
	global_load_b64 v[8:9], v5, s[0:1] scale_offset
	s_wait_xcnt 0x0
	v_add_nc_u32_e32 v5, 1, v5
	s_add_co_i32 s5, s5, -1
	v_add_nc_u32_e32 v3, s4, v3
	s_cmp_lg_u32 s5, 0
	s_wait_loadcnt 0x0
	v_pk_mul_f32 v[10:11], v[6:7], v[8:9] op_sel:[1,1] op_sel_hi:[1,0]
	s_delay_alu instid0(VALU_DEP_1) | instskip(SKIP_1) | instid1(VALU_DEP_2)
	v_pk_fma_f32 v[12:13], v[6:7], v[8:9], v[10:11] op_sel_hi:[0,1,1] neg_lo:[0,0,1] neg_hi:[0,0,1]
	v_pk_fma_f32 v[6:7], v[6:7], v[8:9], v[10:11]
	v_mov_b32_e32 v7, v13
	s_delay_alu instid0(VALU_DEP_1)
	v_pk_add_f32 v[0:1], v[0:1], v[6:7]
	s_cbranch_scc1 .LBB96_16
.LBB96_17:
	v_add_nc_u32_e32 v2, v2, v4
	s_barrier_signal -1
	s_barrier_wait -1
	global_store_b64 v2, v[0:1], s[0:1] scale_offset
	s_endpgm
	.section	.rodata,"a",@progbits
	.p2align	6, 0x0
	.amdhsa_kernel _ZN9rocsolver6v33100L21syevj_offd_rotate_orgILb1E19rocblas_complex_numIfEfPS3_EEvbiiT2_iilPT0_PiS8_S8_
		.amdhsa_group_segment_fixed_size 0
		.amdhsa_private_segment_fixed_size 0
		.amdhsa_kernarg_size 328
		.amdhsa_user_sgpr_count 2
		.amdhsa_user_sgpr_dispatch_ptr 0
		.amdhsa_user_sgpr_queue_ptr 0
		.amdhsa_user_sgpr_kernarg_segment_ptr 1
		.amdhsa_user_sgpr_dispatch_id 0
		.amdhsa_user_sgpr_kernarg_preload_length 0
		.amdhsa_user_sgpr_kernarg_preload_offset 0
		.amdhsa_user_sgpr_private_segment_size 0
		.amdhsa_wavefront_size32 1
		.amdhsa_uses_dynamic_stack 0
		.amdhsa_enable_private_segment 0
		.amdhsa_system_sgpr_workgroup_id_x 1
		.amdhsa_system_sgpr_workgroup_id_y 1
		.amdhsa_system_sgpr_workgroup_id_z 1
		.amdhsa_system_sgpr_workgroup_info 0
		.amdhsa_system_vgpr_workitem_id 1
		.amdhsa_next_free_vgpr 16
		.amdhsa_next_free_sgpr 20
		.amdhsa_named_barrier_count 0
		.amdhsa_reserve_vcc 1
		.amdhsa_float_round_mode_32 0
		.amdhsa_float_round_mode_16_64 0
		.amdhsa_float_denorm_mode_32 3
		.amdhsa_float_denorm_mode_16_64 3
		.amdhsa_fp16_overflow 0
		.amdhsa_memory_ordered 1
		.amdhsa_forward_progress 1
		.amdhsa_inst_pref_size 7
		.amdhsa_round_robin_scheduling 0
		.amdhsa_exception_fp_ieee_invalid_op 0
		.amdhsa_exception_fp_denorm_src 0
		.amdhsa_exception_fp_ieee_div_zero 0
		.amdhsa_exception_fp_ieee_overflow 0
		.amdhsa_exception_fp_ieee_underflow 0
		.amdhsa_exception_fp_ieee_inexact 0
		.amdhsa_exception_int_div_zero 0
	.end_amdhsa_kernel
	.section	.text._ZN9rocsolver6v33100L21syevj_offd_rotate_orgILb1E19rocblas_complex_numIfEfPS3_EEvbiiT2_iilPT0_PiS8_S8_,"axG",@progbits,_ZN9rocsolver6v33100L21syevj_offd_rotate_orgILb1E19rocblas_complex_numIfEfPS3_EEvbiiT2_iilPT0_PiS8_S8_,comdat
.Lfunc_end96:
	.size	_ZN9rocsolver6v33100L21syevj_offd_rotate_orgILb1E19rocblas_complex_numIfEfPS3_EEvbiiT2_iilPT0_PiS8_S8_, .Lfunc_end96-_ZN9rocsolver6v33100L21syevj_offd_rotate_orgILb1E19rocblas_complex_numIfEfPS3_EEvbiiT2_iilPT0_PiS8_S8_
                                        ; -- End function
	.set _ZN9rocsolver6v33100L21syevj_offd_rotate_orgILb1E19rocblas_complex_numIfEfPS3_EEvbiiT2_iilPT0_PiS8_S8_.num_vgpr, 16
	.set _ZN9rocsolver6v33100L21syevj_offd_rotate_orgILb1E19rocblas_complex_numIfEfPS3_EEvbiiT2_iilPT0_PiS8_S8_.num_agpr, 0
	.set _ZN9rocsolver6v33100L21syevj_offd_rotate_orgILb1E19rocblas_complex_numIfEfPS3_EEvbiiT2_iilPT0_PiS8_S8_.numbered_sgpr, 20
	.set _ZN9rocsolver6v33100L21syevj_offd_rotate_orgILb1E19rocblas_complex_numIfEfPS3_EEvbiiT2_iilPT0_PiS8_S8_.num_named_barrier, 0
	.set _ZN9rocsolver6v33100L21syevj_offd_rotate_orgILb1E19rocblas_complex_numIfEfPS3_EEvbiiT2_iilPT0_PiS8_S8_.private_seg_size, 0
	.set _ZN9rocsolver6v33100L21syevj_offd_rotate_orgILb1E19rocblas_complex_numIfEfPS3_EEvbiiT2_iilPT0_PiS8_S8_.uses_vcc, 1
	.set _ZN9rocsolver6v33100L21syevj_offd_rotate_orgILb1E19rocblas_complex_numIfEfPS3_EEvbiiT2_iilPT0_PiS8_S8_.uses_flat_scratch, 0
	.set _ZN9rocsolver6v33100L21syevj_offd_rotate_orgILb1E19rocblas_complex_numIfEfPS3_EEvbiiT2_iilPT0_PiS8_S8_.has_dyn_sized_stack, 0
	.set _ZN9rocsolver6v33100L21syevj_offd_rotate_orgILb1E19rocblas_complex_numIfEfPS3_EEvbiiT2_iilPT0_PiS8_S8_.has_recursion, 0
	.set _ZN9rocsolver6v33100L21syevj_offd_rotate_orgILb1E19rocblas_complex_numIfEfPS3_EEvbiiT2_iilPT0_PiS8_S8_.has_indirect_call, 0
	.section	.AMDGPU.csdata,"",@progbits
; Kernel info:
; codeLenInByte = 864
; TotalNumSgprs: 22
; NumVgprs: 16
; ScratchSize: 0
; MemoryBound: 0
; FloatMode: 240
; IeeeMode: 1
; LDSByteSize: 0 bytes/workgroup (compile time only)
; SGPRBlocks: 0
; VGPRBlocks: 0
; NumSGPRsForWavesPerEU: 22
; NumVGPRsForWavesPerEU: 16
; NamedBarCnt: 0
; Occupancy: 16
; WaveLimiterHint : 0
; COMPUTE_PGM_RSRC2:SCRATCH_EN: 0
; COMPUTE_PGM_RSRC2:USER_SGPR: 2
; COMPUTE_PGM_RSRC2:TRAP_HANDLER: 0
; COMPUTE_PGM_RSRC2:TGID_X_EN: 1
; COMPUTE_PGM_RSRC2:TGID_Y_EN: 1
; COMPUTE_PGM_RSRC2:TGID_Z_EN: 1
; COMPUTE_PGM_RSRC2:TIDIG_COMP_CNT: 1
	.section	.text._ZN9rocsolver6v33100L17syevj_offd_rotateILb1E19rocblas_complex_numIfEfPS3_EEvbiiT2_iilPT0_PiS8_S8_i,"axG",@progbits,_ZN9rocsolver6v33100L17syevj_offd_rotateILb1E19rocblas_complex_numIfEfPS3_EEvbiiT2_iilPT0_PiS8_S8_i,comdat
	.globl	_ZN9rocsolver6v33100L17syevj_offd_rotateILb1E19rocblas_complex_numIfEfPS3_EEvbiiT2_iilPT0_PiS8_S8_i ; -- Begin function _ZN9rocsolver6v33100L17syevj_offd_rotateILb1E19rocblas_complex_numIfEfPS3_EEvbiiT2_iilPT0_PiS8_S8_i
	.p2align	8
	.type	_ZN9rocsolver6v33100L17syevj_offd_rotateILb1E19rocblas_complex_numIfEfPS3_EEvbiiT2_iilPT0_PiS8_S8_i,@function
_ZN9rocsolver6v33100L17syevj_offd_rotateILb1E19rocblas_complex_numIfEfPS3_EEvbiiT2_iilPT0_PiS8_S8_i: ; @_ZN9rocsolver6v33100L17syevj_offd_rotateILb1E19rocblas_complex_numIfEfPS3_EEvbiiT2_iilPT0_PiS8_S8_i
; %bb.0:
	s_clause 0x1
	s_load_b96 s[20:22], s[0:1], 0x0
	s_load_b32 s30, s[0:1], 0x48
	s_bfe_u32 s4, ttmp6, 0x40014
	s_lshr_b32 s3, ttmp7, 16
	s_add_co_i32 s4, s4, 1
	s_delay_alu instid0(SALU_CYCLE_1) | instskip(SKIP_3) | instid1(SALU_CYCLE_1)
	s_mul_i32 s6, s3, s4
	s_getreg_b32 s4, hwreg(HW_REG_IB_STS2, 6, 4)
	s_wait_kmcnt 0x0
	s_abs_i32 s5, s21
	s_cvt_f32_u32 s2, s5
	s_delay_alu instid0(SALU_CYCLE_3) | instskip(SKIP_1) | instid1(SALU_CYCLE_1)
	v_rcp_iflag_f32_e32 v1, s2
	s_bfe_u32 s2, ttmp6, 0x40008
	s_add_co_i32 s6, s2, s6
	s_cmp_eq_u32 s4, 0
	s_cselect_b32 s24, s3, s6
	v_nop
	s_delay_alu instid0(TRANS32_DEP_1)
	v_readfirstlane_b32 s2, v1
	s_cmp_ge_u32 s24, s30
	s_mov_b32 s3, 0
	s_cbranch_scc1 .LBB97_36
; %bb.1:
	s_mul_f32 s2, s2, 0x4f7ffffe
	s_add_co_i32 s6, s22, -1
	s_ashr_i32 s8, s21, 31
	s_mov_b32 s7, s3
	s_cvt_u32_f32 s9, s2
	s_sub_co_i32 s2, 0, s5
	s_ashr_i32 s10, s6, 31
	s_clause 0x1
	s_load_b128 s[12:15], s[0:1], 0x50
	s_load_b64 s[26:27], s[0:1], 0x40
	s_mul_i32 s2, s2, s9
	s_load_b128 s[16:19], s[0:1], 0x10
	s_mul_hi_u32 s11, s9, s2
	s_abs_i32 s2, s6
	s_add_co_i32 s6, s9, s11
	s_bitcmp1_b32 s20, 0
	s_mul_u64 s[6:7], s[2:3], s[6:7]
	s_cselect_b32 s6, -1, 0
	s_xor_b32 s8, s10, s8
	v_cndmask_b32_e64 v6, 0, 1, s6
	s_xor_b32 s20, s6, -1
	s_mul_i32 s6, s7, s5
	v_and_b32_e32 v7, 0x3ff, v0
	s_sub_co_i32 s2, s2, s6
	s_add_co_i32 s6, s7, 1
	s_sub_co_i32 s9, s2, s5
	s_cmp_ge_u32 s2, s5
	v_bfe_u32 v8, v0, 10, 10
	s_cselect_b32 s6, s6, s7
	s_cselect_b32 s2, s9, s2
	s_add_co_i32 s7, s6, 1
	s_cmp_ge_u32 s2, s5
	s_mov_b64 s[28:29], src_shared_base
	s_cselect_b32 s2, s7, s6
	s_bfe_u32 s5, ttmp6, 0x40010
	s_xor_b32 s2, s2, s8
	s_bfe_u32 s7, ttmp6, 0x4000c
	s_sub_co_i32 s31, s2, s8
	s_and_b32 s23, ttmp7, 0xffff
	s_add_co_i32 s34, s31, 1
	s_add_co_i32 s5, s5, 1
	s_lshr_b32 s2, s34, 31
	s_add_co_i32 s7, s7, 1
	s_add_co_i32 s2, s34, s2
	s_bfe_u32 s6, ttmp6, 0x40004
	s_and_b32 s2, s2, -2
	s_mul_i32 s5, s23, s5
	s_sub_co_i32 s2, s34, s2
	s_mul_i32 s7, ttmp9, s7
	s_add_co_i32 s2, s2, s34
	s_wait_kmcnt 0x0
	s_lshr_b32 s33, s15, 16
	s_lshr_b32 s8, s2, 31
	s_and_b32 s15, s15, 0xffff
	s_add_co_i32 s2, s2, s8
	s_add_co_i32 s25, s6, s5
	s_ashr_i32 s35, s2, 1
	s_and_b32 s2, ttmp6, 15
	v_mad_u32_u24 v9, v8, s15, v7
	s_add_co_i32 s2, s2, s7
	s_cmp_eq_u32 s4, 0
	s_load_b256 s[4:11], s[0:1], 0x20
	s_cselect_b32 s36, ttmp9, s2
	s_cselect_b32 s37, s23, s25
	s_lshl_b32 s38, s21, 1
	s_mov_b32 s40, s29
	s_wait_xcnt 0x0
	s_mul_i32 s0, s38, s21
	v_dual_lshlrev_b32 v0, 3, v9 :: v_dual_lshlrev_b32 v12, 3, v8
	s_lshl_b32 s1, s0, 3
	s_mul_i32 s0, s0, 3
	s_add_co_i32 s39, s1, 0
	s_cmp_lt_u32 s0, 0x2001
	s_mul_i32 s1, s21, s21
	s_cselect_b32 s41, -1, 0
	s_ashr_i32 s29, s18, 31
	s_lshl_b32 s42, s1, 2
	s_cmp_lt_u32 s36, s35
	s_mul_i32 s0, s31, s21
	s_cselect_b32 s43, -1, 0
	s_sub_co_i32 s44, s22, s0
	s_cmp_lt_u32 s37, s34
	s_mov_b32 s28, s18
	s_cselect_b32 s46, -1, 0
	s_lshl_b32 s1, s1, 4
	v_cmp_gt_u32_e64 s0, s42, v9
	v_add3_u32 v10, 0, s1, v0
	v_lshl_add_u32 v11, v7, 3, 0
	v_mov_b32_e32 v1, 0
	s_mul_i32 s45, s33, s15
	s_ashr_i32 s23, s19, 31
	s_mov_b32 s22, s19
	s_lshl_b64 s[18:19], s[28:29], 3
	s_lshl_b32 s47, s45, 3
	s_add_nc_u64 s[16:17], s[16:17], s[18:19]
	s_lshl_b32 s48, s33, 3
	s_lshl_b32 s49, s15, 3
	s_branch .LBB97_3
.LBB97_2:                               ;   in Loop: Header=BB97_3 Depth=1
	s_add_co_i32 s24, s24, s14
	s_delay_alu instid0(SALU_CYCLE_1)
	s_cmp_ge_u32 s24, s30
	s_cbranch_scc1 .LBB97_36
.LBB97_3:                               ; =>This Loop Header: Depth=1
                                        ;     Child Loop BB97_7 Depth 2
                                        ;       Child Loop BB97_11 Depth 3
                                        ;       Child Loop BB97_17 Depth 3
                                        ;         Child Loop BB97_23 Depth 4
                                        ;           Child Loop BB97_25 Depth 5
                                        ;         Child Loop BB97_29 Depth 4
                                        ;           Child Loop BB97_33 Depth 5
                                        ;             Child Loop BB97_35 Depth 6
	v_mov_b32_e32 v0, s24
	global_load_b32 v0, v0, s[26:27] offset:4 scale_offset
	s_wait_loadcnt 0x0
	v_cmp_ne_u32_e32 vcc_lo, 0, v0
	s_cbranch_vccnz .LBB97_2
; %bb.4:                                ;   in Loop: Header=BB97_3 Depth=1
	s_and_not1_b32 vcc_lo, exec_lo, s43
	s_cbranch_vccnz .LBB97_2
; %bb.5:                                ;   in Loop: Header=BB97_3 Depth=1
	s_mov_b32 s25, s3
	s_mov_b32 s50, s36
	s_wait_kmcnt 0x0
	s_mul_u64 s[18:19], s[4:5], s[24:25]
	s_mul_i32 s25, s24, s35
	s_lshl_b64 s[18:19], s[18:19], 3
	s_delay_alu instid0(SALU_CYCLE_1)
	s_add_nc_u64 s[18:19], s[16:17], s[18:19]
	s_branch .LBB97_7
.LBB97_6:                               ;   in Loop: Header=BB97_7 Depth=2
	s_add_co_i32 s50, s50, s12
	s_delay_alu instid0(SALU_CYCLE_1)
	s_cmp_lt_u32 s50, s35
	s_cbranch_scc0 .LBB97_2
.LBB97_7:                               ;   Parent Loop BB97_3 Depth=1
                                        ; =>  This Loop Header: Depth=2
                                        ;       Child Loop BB97_11 Depth 3
                                        ;       Child Loop BB97_17 Depth 3
                                        ;         Child Loop BB97_23 Depth 4
                                        ;           Child Loop BB97_25 Depth 5
                                        ;         Child Loop BB97_29 Depth 4
                                        ;           Child Loop BB97_33 Depth 5
                                        ;             Child Loop BB97_35 Depth 6
	v_mov_b32_e32 v0, s50
	s_clause 0x1
	global_load_b32 v2, v0, s[10:11] scale_offset
	global_load_b32 v3, v0, s[8:9] scale_offset
	s_wait_loadcnt 0x1
	v_readfirstlane_b32 s1, v2
	s_wait_loadcnt 0x0
	v_readfirstlane_b32 s52, v3
	s_max_i32 s51, s52, s1
	s_delay_alu instid0(SALU_CYCLE_1)
	s_cmp_gt_i32 s51, s31
	s_cbranch_scc1 .LBB97_6
; %bb.8:                                ;   in Loop: Header=BB97_7 Depth=2
	s_add_co_i32 s2, s50, s25
	s_and_not1_b32 vcc_lo, exec_lo, s41
	s_mul_i32 s2, s42, s2
	s_delay_alu instid0(SALU_CYCLE_1) | instskip(NEXT) | instid1(SALU_CYCLE_1)
	s_lshl_b64 s[28:29], s[2:3], 3
	s_add_nc_u64 s[28:29], s[6:7], s[28:29]
	s_cbranch_vccnz .LBB97_13
; %bb.9:                                ;   in Loop: Header=BB97_7 Depth=2
	s_barrier_signal -1
	s_barrier_wait -1
	s_and_saveexec_b32 s2, s0
	s_cbranch_execz .LBB97_12
; %bb.10:                               ;   in Loop: Header=BB97_7 Depth=2
	v_dual_mov_b32 v0, v10 :: v_dual_mov_b32 v2, v9
	s_mov_b32 s53, 0
.LBB97_11:                              ;   Parent Loop BB97_3 Depth=1
                                        ;     Parent Loop BB97_7 Depth=2
                                        ; =>    This Inner Loop Header: Depth=3
	global_load_b64 v[4:5], v2, s[28:29] scale_offset
	s_wait_xcnt 0x0
	v_add_nc_u32_e32 v2, s45, v2
	s_wait_loadcnt 0x0
	ds_store_b64 v0, v[4:5]
	v_add_nc_u32_e32 v0, s47, v0
	v_cmp_le_u32_e32 vcc_lo, s42, v2
	s_or_b32 s53, vcc_lo, s53
	s_delay_alu instid0(SALU_CYCLE_1)
	s_and_not1_b32 exec_lo, exec_lo, s53
	s_cbranch_execnz .LBB97_11
.LBB97_12:                              ;   in Loop: Header=BB97_7 Depth=2
	s_or_b32 exec_lo, exec_lo, s2
	s_wait_dscnt 0x0
	s_barrier_signal -1
	s_barrier_wait -1
.LBB97_13:                              ;   in Loop: Header=BB97_7 Depth=2
	s_and_not1_b32 vcc_lo, exec_lo, s46
	s_cbranch_vccnz .LBB97_6
; %bb.14:                               ;   in Loop: Header=BB97_7 Depth=2
	s_min_i32 s52, s1, s52
	s_mul_i32 s2, s51, s21
	s_cmp_eq_u32 s52, s31
	s_mul_i32 s57, s52, s21
	s_cselect_b32 s53, s44, s21
	s_cmp_eq_u32 s51, s31
	s_mov_b32 s59, s37
	s_cselect_b32 s1, s44, s21
	s_delay_alu instid0(SALU_CYCLE_1)
	s_add_co_i32 s54, s53, s1
	s_and_b32 s1, s41, exec_lo
	v_mul_lo_u32 v0, v12, s54
	s_cselect_b32 s29, s40, s29
	s_cselect_b32 s28, s39, s28
	v_cmp_gt_u32_e64 s1, s54, v7
	s_sub_co_i32 s55, s2, s53
	s_cmp_gt_i32 s54, 0
	s_mul_i32 s58, s48, s54
	s_cselect_b32 s56, -1, 0
	v_dual_add_nc_u32 v13, v11, v0 :: v_dual_add_nc_u32 v14, 0, v0
	s_branch .LBB97_17
.LBB97_15:                              ;   in Loop: Header=BB97_17 Depth=3
	s_or_b32 exec_lo, exec_lo, s2
	s_wait_storecnt 0x0
	s_barrier_signal -1
	s_barrier_wait -1
.LBB97_16:                              ;   in Loop: Header=BB97_17 Depth=3
	s_add_co_i32 s59, s59, s13
	s_delay_alu instid0(SALU_CYCLE_1)
	s_cmp_lt_u32 s59, s34
	s_cbranch_scc0 .LBB97_6
.LBB97_17:                              ;   Parent Loop BB97_3 Depth=1
                                        ;     Parent Loop BB97_7 Depth=2
                                        ; =>    This Loop Header: Depth=3
                                        ;         Child Loop BB97_23 Depth 4
                                        ;           Child Loop BB97_25 Depth 5
                                        ;         Child Loop BB97_29 Depth 4
                                        ;           Child Loop BB97_33 Depth 5
                                        ;             Child Loop BB97_35 Depth 6
	v_cmp_ne_u32_e32 vcc_lo, 1, v6
	s_mov_b32 s2, s20
	s_cbranch_vccz .LBB97_19
; %bb.18:                               ;   in Loop: Header=BB97_17 Depth=3
	s_and_not1_b32 vcc_lo, exec_lo, s2
	s_cbranch_vccnz .LBB97_16
	s_branch .LBB97_20
.LBB97_19:                              ;   in Loop: Header=BB97_17 Depth=3
	s_cmp_lg_u32 s59, s52
	s_cselect_b32 s2, -1, 0
	s_cmp_lg_u32 s59, s51
	s_cselect_b32 s60, -1, 0
	s_delay_alu instid0(SALU_CYCLE_1) | instskip(NEXT) | instid1(SALU_CYCLE_1)
	s_and_b32 s2, s2, s60
	s_and_not1_b32 vcc_lo, exec_lo, s2
	s_cbranch_vccnz .LBB97_16
.LBB97_20:                              ;   in Loop: Header=BB97_17 Depth=3
	s_cmp_eq_u32 s59, s31
	s_mul_i32 s61, s59, s21
	s_cselect_b32 s60, s44, s21
	s_delay_alu instid0(SALU_CYCLE_1)
	v_cmp_gt_u32_e32 vcc_lo, s60, v8
	s_barrier_signal -1
	s_barrier_wait -1
	s_and_saveexec_b32 s62, vcc_lo
	s_cbranch_execz .LBB97_26
; %bb.21:                               ;   in Loop: Header=BB97_17 Depth=3
	v_dual_mov_b32 v4, v13 :: v_dual_mov_b32 v5, v8
	s_mov_b32 s63, 0
	s_branch .LBB97_23
.LBB97_22:                              ;   in Loop: Header=BB97_23 Depth=4
	s_or_b32 exec_lo, exec_lo, s64
	v_dual_add_nc_u32 v5, s33, v5 :: v_dual_add_nc_u32 v4, s58, v4
	s_delay_alu instid0(VALU_DEP_1) | instskip(SKIP_1) | instid1(SALU_CYCLE_1)
	v_cmp_le_u32_e64 s2, s60, v5
	s_or_b32 s63, s2, s63
	s_and_not1_b32 exec_lo, exec_lo, s63
	s_cbranch_execz .LBB97_26
.LBB97_23:                              ;   Parent Loop BB97_3 Depth=1
                                        ;     Parent Loop BB97_7 Depth=2
                                        ;       Parent Loop BB97_17 Depth=3
                                        ; =>      This Loop Header: Depth=4
                                        ;           Child Loop BB97_25 Depth 5
	s_and_saveexec_b32 s64, s1
	s_cbranch_execz .LBB97_22
; %bb.24:                               ;   in Loop: Header=BB97_23 Depth=4
	v_dual_mov_b32 v15, v4 :: v_dual_add_nc_u32 v0, s61, v5
	v_mov_b32_e32 v16, v7
	s_mov_b32 s65, 0
	s_delay_alu instid0(VALU_DEP_2) | instskip(NEXT) | instid1(VALU_DEP_1)
	v_mul_u64_e32 v[2:3], s[22:23], v[0:1]
	v_lshl_add_u64 v[2:3], v[2:3], 3, s[18:19]
.LBB97_25:                              ;   Parent Loop BB97_3 Depth=1
                                        ;     Parent Loop BB97_7 Depth=2
                                        ;       Parent Loop BB97_17 Depth=3
                                        ;         Parent Loop BB97_23 Depth=4
                                        ; =>        This Inner Loop Header: Depth=5
	v_mov_b32_e32 v0, s57
	v_cmp_gt_u32_e64 s2, s53, v16
	s_delay_alu instid0(VALU_DEP_1) | instskip(NEXT) | instid1(VALU_DEP_1)
	v_cndmask_b32_e64 v0, s55, v0, s2
	v_dual_add_nc_u32 v0, v0, v16 :: v_dual_add_nc_u32 v16, s15, v16
	s_delay_alu instid0(VALU_DEP_1) | instskip(NEXT) | instid1(VALU_DEP_2)
	v_lshl_add_u64 v[18:19], v[0:1], 3, v[2:3]
	v_cmp_le_u32_e64 s2, s54, v16
	global_load_b64 v[18:19], v[18:19], off
	s_or_b32 s65, s2, s65
	s_wait_loadcnt 0x0
	ds_store_b64 v15, v[18:19]
	v_add_nc_u32_e32 v15, s49, v15
	s_wait_xcnt 0x0
	s_and_not1_b32 exec_lo, exec_lo, s65
	s_cbranch_execnz .LBB97_25
	s_branch .LBB97_22
.LBB97_26:                              ;   in Loop: Header=BB97_17 Depth=3
	s_or_b32 exec_lo, exec_lo, s62
	s_wait_dscnt 0x0
	s_barrier_signal -1
	s_barrier_wait -1
	s_and_saveexec_b32 s2, vcc_lo
	s_cbranch_execz .LBB97_15
; %bb.27:                               ;   in Loop: Header=BB97_17 Depth=3
	v_dual_mov_b32 v15, v14 :: v_dual_mov_b32 v16, v8
	s_mov_b32 s62, 0
	s_branch .LBB97_29
.LBB97_28:                              ;   in Loop: Header=BB97_29 Depth=4
	s_or_b32 exec_lo, exec_lo, s63
	v_dual_add_nc_u32 v16, s33, v16 :: v_dual_add_nc_u32 v15, s58, v15
	s_delay_alu instid0(VALU_DEP_1) | instskip(SKIP_1) | instid1(SALU_CYCLE_1)
	v_cmp_le_u32_e32 vcc_lo, s60, v16
	s_or_b32 s62, vcc_lo, s62
	s_and_not1_b32 exec_lo, exec_lo, s62
	s_cbranch_execz .LBB97_15
.LBB97_29:                              ;   Parent Loop BB97_3 Depth=1
                                        ;     Parent Loop BB97_7 Depth=2
                                        ;       Parent Loop BB97_17 Depth=3
                                        ; =>      This Loop Header: Depth=4
                                        ;           Child Loop BB97_33 Depth 5
                                        ;             Child Loop BB97_35 Depth 6
	s_and_saveexec_b32 s63, s1
	s_cbranch_execz .LBB97_28
; %bb.30:                               ;   in Loop: Header=BB97_29 Depth=4
	v_dual_mov_b32 v17, v7 :: v_dual_add_nc_u32 v0, s61, v16
	s_mov_b32 s64, 0
	s_delay_alu instid0(VALU_DEP_1) | instskip(NEXT) | instid1(VALU_DEP_1)
	v_mul_u64_e32 v[2:3], s[22:23], v[0:1]
	v_lshl_add_u64 v[2:3], v[2:3], 3, s[18:19]
	s_branch .LBB97_33
.LBB97_31:                              ;   in Loop: Header=BB97_33 Depth=5
	v_mov_b32_e32 v5, 0
	s_delay_alu instid0(VALU_DEP_1)
	v_mov_b32_e32 v4, v5
.LBB97_32:                              ;   in Loop: Header=BB97_33 Depth=5
	v_mov_b32_e32 v0, s57
	v_cmp_gt_u32_e32 vcc_lo, s53, v17
	s_delay_alu instid0(VALU_DEP_2) | instskip(NEXT) | instid1(VALU_DEP_1)
	v_cndmask_b32_e32 v0, s55, v0, vcc_lo
	v_dual_add_nc_u32 v0, v17, v0 :: v_dual_add_nc_u32 v17, s15, v17
	s_delay_alu instid0(VALU_DEP_1) | instskip(NEXT) | instid1(VALU_DEP_2)
	v_lshl_add_u64 v[18:19], v[0:1], 3, v[2:3]
	v_cmp_le_u32_e32 vcc_lo, s54, v17
	global_store_b64 v[18:19], v[4:5], off
	s_or_b32 s64, vcc_lo, s64
	s_wait_xcnt 0x0
	s_and_not1_b32 exec_lo, exec_lo, s64
	s_cbranch_execz .LBB97_28
.LBB97_33:                              ;   Parent Loop BB97_3 Depth=1
                                        ;     Parent Loop BB97_7 Depth=2
                                        ;       Parent Loop BB97_17 Depth=3
                                        ;         Parent Loop BB97_29 Depth=4
                                        ; =>        This Loop Header: Depth=5
                                        ;             Child Loop BB97_35 Depth 6
	s_and_not1_b32 vcc_lo, exec_lo, s56
	s_cbranch_vccnz .LBB97_31
; %bb.34:                               ;   in Loop: Header=BB97_33 Depth=5
	v_dual_mov_b32 v4, 0 :: v_dual_mov_b32 v0, v17
	v_mov_b32_e32 v18, v15
	s_mov_b32 s65, s54
	s_delay_alu instid0(VALU_DEP_2)
	v_mov_b32_e32 v5, v4
.LBB97_35:                              ;   Parent Loop BB97_3 Depth=1
                                        ;     Parent Loop BB97_7 Depth=2
                                        ;       Parent Loop BB97_17 Depth=3
                                        ;         Parent Loop BB97_29 Depth=4
                                        ;           Parent Loop BB97_33 Depth=5
                                        ; =>          This Inner Loop Header: Depth=6
	flat_load_b64 v[20:21], v0, s[28:29] scale_offset
	ds_load_b64 v[22:23], v18
	s_wait_xcnt 0x0
	v_add_nc_u32_e32 v0, s38, v0
	s_add_co_i32 s65, s65, -1
	v_add_nc_u32_e32 v18, 8, v18
	s_cmp_eq_u32 s65, 0
	s_wait_loadcnt_dscnt 0x0
	v_pk_mul_f32 v[24:25], v[20:21], v[22:23] op_sel:[1,1] op_sel_hi:[1,0]
	s_delay_alu instid0(VALU_DEP_1) | instskip(SKIP_1) | instid1(VALU_DEP_2)
	v_pk_fma_f32 v[26:27], v[20:21], v[22:23], v[24:25] op_sel_hi:[0,1,1] neg_lo:[0,0,1] neg_hi:[0,0,1]
	v_pk_fma_f32 v[20:21], v[20:21], v[22:23], v[24:25]
	v_mov_b32_e32 v21, v27
	s_delay_alu instid0(VALU_DEP_1)
	v_pk_add_f32 v[4:5], v[4:5], v[20:21]
	s_cbranch_scc0 .LBB97_35
	s_branch .LBB97_32
.LBB97_36:
	s_endpgm
	.section	.rodata,"a",@progbits
	.p2align	6, 0x0
	.amdhsa_kernel _ZN9rocsolver6v33100L17syevj_offd_rotateILb1E19rocblas_complex_numIfEfPS3_EEvbiiT2_iilPT0_PiS8_S8_i
		.amdhsa_group_segment_fixed_size 0
		.amdhsa_private_segment_fixed_size 0
		.amdhsa_kernarg_size 336
		.amdhsa_user_sgpr_count 2
		.amdhsa_user_sgpr_dispatch_ptr 0
		.amdhsa_user_sgpr_queue_ptr 0
		.amdhsa_user_sgpr_kernarg_segment_ptr 1
		.amdhsa_user_sgpr_dispatch_id 0
		.amdhsa_user_sgpr_kernarg_preload_length 0
		.amdhsa_user_sgpr_kernarg_preload_offset 0
		.amdhsa_user_sgpr_private_segment_size 0
		.amdhsa_wavefront_size32 1
		.amdhsa_uses_dynamic_stack 0
		.amdhsa_enable_private_segment 0
		.amdhsa_system_sgpr_workgroup_id_x 1
		.amdhsa_system_sgpr_workgroup_id_y 1
		.amdhsa_system_sgpr_workgroup_id_z 1
		.amdhsa_system_sgpr_workgroup_info 0
		.amdhsa_system_vgpr_workitem_id 1
		.amdhsa_next_free_vgpr 28
		.amdhsa_next_free_sgpr 66
		.amdhsa_named_barrier_count 0
		.amdhsa_reserve_vcc 1
		.amdhsa_float_round_mode_32 0
		.amdhsa_float_round_mode_16_64 0
		.amdhsa_float_denorm_mode_32 3
		.amdhsa_float_denorm_mode_16_64 3
		.amdhsa_fp16_overflow 0
		.amdhsa_memory_ordered 1
		.amdhsa_forward_progress 1
		.amdhsa_inst_pref_size 13
		.amdhsa_round_robin_scheduling 0
		.amdhsa_exception_fp_ieee_invalid_op 0
		.amdhsa_exception_fp_denorm_src 0
		.amdhsa_exception_fp_ieee_div_zero 0
		.amdhsa_exception_fp_ieee_overflow 0
		.amdhsa_exception_fp_ieee_underflow 0
		.amdhsa_exception_fp_ieee_inexact 0
		.amdhsa_exception_int_div_zero 0
	.end_amdhsa_kernel
	.section	.text._ZN9rocsolver6v33100L17syevj_offd_rotateILb1E19rocblas_complex_numIfEfPS3_EEvbiiT2_iilPT0_PiS8_S8_i,"axG",@progbits,_ZN9rocsolver6v33100L17syevj_offd_rotateILb1E19rocblas_complex_numIfEfPS3_EEvbiiT2_iilPT0_PiS8_S8_i,comdat
.Lfunc_end97:
	.size	_ZN9rocsolver6v33100L17syevj_offd_rotateILb1E19rocblas_complex_numIfEfPS3_EEvbiiT2_iilPT0_PiS8_S8_i, .Lfunc_end97-_ZN9rocsolver6v33100L17syevj_offd_rotateILb1E19rocblas_complex_numIfEfPS3_EEvbiiT2_iilPT0_PiS8_S8_i
                                        ; -- End function
	.set _ZN9rocsolver6v33100L17syevj_offd_rotateILb1E19rocblas_complex_numIfEfPS3_EEvbiiT2_iilPT0_PiS8_S8_i.num_vgpr, 28
	.set _ZN9rocsolver6v33100L17syevj_offd_rotateILb1E19rocblas_complex_numIfEfPS3_EEvbiiT2_iilPT0_PiS8_S8_i.num_agpr, 0
	.set _ZN9rocsolver6v33100L17syevj_offd_rotateILb1E19rocblas_complex_numIfEfPS3_EEvbiiT2_iilPT0_PiS8_S8_i.numbered_sgpr, 66
	.set _ZN9rocsolver6v33100L17syevj_offd_rotateILb1E19rocblas_complex_numIfEfPS3_EEvbiiT2_iilPT0_PiS8_S8_i.num_named_barrier, 0
	.set _ZN9rocsolver6v33100L17syevj_offd_rotateILb1E19rocblas_complex_numIfEfPS3_EEvbiiT2_iilPT0_PiS8_S8_i.private_seg_size, 0
	.set _ZN9rocsolver6v33100L17syevj_offd_rotateILb1E19rocblas_complex_numIfEfPS3_EEvbiiT2_iilPT0_PiS8_S8_i.uses_vcc, 1
	.set _ZN9rocsolver6v33100L17syevj_offd_rotateILb1E19rocblas_complex_numIfEfPS3_EEvbiiT2_iilPT0_PiS8_S8_i.uses_flat_scratch, 0
	.set _ZN9rocsolver6v33100L17syevj_offd_rotateILb1E19rocblas_complex_numIfEfPS3_EEvbiiT2_iilPT0_PiS8_S8_i.has_dyn_sized_stack, 0
	.set _ZN9rocsolver6v33100L17syevj_offd_rotateILb1E19rocblas_complex_numIfEfPS3_EEvbiiT2_iilPT0_PiS8_S8_i.has_recursion, 0
	.set _ZN9rocsolver6v33100L17syevj_offd_rotateILb1E19rocblas_complex_numIfEfPS3_EEvbiiT2_iilPT0_PiS8_S8_i.has_indirect_call, 0
	.section	.AMDGPU.csdata,"",@progbits
; Kernel info:
; codeLenInByte = 1652
; TotalNumSgprs: 68
; NumVgprs: 28
; ScratchSize: 0
; MemoryBound: 0
; FloatMode: 240
; IeeeMode: 1
; LDSByteSize: 0 bytes/workgroup (compile time only)
; SGPRBlocks: 0
; VGPRBlocks: 1
; NumSGPRsForWavesPerEU: 68
; NumVGPRsForWavesPerEU: 28
; NamedBarCnt: 0
; Occupancy: 16
; WaveLimiterHint : 1
; COMPUTE_PGM_RSRC2:SCRATCH_EN: 0
; COMPUTE_PGM_RSRC2:USER_SGPR: 2
; COMPUTE_PGM_RSRC2:TRAP_HANDLER: 0
; COMPUTE_PGM_RSRC2:TGID_X_EN: 1
; COMPUTE_PGM_RSRC2:TGID_Y_EN: 1
; COMPUTE_PGM_RSRC2:TGID_Z_EN: 1
; COMPUTE_PGM_RSRC2:TIDIG_COMP_CNT: 1
	.section	.text._ZN9rocsolver6v33100L17syevj_cycle_pairsI19rocblas_complex_numIfEEEviPiS4_,"axG",@progbits,_ZN9rocsolver6v33100L17syevj_cycle_pairsI19rocblas_complex_numIfEEEviPiS4_,comdat
	.globl	_ZN9rocsolver6v33100L17syevj_cycle_pairsI19rocblas_complex_numIfEEEviPiS4_ ; -- Begin function _ZN9rocsolver6v33100L17syevj_cycle_pairsI19rocblas_complex_numIfEEEviPiS4_
	.p2align	8
	.type	_ZN9rocsolver6v33100L17syevj_cycle_pairsI19rocblas_complex_numIfEEEviPiS4_,@function
_ZN9rocsolver6v33100L17syevj_cycle_pairsI19rocblas_complex_numIfEEEviPiS4_: ; @_ZN9rocsolver6v33100L17syevj_cycle_pairsI19rocblas_complex_numIfEEEviPiS4_
; %bb.0:
	s_clause 0x2
	s_load_b32 s8, s[0:1], 0x0
	s_load_b128 s[4:7], s[0:1], 0x8
	s_load_b32 s2, s[0:1], 0x24
	s_mov_b32 s3, -1
	s_wait_xcnt 0x0
	s_mov_b32 s1, exec_lo
	s_wait_kmcnt 0x0
	s_add_co_i32 s0, s8, -1
	v_cmpx_eq_u32_e32 0, v0
	s_cbranch_execz .LBB98_6
; %bb.1:
	s_lshl_b32 s9, s0, 1
	s_bfe_i32 s11, s0, 0x1001e
	s_or_b32 s10, s9, 1
	s_delay_alu instid0(SALU_CYCLE_1) | instskip(NEXT) | instid1(SALU_CYCLE_1)
	s_add_co_i32 s12, s10, s11
	s_xor_b32 s11, s12, s11
	s_delay_alu instid0(SALU_CYCLE_1) | instskip(SKIP_1) | instid1(SALU_CYCLE_2)
	s_cvt_f32_u32 s12, s11
	s_sub_co_i32 s14, 0, s11
	v_rcp_iflag_f32_e32 v1, s12
	s_load_b32 s12, s[6:7], 0x0
	v_nop
	s_delay_alu instid0(TRANS32_DEP_1) | instskip(SKIP_1) | instid1(SALU_CYCLE_3)
	v_readfirstlane_b32 s13, v1
	s_mul_f32 s13, s13, 0x4f7ffffe
	s_cvt_u32_f32 s13, s13
	s_delay_alu instid0(SALU_CYCLE_3)
	s_mul_i32 s14, s14, s13
	s_wait_kmcnt 0x0
	s_add_co_i32 s12, s12, -1
	s_mul_hi_u32 s14, s13, s14
	s_abs_i32 s15, s12
	s_add_co_i32 s13, s13, s14
	s_ashr_i32 s12, s12, 31
	s_mul_hi_u32 s13, s15, s13
	s_delay_alu instid0(SALU_CYCLE_1) | instskip(NEXT) | instid1(SALU_CYCLE_1)
	s_mul_i32 s13, s13, s11
	s_sub_co_i32 s13, s15, s13
	s_delay_alu instid0(SALU_CYCLE_1) | instskip(SKIP_2) | instid1(SALU_CYCLE_1)
	s_sub_co_i32 s14, s13, s11
	s_cmp_ge_u32 s13, s11
	s_cselect_b32 s13, s14, s13
	s_sub_co_i32 s14, s13, s11
	s_cmp_ge_u32 s13, s11
	s_cselect_b32 s11, s14, s13
	s_delay_alu instid0(SALU_CYCLE_1) | instskip(NEXT) | instid1(SALU_CYCLE_1)
	s_xor_b32 s11, s11, s12
	s_sub_co_i32 s11, s11, s12
                                        ; implicit-def: $sgpr12
	s_delay_alu instid0(SALU_CYCLE_1)
	s_bitcmp0_b32 s11, 0
	s_cbranch_scc1 .LBB98_3
; %bb.2:
	s_add_co_i32 s3, s11, 3
	s_delay_alu instid0(SALU_CYCLE_1)
	s_cmp_gt_i32 s3, s9
	s_cselect_b32 s12, s10, s3
	s_mov_b32 s3, 0
.LBB98_3:
	s_delay_alu instid0(SALU_CYCLE_1)
	s_and_not1_b32 vcc_lo, exec_lo, s3
	s_cbranch_vccnz .LBB98_5
; %bb.4:
	s_add_co_i32 s3, s11, -1
	s_cmp_gt_i32 s11, 1
	s_cselect_b32 s12, s3, 2
.LBB98_5:
	s_delay_alu instid0(SALU_CYCLE_1)
	v_dual_mov_b32 v1, 0 :: v_dual_mov_b32 v2, s12
	global_store_b32 v1, v2, s[6:7]
.LBB98_6:
	s_wait_xcnt 0x0
	s_or_b32 exec_lo, exec_lo, s1
	v_add_nc_u32_e32 v8, 1, v0
	s_mov_b32 s1, exec_lo
	s_delay_alu instid0(VALU_DEP_1)
	v_cmpx_gt_i32_e64 s8, v8
	s_cbranch_execz .LBB98_17
; %bb.7:
	s_lshl_b32 s9, s0, 1
	v_lshlrev_b32_e32 v0, 2, v0
	s_or_b32 s10, s9, 1
	s_and_b32 s11, 0xffff, s2
	s_cvt_f32_u32 s0, s10
	s_sub_co_i32 s2, 0, s10
	s_mov_b32 s1, 0
	s_delay_alu instid0(SALU_CYCLE_1) | instskip(SKIP_1) | instid1(TRANS32_DEP_1)
	v_rcp_iflag_f32_e32 v1, s0
	v_nop
	v_readfirstlane_b32 s0, v1
	v_mov_b32_e32 v1, 0
	s_mul_f32 s0, s0, 0x4f7ffffe
	s_delay_alu instid0(VALU_DEP_1) | instskip(NEXT) | instid1(SALU_CYCLE_2)
	v_add_nc_u64_e32 v[2:3], 4, v[0:1]
	s_cvt_u32_f32 s0, s0
	s_delay_alu instid0(SALU_CYCLE_3)
	s_mul_i32 s3, s2, s0
	s_lshl_b32 s2, s11, 2
	s_mul_hi_u32 s12, s0, s3
	s_mov_b32 s3, s1
	s_add_co_i32 s0, s0, s12
	s_mov_b32 s12, s1
	s_branch .LBB98_9
.LBB98_8:                               ;   in Loop: Header=BB98_9 Depth=1
	s_or_b32 exec_lo, exec_lo, s13
	v_add_nc_u32_e32 v8, s11, v8
	v_add_nc_u64_e32 v[2:3], s[2:3], v[2:3]
	global_store_b32 v[4:5], v0, off
	v_cmp_le_i32_e32 vcc_lo, s8, v8
	s_or_b32 s12, vcc_lo, s12
	s_wait_xcnt 0x0
	s_and_not1_b32 exec_lo, exec_lo, s12
	s_cbranch_execz .LBB98_17
.LBB98_9:                               ; =>This Inner Loop Header: Depth=1
	v_add_nc_u64_e32 v[6:7], s[4:5], v[2:3]
	global_load_b32 v0, v[6:7], off
	s_wait_loadcnt 0x0
	v_add_nc_u32_e32 v9, -1, v0
	s_delay_alu instid0(VALU_DEP_1) | instskip(NEXT) | instid1(VALU_DEP_1)
	v_sub_nc_u32_e32 v0, 0, v9
	v_max_i32_e32 v0, v9, v0
	s_delay_alu instid0(VALU_DEP_1) | instskip(NEXT) | instid1(VALU_DEP_1)
	v_mul_u64_e32 v[4:5], s[0:1], v[0:1]
	v_mul_lo_u32 v4, v5, s10
	s_delay_alu instid0(VALU_DEP_1) | instskip(NEXT) | instid1(VALU_DEP_1)
	v_dual_ashrrev_i32 v5, 31, v9 :: v_dual_sub_nc_u32 v0, v0, v4
	v_subrev_nc_u32_e32 v4, s10, v0
	v_cmp_le_u32_e32 vcc_lo, s10, v0
	s_delay_alu instid0(VALU_DEP_2) | instskip(NEXT) | instid1(VALU_DEP_1)
	v_cndmask_b32_e32 v0, v0, v4, vcc_lo
	v_subrev_nc_u32_e32 v4, s10, v0
	v_cmp_le_u32_e32 vcc_lo, s10, v0
	s_delay_alu instid0(VALU_DEP_2) | instskip(NEXT) | instid1(VALU_DEP_1)
	v_cndmask_b32_e32 v0, v0, v4, vcc_lo
	v_xor_b32_e32 v0, v0, v5
	s_delay_alu instid0(VALU_DEP_1) | instskip(NEXT) | instid1(VALU_DEP_1)
	v_sub_nc_u32_e32 v4, v0, v5
	v_and_b32_e32 v0, 1, v4
	s_delay_alu instid0(VALU_DEP_1) | instskip(SKIP_2) | instid1(SALU_CYCLE_1)
	v_cmp_eq_u32_e32 vcc_lo, 1, v0
                                        ; implicit-def: $vgpr0
	s_wait_xcnt 0x0
	s_and_saveexec_b32 s13, vcc_lo
	s_xor_b32 s13, exec_lo, s13
; %bb.10:                               ;   in Loop: Header=BB98_9 Depth=1
	v_add_nc_u32_e32 v0, 3, v4
                                        ; implicit-def: $vgpr4
	s_delay_alu instid0(VALU_DEP_1)
	v_cmp_lt_i32_e32 vcc_lo, s9, v0
	v_cndmask_b32_e64 v0, v0, s10, vcc_lo
; %bb.11:                               ;   in Loop: Header=BB98_9 Depth=1
	s_and_not1_saveexec_b32 s13, s13
; %bb.12:                               ;   in Loop: Header=BB98_9 Depth=1
	v_add_nc_u32_e32 v0, -1, v4
	v_cmp_lt_i32_e32 vcc_lo, 1, v4
	s_delay_alu instid0(VALU_DEP_2)
	v_cndmask_b32_e32 v0, 2, v0, vcc_lo
; %bb.13:                               ;   in Loop: Header=BB98_9 Depth=1
	s_or_b32 exec_lo, exec_lo, s13
	v_add_nc_u64_e32 v[4:5], s[6:7], v[2:3]
	global_store_b32 v[6:7], v0, off
	global_load_b32 v0, v[4:5], off
	s_wait_loadcnt 0x0
	v_add_nc_u32_e32 v9, -1, v0
	s_delay_alu instid0(VALU_DEP_1) | instskip(NEXT) | instid1(VALU_DEP_1)
	v_sub_nc_u32_e32 v0, 0, v9
	v_max_i32_e32 v0, v9, v0
	s_delay_alu instid0(VALU_DEP_1) | instskip(NEXT) | instid1(VALU_DEP_1)
	v_mul_u64_e32 v[6:7], s[0:1], v[0:1]
	v_mul_lo_u32 v6, v7, s10
	s_delay_alu instid0(VALU_DEP_1) | instskip(NEXT) | instid1(VALU_DEP_1)
	v_dual_sub_nc_u32 v0, v0, v6 :: v_dual_ashrrev_i32 v7, 31, v9
	v_subrev_nc_u32_e32 v6, s10, v0
	v_cmp_le_u32_e32 vcc_lo, s10, v0
	s_delay_alu instid0(VALU_DEP_2) | instskip(NEXT) | instid1(VALU_DEP_1)
	v_cndmask_b32_e32 v0, v0, v6, vcc_lo
	v_subrev_nc_u32_e32 v6, s10, v0
	v_cmp_le_u32_e32 vcc_lo, s10, v0
	s_delay_alu instid0(VALU_DEP_2) | instskip(NEXT) | instid1(VALU_DEP_1)
	v_cndmask_b32_e32 v0, v0, v6, vcc_lo
	v_xor_b32_e32 v0, v0, v7
	s_delay_alu instid0(VALU_DEP_1) | instskip(NEXT) | instid1(VALU_DEP_1)
	v_sub_nc_u32_e32 v6, v0, v7
	v_and_b32_e32 v0, 1, v6
	s_delay_alu instid0(VALU_DEP_1) | instskip(SKIP_2) | instid1(SALU_CYCLE_1)
	v_cmp_eq_u32_e32 vcc_lo, 1, v0
                                        ; implicit-def: $vgpr0
	s_wait_xcnt 0x0
	s_and_saveexec_b32 s13, vcc_lo
	s_xor_b32 s13, exec_lo, s13
; %bb.14:                               ;   in Loop: Header=BB98_9 Depth=1
	v_add_nc_u32_e32 v0, 3, v6
                                        ; implicit-def: $vgpr6
	s_delay_alu instid0(VALU_DEP_1)
	v_cmp_lt_i32_e32 vcc_lo, s9, v0
	v_cndmask_b32_e64 v0, v0, s10, vcc_lo
; %bb.15:                               ;   in Loop: Header=BB98_9 Depth=1
	s_and_not1_saveexec_b32 s13, s13
	s_cbranch_execz .LBB98_8
; %bb.16:                               ;   in Loop: Header=BB98_9 Depth=1
	v_add_nc_u32_e32 v0, -1, v6
	v_cmp_lt_i32_e32 vcc_lo, 1, v6
	s_delay_alu instid0(VALU_DEP_2)
	v_cndmask_b32_e32 v0, 2, v0, vcc_lo
	s_branch .LBB98_8
.LBB98_17:
	s_endpgm
	.section	.rodata,"a",@progbits
	.p2align	6, 0x0
	.amdhsa_kernel _ZN9rocsolver6v33100L17syevj_cycle_pairsI19rocblas_complex_numIfEEEviPiS4_
		.amdhsa_group_segment_fixed_size 0
		.amdhsa_private_segment_fixed_size 0
		.amdhsa_kernarg_size 280
		.amdhsa_user_sgpr_count 2
		.amdhsa_user_sgpr_dispatch_ptr 0
		.amdhsa_user_sgpr_queue_ptr 0
		.amdhsa_user_sgpr_kernarg_segment_ptr 1
		.amdhsa_user_sgpr_dispatch_id 0
		.amdhsa_user_sgpr_kernarg_preload_length 0
		.amdhsa_user_sgpr_kernarg_preload_offset 0
		.amdhsa_user_sgpr_private_segment_size 0
		.amdhsa_wavefront_size32 1
		.amdhsa_uses_dynamic_stack 0
		.amdhsa_enable_private_segment 0
		.amdhsa_system_sgpr_workgroup_id_x 1
		.amdhsa_system_sgpr_workgroup_id_y 0
		.amdhsa_system_sgpr_workgroup_id_z 0
		.amdhsa_system_sgpr_workgroup_info 0
		.amdhsa_system_vgpr_workitem_id 0
		.amdhsa_next_free_vgpr 10
		.amdhsa_next_free_sgpr 16
		.amdhsa_named_barrier_count 0
		.amdhsa_reserve_vcc 1
		.amdhsa_float_round_mode_32 0
		.amdhsa_float_round_mode_16_64 0
		.amdhsa_float_denorm_mode_32 3
		.amdhsa_float_denorm_mode_16_64 3
		.amdhsa_fp16_overflow 0
		.amdhsa_memory_ordered 1
		.amdhsa_forward_progress 1
		.amdhsa_inst_pref_size 7
		.amdhsa_round_robin_scheduling 0
		.amdhsa_exception_fp_ieee_invalid_op 0
		.amdhsa_exception_fp_denorm_src 0
		.amdhsa_exception_fp_ieee_div_zero 0
		.amdhsa_exception_fp_ieee_overflow 0
		.amdhsa_exception_fp_ieee_underflow 0
		.amdhsa_exception_fp_ieee_inexact 0
		.amdhsa_exception_int_div_zero 0
	.end_amdhsa_kernel
	.section	.text._ZN9rocsolver6v33100L17syevj_cycle_pairsI19rocblas_complex_numIfEEEviPiS4_,"axG",@progbits,_ZN9rocsolver6v33100L17syevj_cycle_pairsI19rocblas_complex_numIfEEEviPiS4_,comdat
.Lfunc_end98:
	.size	_ZN9rocsolver6v33100L17syevj_cycle_pairsI19rocblas_complex_numIfEEEviPiS4_, .Lfunc_end98-_ZN9rocsolver6v33100L17syevj_cycle_pairsI19rocblas_complex_numIfEEEviPiS4_
                                        ; -- End function
	.set _ZN9rocsolver6v33100L17syevj_cycle_pairsI19rocblas_complex_numIfEEEviPiS4_.num_vgpr, 10
	.set _ZN9rocsolver6v33100L17syevj_cycle_pairsI19rocblas_complex_numIfEEEviPiS4_.num_agpr, 0
	.set _ZN9rocsolver6v33100L17syevj_cycle_pairsI19rocblas_complex_numIfEEEviPiS4_.numbered_sgpr, 16
	.set _ZN9rocsolver6v33100L17syevj_cycle_pairsI19rocblas_complex_numIfEEEviPiS4_.num_named_barrier, 0
	.set _ZN9rocsolver6v33100L17syevj_cycle_pairsI19rocblas_complex_numIfEEEviPiS4_.private_seg_size, 0
	.set _ZN9rocsolver6v33100L17syevj_cycle_pairsI19rocblas_complex_numIfEEEviPiS4_.uses_vcc, 1
	.set _ZN9rocsolver6v33100L17syevj_cycle_pairsI19rocblas_complex_numIfEEEviPiS4_.uses_flat_scratch, 0
	.set _ZN9rocsolver6v33100L17syevj_cycle_pairsI19rocblas_complex_numIfEEEviPiS4_.has_dyn_sized_stack, 0
	.set _ZN9rocsolver6v33100L17syevj_cycle_pairsI19rocblas_complex_numIfEEEviPiS4_.has_recursion, 0
	.set _ZN9rocsolver6v33100L17syevj_cycle_pairsI19rocblas_complex_numIfEEEviPiS4_.has_indirect_call, 0
	.section	.AMDGPU.csdata,"",@progbits
; Kernel info:
; codeLenInByte = 860
; TotalNumSgprs: 18
; NumVgprs: 10
; ScratchSize: 0
; MemoryBound: 0
; FloatMode: 240
; IeeeMode: 1
; LDSByteSize: 0 bytes/workgroup (compile time only)
; SGPRBlocks: 0
; VGPRBlocks: 0
; NumSGPRsForWavesPerEU: 18
; NumVGPRsForWavesPerEU: 10
; NamedBarCnt: 0
; Occupancy: 16
; WaveLimiterHint : 0
; COMPUTE_PGM_RSRC2:SCRATCH_EN: 0
; COMPUTE_PGM_RSRC2:USER_SGPR: 2
; COMPUTE_PGM_RSRC2:TRAP_HANDLER: 0
; COMPUTE_PGM_RSRC2:TGID_X_EN: 1
; COMPUTE_PGM_RSRC2:TGID_Y_EN: 0
; COMPUTE_PGM_RSRC2:TGID_Z_EN: 0
; COMPUTE_PGM_RSRC2:TIDIG_COMP_CNT: 0
	.section	.text._ZN9rocsolver6v33100L15syevj_calc_normI19rocblas_complex_numIfEfEEviiPT0_PT_S5_Pi,"axG",@progbits,_ZN9rocsolver6v33100L15syevj_calc_normI19rocblas_complex_numIfEfEEviiPT0_PT_S5_Pi,comdat
	.globl	_ZN9rocsolver6v33100L15syevj_calc_normI19rocblas_complex_numIfEfEEviiPT0_PT_S5_Pi ; -- Begin function _ZN9rocsolver6v33100L15syevj_calc_normI19rocblas_complex_numIfEfEEviiPT0_PT_S5_Pi
	.p2align	8
	.type	_ZN9rocsolver6v33100L15syevj_calc_normI19rocblas_complex_numIfEfEEviiPT0_PT_S5_Pi,@function
_ZN9rocsolver6v33100L15syevj_calc_normI19rocblas_complex_numIfEfEEviiPT0_PT_S5_Pi: ; @_ZN9rocsolver6v33100L15syevj_calc_normI19rocblas_complex_numIfEfEEviiPT0_PT_S5_Pi
; %bb.0:
	s_load_b256 s[4:11], s[0:1], 0x8
	s_bfe_u32 s2, ttmp6, 0x40010
	s_bfe_u32 s3, ttmp6, 0x40004
	s_add_co_i32 s2, s2, 1
	s_getreg_b32 s12, hwreg(HW_REG_IB_STS2, 6, 4)
	s_mul_i32 s2, ttmp7, s2
	s_delay_alu instid0(SALU_CYCLE_1) | instskip(SKIP_2) | instid1(SALU_CYCLE_1)
	s_add_co_i32 s3, s3, s2
	s_cmp_eq_u32 s12, 0
	s_cselect_b32 s16, ttmp7, s3
	s_ashr_i32 s17, s16, 31
	s_delay_alu instid0(SALU_CYCLE_1)
	s_lshl_b64 s[14:15], s[16:17], 2
	s_wait_kmcnt 0x0
	s_add_nc_u64 s[2:3], s[10:11], s[14:15]
	s_load_b32 s12, s[2:3], 0x4
	s_wait_kmcnt 0x0
	s_cmp_lg_u32 s12, 0
	s_cbranch_scc0 .LBB99_2
.LBB99_1:
	s_endpgm
.LBB99_2:
	s_clause 0x1
	s_load_b64 s[12:13], s[0:1], 0x0
	s_load_b32 s17, s[0:1], 0x34
	v_mov_b32_e32 v3, 0
	s_mov_b32 s18, exec_lo
	s_wait_kmcnt 0x0
	s_and_b32 s17, s17, 0xffff
	v_cmpx_gt_i32_e64 s12, v0
	s_cbranch_execz .LBB99_10
; %bb.3:
	s_mul_i32 s0, s12, s16
	v_dual_mov_b32 v3, 0 :: v_dual_lshlrev_b32 v2, 3, v0
	s_mul_i32 s0, s0, s12
	v_mov_b32_e32 v1, v0
	s_ashr_i32 s1, s0, 31
	s_delay_alu instid0(SALU_CYCLE_1) | instskip(NEXT) | instid1(SALU_CYCLE_1)
	s_lshl_b64 s[0:1], s[0:1], 3
	s_add_nc_u64 s[6:7], s[6:7], s[0:1]
	s_mov_b32 s1, 0
	v_add_nc_u64_e32 v[4:5], s[6:7], v[2:3]
	s_ashr_i32 s7, s12, 31
	s_mov_b32 s6, s12
	s_lshl_b32 s0, s17, 3
	s_lshl_b64 s[6:7], s[6:7], 3
	s_mov_b32 s16, s1
	s_branch .LBB99_6
.LBB99_4:                               ;   in Loop: Header=BB99_6 Depth=1
	s_or_b32 exec_lo, exec_lo, s20
.LBB99_5:                               ;   in Loop: Header=BB99_6 Depth=1
	s_delay_alu instid0(SALU_CYCLE_1) | instskip(SKIP_2) | instid1(VALU_DEP_2)
	s_or_b32 exec_lo, exec_lo, s19
	v_add_nc_u32_e32 v1, s17, v1
	v_add_nc_u64_e32 v[4:5], s[0:1], v[4:5]
	v_cmp_le_i32_e32 vcc_lo, s12, v1
	s_or_b32 s16, vcc_lo, s16
	s_delay_alu instid0(SALU_CYCLE_1)
	s_and_not1_b32 exec_lo, exec_lo, s16
	s_cbranch_execz .LBB99_9
.LBB99_6:                               ; =>This Loop Header: Depth=1
                                        ;     Child Loop BB99_8 Depth 2
	s_mov_b32 s19, exec_lo
	v_cmpx_ne_u32_e32 0, v1
	s_cbranch_execz .LBB99_5
; %bb.7:                                ;   in Loop: Header=BB99_6 Depth=1
	v_mov_b64_e32 v[6:7], v[4:5]
	v_mov_b32_e32 v2, v1
	s_mov_b32 s20, 0
.LBB99_8:                               ;   Parent Loop BB99_6 Depth=1
                                        ; =>  This Inner Loop Header: Depth=2
	global_load_b64 v[8:9], v[6:7], off
	s_wait_xcnt 0x0
	v_add_nc_u64_e32 v[6:7], s[6:7], v[6:7]
	s_wait_loadcnt 0x0
	v_pk_mul_f32 v[8:9], v[8:9], v[8:9]
	s_delay_alu instid0(VALU_DEP_1) | instskip(NEXT) | instid1(VALU_DEP_1)
	v_dual_add_nc_u32 v2, -1, v2 :: v_dual_add_f32 v8, v8, v9
	v_cmp_eq_u32_e32 vcc_lo, 0, v2
	s_delay_alu instid0(VALU_DEP_2) | instskip(SKIP_1) | instid1(SALU_CYCLE_1)
	v_fmac_f32_e32 v3, 2.0, v8
	s_or_b32 s20, vcc_lo, s20
	s_and_not1_b32 exec_lo, exec_lo, s20
	s_cbranch_execnz .LBB99_8
	s_branch .LBB99_4
.LBB99_9:
	s_or_b32 exec_lo, exec_lo, s16
.LBB99_10:
	s_delay_alu instid0(SALU_CYCLE_1)
	s_or_b32 exec_lo, exec_lo, s18
	v_lshl_add_u32 v1, v0, 2, 0
	s_mov_b32 s0, exec_lo
	ds_store_b32 v1, v3
	s_wait_dscnt 0x0
	s_barrier_signal -1
	s_barrier_wait -1
	v_cmpx_eq_u32_e32 0, v0
	s_cbranch_execz .LBB99_1
; %bb.11:
	s_min_i32 s0, s12, s17
	s_delay_alu instid0(SALU_CYCLE_1)
	s_cmp_lt_i32 s0, 2
	s_cbranch_scc1 .LBB99_20
; %bb.12:
	s_add_co_i32 s1, s0, -2
	s_add_co_i32 s0, s0, -1
	s_cmp_lt_u32 s1, 7
	s_cbranch_scc1 .LBB99_16
; %bb.13:
	s_mov_b32 s6, 0
	s_add_co_i32 s1, 0, 4
	s_and_b32 s7, s0, -8
.LBB99_14:                              ; =>This Inner Loop Header: Depth=1
	v_mov_b32_e32 v2, s1
	s_mov_b32 s12, s6
	s_add_co_i32 s6, s6, 8
	s_add_co_i32 s1, s1, 32
	s_cmp_lg_u32 s7, s6
	ds_load_2addr_b32 v[0:1], v2 offset1:1
	ds_load_2addr_b32 v[4:5], v2 offset0:2 offset1:3
	ds_load_2addr_b32 v[6:7], v2 offset0:4 offset1:5
	;; [unrolled: 1-line block ×3, first 2 shown]
	s_wait_dscnt 0x3
	v_add_f32_e32 v0, v3, v0
	s_delay_alu instid0(VALU_DEP_1) | instskip(SKIP_1) | instid1(VALU_DEP_1)
	v_add_f32_e32 v0, v0, v1
	s_wait_dscnt 0x2
	v_add_f32_e32 v0, v0, v4
	s_delay_alu instid0(VALU_DEP_1) | instskip(SKIP_1) | instid1(VALU_DEP_1)
	v_add_f32_e32 v0, v0, v5
	;; [unrolled: 4-line block ×3, first 2 shown]
	s_wait_dscnt 0x0
	v_add_f32_e32 v0, v0, v8
	s_delay_alu instid0(VALU_DEP_1)
	v_add_f32_e32 v3, v0, v9
	s_cbranch_scc1 .LBB99_14
; %bb.15:
	s_add_co_i32 s1, s12, 9
	s_branch .LBB99_17
.LBB99_16:
	s_mov_b32 s1, 1
.LBB99_17:
	s_and_b32 s0, s0, 7
	s_delay_alu instid0(SALU_CYCLE_1)
	s_cmp_eq_u32 s0, 0
	s_cbranch_scc1 .LBB99_20
; %bb.18:
	s_lshl_b32 s1, s1, 2
	s_delay_alu instid0(SALU_CYCLE_1)
	s_add_co_i32 s1, s1, 0
.LBB99_19:                              ; =>This Inner Loop Header: Depth=1
	s_delay_alu instid0(SALU_CYCLE_1)
	v_mov_b32_e32 v0, s1
	s_add_co_i32 s0, s0, -1
	s_add_co_i32 s1, s1, 4
	s_cmp_lg_u32 s0, 0
	ds_load_b32 v0, v0
	s_wait_dscnt 0x0
	v_add_f32_e32 v3, v3, v0
	s_cbranch_scc1 .LBB99_19
.LBB99_20:
	v_mov_b32_e32 v0, 0
	s_add_nc_u64 s[0:1], s[4:5], s[14:15]
	s_add_nc_u64 s[4:5], s[8:9], s[14:15]
	s_clause 0x1
	global_store_b32 v0, v3, s[0:1]
	global_load_b32 v1, v0, s[4:5]
	s_wait_loadcnt 0x0
	v_cmp_lt_f32_e32 vcc_lo, v3, v1
	s_wait_xcnt 0x0
	s_and_b32 exec_lo, exec_lo, vcc_lo
	s_cbranch_execz .LBB99_1
; %bb.21:
	s_mov_b32 s0, exec_lo
	s_add_co_i32 s1, s13, 1
	v_mbcnt_lo_u32_b32 v1, s0, 0
	v_mov_b32_e32 v2, s1
	s_delay_alu instid0(VALU_DEP_2)
	v_cmp_eq_u32_e32 vcc_lo, 0, v1
	global_store_b32 v0, v2, s[2:3] offset:4
	s_and_b32 s1, exec_lo, vcc_lo
	s_wait_xcnt 0x0
	s_mov_b32 exec_lo, s1
	s_cbranch_execz .LBB99_1
; %bb.22:
	s_bcnt1_i32_b32 s0, s0
	s_delay_alu instid0(SALU_CYCLE_1)
	v_dual_mov_b32 v0, 0 :: v_dual_mov_b32 v1, s0
	global_atomic_add_u32 v0, v1, s[10:11] scope:SCOPE_DEV
	s_endpgm
	.section	.rodata,"a",@progbits
	.p2align	6, 0x0
	.amdhsa_kernel _ZN9rocsolver6v33100L15syevj_calc_normI19rocblas_complex_numIfEfEEviiPT0_PT_S5_Pi
		.amdhsa_group_segment_fixed_size 0
		.amdhsa_private_segment_fixed_size 0
		.amdhsa_kernarg_size 296
		.amdhsa_user_sgpr_count 2
		.amdhsa_user_sgpr_dispatch_ptr 0
		.amdhsa_user_sgpr_queue_ptr 0
		.amdhsa_user_sgpr_kernarg_segment_ptr 1
		.amdhsa_user_sgpr_dispatch_id 0
		.amdhsa_user_sgpr_kernarg_preload_length 0
		.amdhsa_user_sgpr_kernarg_preload_offset 0
		.amdhsa_user_sgpr_private_segment_size 0
		.amdhsa_wavefront_size32 1
		.amdhsa_uses_dynamic_stack 0
		.amdhsa_enable_private_segment 0
		.amdhsa_system_sgpr_workgroup_id_x 1
		.amdhsa_system_sgpr_workgroup_id_y 1
		.amdhsa_system_sgpr_workgroup_id_z 0
		.amdhsa_system_sgpr_workgroup_info 0
		.amdhsa_system_vgpr_workitem_id 0
		.amdhsa_next_free_vgpr 10
		.amdhsa_next_free_sgpr 21
		.amdhsa_named_barrier_count 0
		.amdhsa_reserve_vcc 1
		.amdhsa_float_round_mode_32 0
		.amdhsa_float_round_mode_16_64 0
		.amdhsa_float_denorm_mode_32 3
		.amdhsa_float_denorm_mode_16_64 3
		.amdhsa_fp16_overflow 0
		.amdhsa_memory_ordered 1
		.amdhsa_forward_progress 1
		.amdhsa_inst_pref_size 7
		.amdhsa_round_robin_scheduling 0
		.amdhsa_exception_fp_ieee_invalid_op 0
		.amdhsa_exception_fp_denorm_src 0
		.amdhsa_exception_fp_ieee_div_zero 0
		.amdhsa_exception_fp_ieee_overflow 0
		.amdhsa_exception_fp_ieee_underflow 0
		.amdhsa_exception_fp_ieee_inexact 0
		.amdhsa_exception_int_div_zero 0
	.end_amdhsa_kernel
	.section	.text._ZN9rocsolver6v33100L15syevj_calc_normI19rocblas_complex_numIfEfEEviiPT0_PT_S5_Pi,"axG",@progbits,_ZN9rocsolver6v33100L15syevj_calc_normI19rocblas_complex_numIfEfEEviiPT0_PT_S5_Pi,comdat
.Lfunc_end99:
	.size	_ZN9rocsolver6v33100L15syevj_calc_normI19rocblas_complex_numIfEfEEviiPT0_PT_S5_Pi, .Lfunc_end99-_ZN9rocsolver6v33100L15syevj_calc_normI19rocblas_complex_numIfEfEEviiPT0_PT_S5_Pi
                                        ; -- End function
	.set _ZN9rocsolver6v33100L15syevj_calc_normI19rocblas_complex_numIfEfEEviiPT0_PT_S5_Pi.num_vgpr, 10
	.set _ZN9rocsolver6v33100L15syevj_calc_normI19rocblas_complex_numIfEfEEviiPT0_PT_S5_Pi.num_agpr, 0
	.set _ZN9rocsolver6v33100L15syevj_calc_normI19rocblas_complex_numIfEfEEviiPT0_PT_S5_Pi.numbered_sgpr, 21
	.set _ZN9rocsolver6v33100L15syevj_calc_normI19rocblas_complex_numIfEfEEviiPT0_PT_S5_Pi.num_named_barrier, 0
	.set _ZN9rocsolver6v33100L15syevj_calc_normI19rocblas_complex_numIfEfEEviiPT0_PT_S5_Pi.private_seg_size, 0
	.set _ZN9rocsolver6v33100L15syevj_calc_normI19rocblas_complex_numIfEfEEviiPT0_PT_S5_Pi.uses_vcc, 1
	.set _ZN9rocsolver6v33100L15syevj_calc_normI19rocblas_complex_numIfEfEEviiPT0_PT_S5_Pi.uses_flat_scratch, 0
	.set _ZN9rocsolver6v33100L15syevj_calc_normI19rocblas_complex_numIfEfEEviiPT0_PT_S5_Pi.has_dyn_sized_stack, 0
	.set _ZN9rocsolver6v33100L15syevj_calc_normI19rocblas_complex_numIfEfEEviiPT0_PT_S5_Pi.has_recursion, 0
	.set _ZN9rocsolver6v33100L15syevj_calc_normI19rocblas_complex_numIfEfEEviiPT0_PT_S5_Pi.has_indirect_call, 0
	.section	.AMDGPU.csdata,"",@progbits
; Kernel info:
; codeLenInByte = 800
; TotalNumSgprs: 23
; NumVgprs: 10
; ScratchSize: 0
; MemoryBound: 0
; FloatMode: 240
; IeeeMode: 1
; LDSByteSize: 0 bytes/workgroup (compile time only)
; SGPRBlocks: 0
; VGPRBlocks: 0
; NumSGPRsForWavesPerEU: 23
; NumVGPRsForWavesPerEU: 10
; NamedBarCnt: 0
; Occupancy: 16
; WaveLimiterHint : 0
; COMPUTE_PGM_RSRC2:SCRATCH_EN: 0
; COMPUTE_PGM_RSRC2:USER_SGPR: 2
; COMPUTE_PGM_RSRC2:TRAP_HANDLER: 0
; COMPUTE_PGM_RSRC2:TGID_X_EN: 1
; COMPUTE_PGM_RSRC2:TGID_Y_EN: 1
; COMPUTE_PGM_RSRC2:TGID_Z_EN: 0
; COMPUTE_PGM_RSRC2:TIDIG_COMP_CNT: 0
	.section	.text._ZN9rocsolver6v33100L14syevj_finalizeI19rocblas_complex_numIfEfPS3_EEv14rocblas_esort_14rocblas_evect_iT1_iilPT0_iPiS9_lSA_PT_SA_,"axG",@progbits,_ZN9rocsolver6v33100L14syevj_finalizeI19rocblas_complex_numIfEfPS3_EEv14rocblas_esort_14rocblas_evect_iT1_iilPT0_iPiS9_lSA_PT_SA_,comdat
	.globl	_ZN9rocsolver6v33100L14syevj_finalizeI19rocblas_complex_numIfEfPS3_EEv14rocblas_esort_14rocblas_evect_iT1_iilPT0_iPiS9_lSA_PT_SA_ ; -- Begin function _ZN9rocsolver6v33100L14syevj_finalizeI19rocblas_complex_numIfEfPS3_EEv14rocblas_esort_14rocblas_evect_iT1_iilPT0_iPiS9_lSA_PT_SA_
	.p2align	8
	.type	_ZN9rocsolver6v33100L14syevj_finalizeI19rocblas_complex_numIfEfPS3_EEv14rocblas_esort_14rocblas_evect_iT1_iilPT0_iPiS9_lSA_PT_SA_,@function
_ZN9rocsolver6v33100L14syevj_finalizeI19rocblas_complex_numIfEfPS3_EEv14rocblas_esort_14rocblas_evect_iT1_iilPT0_iPiS9_lSA_PT_SA_: ; @_ZN9rocsolver6v33100L14syevj_finalizeI19rocblas_complex_numIfEfPS3_EEv14rocblas_esort_14rocblas_evect_iT1_iilPT0_iPiS9_lSA_PT_SA_
; %bb.0:
	s_clause 0x2
	s_load_b128 s[12:15], s[0:1], 0x20
	s_load_b256 s[4:11], s[0:1], 0x38
	s_load_b128 s[16:19], s[0:1], 0x58
	s_bfe_u32 s2, ttmp6, 0x40010
	s_bfe_u32 s3, ttmp6, 0x40004
	s_add_co_i32 s2, s2, 1
	s_getreg_b32 s20, hwreg(HW_REG_IB_STS2, 6, 4)
	s_mul_i32 s2, ttmp7, s2
	s_delay_alu instid0(SALU_CYCLE_1) | instskip(SKIP_3) | instid1(SALU_CYCLE_1)
	s_add_co_i32 s3, s3, s2
	s_cmp_eq_u32 s20, 0
	v_cmp_eq_u32_e64 s2, 0, v0
	s_cselect_b32 s24, ttmp7, s3
	s_ashr_i32 s25, s24, 31
	s_and_saveexec_b32 s3, s2
	s_cbranch_execz .LBB100_2
; %bb.1:
	s_lshl_b64 s[20:21], s[24:25], 2
	s_wait_kmcnt 0x0
	s_add_nc_u64 s[14:15], s[14:15], s[20:21]
	s_add_nc_u64 s[18:19], s[18:19], s[20:21]
	s_load_b32 s22, s[14:15], 0x0
	s_add_nc_u64 s[4:5], s[4:5], s[20:21]
	s_load_b32 s18, s[18:19], 0x4
	s_add_nc_u64 s[10:11], s[10:11], s[20:21]
	s_wait_kmcnt 0x0
	s_mul_f32 s23, s22, 0x4f800000
	s_cmp_lt_f32 s22, 0xf800000
	s_delay_alu instid0(SALU_CYCLE_2) | instskip(NEXT) | instid1(SALU_CYCLE_1)
	s_cselect_b32 s23, s23, s22
	v_s_sqrt_f32 s26, s23
	s_mov_b32 s28, s23
	s_delay_alu instid0(TRANS32_DEP_1) | instskip(NEXT) | instid1(SALU_CYCLE_1)
	s_add_co_i32 s27, s26, -1
	s_xor_b32 s29, s27, 0x80000000
	s_delay_alu instid0(SALU_CYCLE_1) | instskip(NEXT) | instid1(SALU_CYCLE_3)
	s_fmac_f32 s28, s29, s26
	s_cmp_le_f32 s28, 0
	s_mov_b32 s28, s23
	s_cselect_b32 s19, s27, s26
	s_add_co_i32 s27, s26, 1
	s_delay_alu instid0(SALU_CYCLE_1) | instskip(NEXT) | instid1(SALU_CYCLE_1)
	s_xor_b32 s29, s27, 0x80000000
	s_fmac_f32 s28, s29, s26
	s_load_b32 s26, s[0:1], 0x30
	s_delay_alu instid0(SALU_CYCLE_2) | instskip(SKIP_4) | instid1(SALU_CYCLE_3)
	s_cmp_gt_f32 s28, 0
	v_cmp_class_f32_e64 s28, s23, 0x260
	s_cselect_b32 s19, s27, s19
	s_cmp_lt_f32 s22, 0xf800000
	s_mul_f32 s22, s19, 0x37800000
	s_cselect_b32 s19, s22, s19
	s_and_b32 s22, s28, exec_lo
	s_cselect_b32 s19, s23, s19
	s_add_co_i32 s22, s18, -1
	s_cmp_lt_i32 s18, 1
	v_dual_mov_b32 v1, 0 :: v_dual_mov_b32 v3, s19
	s_cselect_b32 s18, -1, 0
	s_delay_alu instid0(SALU_CYCLE_1) | instskip(SKIP_3) | instid1(SALU_CYCLE_1)
	v_cndmask_b32_e64 v2, 0, 1, s18
	s_and_b32 s18, s18, exec_lo
	s_wait_kmcnt 0x0
	s_cselect_b32 s18, s26, s22
	v_mov_b32_e32 v4, s18
	s_clause 0x2
	global_store_b32 v1, v3, s[14:15]
	global_store_b32 v1, v4, s[4:5]
	;; [unrolled: 1-line block ×3, first 2 shown]
.LBB100_2:
	s_wait_xcnt 0x0
	s_or_b32 exec_lo, exec_lo, s3
	s_load_b96 s[20:22], s[0:1], 0x0
	s_wait_kmcnt 0x0
	s_mul_u64 s[4:5], s[8:9], s[24:25]
	s_delay_alu instid0(SALU_CYCLE_1) | instskip(NEXT) | instid1(SALU_CYCLE_1)
	s_lshl_b64 s[4:5], s[4:5], 2
	s_add_nc_u64 s[8:9], s[6:7], s[4:5]
	v_cmp_gt_i32_e64 s3, s22, v0
	s_and_saveexec_b32 s6, s3
	s_cbranch_execz .LBB100_5
; %bb.3:
	s_load_b32 s7, s[0:1], 0x74
	v_mad_u32 v2, v0, s22, v0
	s_mul_i32 s4, s22, s24
	v_mov_b32_e32 v1, v0
	s_mul_i32 s4, s4, s22
	s_add_co_i32 s10, s22, 1
	s_ashr_i32 s5, s4, 31
	s_mov_b32 s11, 0
	s_lshl_b64 s[4:5], s[4:5], 3
	s_delay_alu instid0(SALU_CYCLE_1) | instskip(SKIP_2) | instid1(SALU_CYCLE_1)
	s_add_nc_u64 s[4:5], s[16:17], s[4:5]
	s_wait_kmcnt 0x0
	s_and_b32 s7, s7, 0xffff
	s_mul_i32 s10, s10, s7
.LBB100_4:                              ; =>This Inner Loop Header: Depth=1
	v_ashrrev_i32_e32 v3, 31, v2
	s_delay_alu instid0(VALU_DEP_1)
	v_lshl_add_u64 v[4:5], v[2:3], 3, s[4:5]
	v_add_nc_u32_e32 v2, s10, v2
	global_load_b32 v3, v[4:5], off
	s_wait_loadcnt 0x0
	global_store_b32 v1, v3, s[8:9] scale_offset
	s_wait_xcnt 0x0
	v_add_nc_u32_e32 v1, s7, v1
	s_delay_alu instid0(VALU_DEP_1) | instskip(SKIP_1) | instid1(SALU_CYCLE_1)
	v_cmp_le_i32_e32 vcc_lo, s22, v1
	s_or_b32 s11, vcc_lo, s11
	s_and_not1_b32 exec_lo, exec_lo, s11
	s_cbranch_execnz .LBB100_4
.LBB100_5:
	s_or_b32 exec_lo, exec_lo, s6
	v_cmp_eq_u32_e32 vcc_lo, 0, v0
	s_cmp_lg_u32 s21, 0xd5
	s_mov_b32 s11, 0
	s_cselect_b32 s18, -1, 0
	s_wait_storecnt 0x0
	s_or_b32 s4, vcc_lo, s18
	s_cmp_lg_u32 s20, 0xfb
	s_barrier_signal -1
	s_cselect_b32 s5, -1, 0
	s_barrier_wait -1
	s_and_b32 s4, s5, s4
	s_cmp_gt_i32 s22, 1
	s_cselect_b32 s5, -1, 0
	s_delay_alu instid0(SALU_CYCLE_1) | instskip(NEXT) | instid1(SALU_CYCLE_1)
	s_and_b32 s4, s5, s4
	s_and_saveexec_b32 s5, s4
	s_cbranch_execz .LBB100_18
; %bb.6:
	s_load_b128 s[4:7], s[0:1], 0x10
	s_mul_u64 s[14:15], s[12:13], s[24:25]
	v_mov_b32_e32 v1, 0
	s_lshl_b64 s[14:15], s[14:15], 3
	s_wait_xcnt 0x0
	s_add_nc_u64 s[0:1], s[0:1], 0x68
	s_add_co_i32 s19, s22, -2
	s_add_nc_u64 s[12:13], s[8:9], 4
	s_mov_b32 s20, 0
	s_wait_kmcnt 0x0
	s_ashr_i32 s17, s6, 31
	s_mov_b32 s16, s6
	s_add_nc_u64 s[4:5], s[4:5], s[14:15]
	s_lshl_b64 s[14:15], s[16:17], 3
	s_mov_b32 s6, 0
	s_add_nc_u64 s[4:5], s[4:5], s[14:15]
	s_branch .LBB100_9
.LBB100_7:                              ;   in Loop: Header=BB100_9 Depth=1
	s_or_b32 exec_lo, exec_lo, s14
	s_wait_storecnt 0x0
	s_barrier_signal -1
	s_barrier_wait -1
.LBB100_8:                              ;   in Loop: Header=BB100_9 Depth=1
	s_add_co_i32 s6, s6, s7
	s_cmp_lg_u32 s10, s19
	s_add_nc_u64 s[12:13], s[12:13], 4
	s_cbranch_scc0 .LBB100_18
.LBB100_9:                              ; =>This Loop Header: Depth=1
                                        ;     Child Loop BB100_10 Depth 2
                                        ;     Child Loop BB100_17 Depth 2
	v_mov_b32_e32 v2, s20
	s_mov_b32 s10, s20
	s_add_co_i32 s20, s20, 1
	s_lshl_b64 s[14:15], s[10:11], 2
	s_mov_b64 s[16:17], s[12:13]
	global_load_b32 v3, v2, s[8:9] scale_offset
	s_add_nc_u64 s[14:15], s[8:9], s[14:15]
	s_mov_b32 s21, s20
.LBB100_10:                             ;   Parent Loop BB100_9 Depth=1
                                        ; =>  This Inner Loop Header: Depth=2
	global_load_b32 v4, v1, s[16:17]
	s_wait_xcnt 0x0
	s_add_nc_u64 s[16:17], s[16:17], 4
	s_wait_loadcnt 0x0
	v_cmp_lt_f32_e32 vcc_lo, v4, v3
	v_cndmask_b32_e64 v2, v2, s21, vcc_lo
	v_cndmask_b32_e32 v3, v3, v4, vcc_lo
	s_add_co_i32 s21, s21, 1
	s_delay_alu instid0(SALU_CYCLE_1)
	s_cmp_lg_u32 s22, s21
	s_cbranch_scc1 .LBB100_10
; %bb.11:                               ;   in Loop: Header=BB100_9 Depth=1
	v_cmp_eq_u32_e32 vcc_lo, s10, v2
	s_barrier_signal -1
	s_barrier_wait -1
	s_cbranch_vccnz .LBB100_8
; %bb.12:                               ;   in Loop: Header=BB100_9 Depth=1
	s_and_saveexec_b32 s16, s2
	s_cbranch_execz .LBB100_14
; %bb.13:                               ;   in Loop: Header=BB100_9 Depth=1
	global_load_b32 v4, v1, s[14:15]
	s_wait_loadcnt 0x0
	s_clause 0x1
	global_store_b32 v2, v4, s[8:9] scale_offset
	global_store_b32 v1, v3, s[14:15]
.LBB100_14:                             ;   in Loop: Header=BB100_9 Depth=1
	s_wait_xcnt 0x0
	s_or_b32 exec_lo, exec_lo, s16
	s_delay_alu instid0(SALU_CYCLE_1)
	s_and_not1_b32 vcc_lo, exec_lo, s18
	s_cbranch_vccnz .LBB100_8
; %bb.15:                               ;   in Loop: Header=BB100_9 Depth=1
	s_and_saveexec_b32 s14, s3
	s_cbranch_execz .LBB100_7
; %bb.16:                               ;   in Loop: Header=BB100_9 Depth=1
	s_load_b32 s15, s[0:1], 0xc
	v_mul_lo_u32 v2, v2, s7
	v_mov_b32_e32 v3, v0
	s_mov_b32 s16, 0
	s_wait_kmcnt 0x0
	s_and_b32 s15, s15, 0xffff
.LBB100_17:                             ;   Parent Loop BB100_9 Depth=1
                                        ; =>  This Inner Loop Header: Depth=2
	s_delay_alu instid0(VALU_DEP_1)
	v_dual_add_nc_u32 v8, s6, v3 :: v_dual_add_nc_u32 v9, v2, v3
	v_add_nc_u32_e32 v3, s15, v3
	s_clause 0x1
	global_load_b64 v[4:5], v8, s[4:5] scale_offset
	global_load_b64 v[6:7], v9, s[4:5] scale_offset
	s_wait_loadcnt 0x1
	global_store_b64 v9, v[4:5], s[4:5] scale_offset
	s_wait_loadcnt 0x0
	global_store_b64 v8, v[6:7], s[4:5] scale_offset
	v_cmp_le_i32_e32 vcc_lo, s22, v3
	s_or_b32 s16, vcc_lo, s16
	s_wait_xcnt 0x0
	s_and_not1_b32 exec_lo, exec_lo, s16
	s_cbranch_execnz .LBB100_17
	s_branch .LBB100_7
.LBB100_18:
	s_endpgm
	.section	.rodata,"a",@progbits
	.p2align	6, 0x0
	.amdhsa_kernel _ZN9rocsolver6v33100L14syevj_finalizeI19rocblas_complex_numIfEfPS3_EEv14rocblas_esort_14rocblas_evect_iT1_iilPT0_iPiS9_lSA_PT_SA_
		.amdhsa_group_segment_fixed_size 0
		.amdhsa_private_segment_fixed_size 0
		.amdhsa_kernarg_size 360
		.amdhsa_user_sgpr_count 2
		.amdhsa_user_sgpr_dispatch_ptr 0
		.amdhsa_user_sgpr_queue_ptr 0
		.amdhsa_user_sgpr_kernarg_segment_ptr 1
		.amdhsa_user_sgpr_dispatch_id 0
		.amdhsa_user_sgpr_kernarg_preload_length 0
		.amdhsa_user_sgpr_kernarg_preload_offset 0
		.amdhsa_user_sgpr_private_segment_size 0
		.amdhsa_wavefront_size32 1
		.amdhsa_uses_dynamic_stack 0
		.amdhsa_enable_private_segment 0
		.amdhsa_system_sgpr_workgroup_id_x 1
		.amdhsa_system_sgpr_workgroup_id_y 1
		.amdhsa_system_sgpr_workgroup_id_z 0
		.amdhsa_system_sgpr_workgroup_info 0
		.amdhsa_system_vgpr_workitem_id 0
		.amdhsa_next_free_vgpr 10
		.amdhsa_next_free_sgpr 30
		.amdhsa_named_barrier_count 0
		.amdhsa_reserve_vcc 1
		.amdhsa_float_round_mode_32 0
		.amdhsa_float_round_mode_16_64 0
		.amdhsa_float_denorm_mode_32 3
		.amdhsa_float_denorm_mode_16_64 3
		.amdhsa_fp16_overflow 0
		.amdhsa_memory_ordered 1
		.amdhsa_forward_progress 1
		.amdhsa_inst_pref_size 9
		.amdhsa_round_robin_scheduling 0
		.amdhsa_exception_fp_ieee_invalid_op 0
		.amdhsa_exception_fp_denorm_src 0
		.amdhsa_exception_fp_ieee_div_zero 0
		.amdhsa_exception_fp_ieee_overflow 0
		.amdhsa_exception_fp_ieee_underflow 0
		.amdhsa_exception_fp_ieee_inexact 0
		.amdhsa_exception_int_div_zero 0
	.end_amdhsa_kernel
	.section	.text._ZN9rocsolver6v33100L14syevj_finalizeI19rocblas_complex_numIfEfPS3_EEv14rocblas_esort_14rocblas_evect_iT1_iilPT0_iPiS9_lSA_PT_SA_,"axG",@progbits,_ZN9rocsolver6v33100L14syevj_finalizeI19rocblas_complex_numIfEfPS3_EEv14rocblas_esort_14rocblas_evect_iT1_iilPT0_iPiS9_lSA_PT_SA_,comdat
.Lfunc_end100:
	.size	_ZN9rocsolver6v33100L14syevj_finalizeI19rocblas_complex_numIfEfPS3_EEv14rocblas_esort_14rocblas_evect_iT1_iilPT0_iPiS9_lSA_PT_SA_, .Lfunc_end100-_ZN9rocsolver6v33100L14syevj_finalizeI19rocblas_complex_numIfEfPS3_EEv14rocblas_esort_14rocblas_evect_iT1_iilPT0_iPiS9_lSA_PT_SA_
                                        ; -- End function
	.set _ZN9rocsolver6v33100L14syevj_finalizeI19rocblas_complex_numIfEfPS3_EEv14rocblas_esort_14rocblas_evect_iT1_iilPT0_iPiS9_lSA_PT_SA_.num_vgpr, 10
	.set _ZN9rocsolver6v33100L14syevj_finalizeI19rocblas_complex_numIfEfPS3_EEv14rocblas_esort_14rocblas_evect_iT1_iilPT0_iPiS9_lSA_PT_SA_.num_agpr, 0
	.set _ZN9rocsolver6v33100L14syevj_finalizeI19rocblas_complex_numIfEfPS3_EEv14rocblas_esort_14rocblas_evect_iT1_iilPT0_iPiS9_lSA_PT_SA_.numbered_sgpr, 30
	.set _ZN9rocsolver6v33100L14syevj_finalizeI19rocblas_complex_numIfEfPS3_EEv14rocblas_esort_14rocblas_evect_iT1_iilPT0_iPiS9_lSA_PT_SA_.num_named_barrier, 0
	.set _ZN9rocsolver6v33100L14syevj_finalizeI19rocblas_complex_numIfEfPS3_EEv14rocblas_esort_14rocblas_evect_iT1_iilPT0_iPiS9_lSA_PT_SA_.private_seg_size, 0
	.set _ZN9rocsolver6v33100L14syevj_finalizeI19rocblas_complex_numIfEfPS3_EEv14rocblas_esort_14rocblas_evect_iT1_iilPT0_iPiS9_lSA_PT_SA_.uses_vcc, 1
	.set _ZN9rocsolver6v33100L14syevj_finalizeI19rocblas_complex_numIfEfPS3_EEv14rocblas_esort_14rocblas_evect_iT1_iilPT0_iPiS9_lSA_PT_SA_.uses_flat_scratch, 0
	.set _ZN9rocsolver6v33100L14syevj_finalizeI19rocblas_complex_numIfEfPS3_EEv14rocblas_esort_14rocblas_evect_iT1_iilPT0_iPiS9_lSA_PT_SA_.has_dyn_sized_stack, 0
	.set _ZN9rocsolver6v33100L14syevj_finalizeI19rocblas_complex_numIfEfPS3_EEv14rocblas_esort_14rocblas_evect_iT1_iilPT0_iPiS9_lSA_PT_SA_.has_recursion, 0
	.set _ZN9rocsolver6v33100L14syevj_finalizeI19rocblas_complex_numIfEfPS3_EEv14rocblas_esort_14rocblas_evect_iT1_iilPT0_iPiS9_lSA_PT_SA_.has_indirect_call, 0
	.section	.AMDGPU.csdata,"",@progbits
; Kernel info:
; codeLenInByte = 1100
; TotalNumSgprs: 32
; NumVgprs: 10
; ScratchSize: 0
; MemoryBound: 0
; FloatMode: 240
; IeeeMode: 1
; LDSByteSize: 0 bytes/workgroup (compile time only)
; SGPRBlocks: 0
; VGPRBlocks: 0
; NumSGPRsForWavesPerEU: 32
; NumVGPRsForWavesPerEU: 10
; NamedBarCnt: 0
; Occupancy: 16
; WaveLimiterHint : 0
; COMPUTE_PGM_RSRC2:SCRATCH_EN: 0
; COMPUTE_PGM_RSRC2:USER_SGPR: 2
; COMPUTE_PGM_RSRC2:TRAP_HANDLER: 0
; COMPUTE_PGM_RSRC2:TGID_X_EN: 1
; COMPUTE_PGM_RSRC2:TGID_Y_EN: 1
; COMPUTE_PGM_RSRC2:TGID_Z_EN: 0
; COMPUTE_PGM_RSRC2:TIDIG_COMP_CNT: 0
	.section	.text._ZN9rocsolver6v33100L18geqr2_kernel_smallILi256E19rocblas_complex_numIfEifPS3_EEvT1_S5_T3_lS5_lPT2_lPT0_l,"axG",@progbits,_ZN9rocsolver6v33100L18geqr2_kernel_smallILi256E19rocblas_complex_numIfEifPS3_EEvT1_S5_T3_lS5_lPT2_lPT0_l,comdat
	.globl	_ZN9rocsolver6v33100L18geqr2_kernel_smallILi256E19rocblas_complex_numIfEifPS3_EEvT1_S5_T3_lS5_lPT2_lPT0_l ; -- Begin function _ZN9rocsolver6v33100L18geqr2_kernel_smallILi256E19rocblas_complex_numIfEifPS3_EEvT1_S5_T3_lS5_lPT2_lPT0_l
	.p2align	8
	.type	_ZN9rocsolver6v33100L18geqr2_kernel_smallILi256E19rocblas_complex_numIfEifPS3_EEvT1_S5_T3_lS5_lPT2_lPT0_l,@function
_ZN9rocsolver6v33100L18geqr2_kernel_smallILi256E19rocblas_complex_numIfEifPS3_EEvT1_S5_T3_lS5_lPT2_lPT0_l: ; @_ZN9rocsolver6v33100L18geqr2_kernel_smallILi256E19rocblas_complex_numIfEifPS3_EEvT1_S5_T3_lS5_lPT2_lPT0_l
; %bb.0:
	s_clause 0x4
	s_load_b256 s[4:11], s[0:1], 0x20
	s_load_b64 s[16:17], s[0:1], 0x0
	s_load_b128 s[12:15], s[0:1], 0x8
	s_load_b32 s20, s[0:1], 0x18
	s_load_b64 s[2:3], s[0:1], 0x40
	s_bfe_u32 s19, ttmp6, 0x40014
	s_lshr_b32 s18, ttmp7, 16
	s_add_co_i32 s19, s19, 1
	s_wait_xcnt 0x0
	s_bfe_u32 s0, ttmp6, 0x40008
	s_mul_i32 s19, s18, s19
	s_getreg_b32 s1, hwreg(HW_REG_IB_STS2, 6, 4)
	s_add_co_i32 s0, s0, s19
	s_cmp_eq_u32 s1, 0
	v_and_b32_e32 v1, 0x7f, v0
	s_mov_b32 s19, 0
	s_cselect_b32 s18, s18, s0
	s_delay_alu instid0(VALU_DEP_1) | instskip(SKIP_2) | instid1(SALU_CYCLE_1)
	v_dual_lshrrev_b32 v8, 7, v0 :: v_dual_lshlrev_b32 v9, 3, v1
	s_wait_kmcnt 0x0
	s_mul_u64 s[0:1], s[4:5], s[18:19]
	s_lshl_b64 s[4:5], s[0:1], 3
	v_cmp_gt_i32_e64 s0, s16, v1
	s_add_nc_u64 s[4:5], s[12:13], s[4:5]
	s_lshl_b64 s[12:13], s[14:15], 3
	s_delay_alu instid0(SALU_CYCLE_1)
	s_add_nc_u64 s[12:13], s[4:5], s[12:13]
	s_and_saveexec_b32 s4, s0
	s_cbranch_execz .LBB101_6
; %bb.1:
	v_dual_mov_b32 v5, v1 :: v_dual_lshrrev_b32 v2, 7, v0
	s_lshl_b32 s5, s16, 4
	s_lshl_b32 s14, s20, 1
	s_mov_b32 s15, s19
	s_delay_alu instid0(VALU_DEP_1) | instskip(SKIP_2) | instid1(VALU_DEP_3)
	v_mul_lo_u32 v4, s16, v2
	v_mad_u32 v3, s20, v2, v1
	v_cmp_gt_i32_e32 vcc_lo, s17, v2
	v_lshlrev_b32_e32 v4, 3, v4
	s_delay_alu instid0(VALU_DEP_1)
	v_add3_u32 v4, v4, v9, 0
	s_branch .LBB101_3
.LBB101_2:                              ;   in Loop: Header=BB101_3 Depth=1
	s_or_b32 exec_lo, exec_lo, s21
	v_add_nc_u32_e32 v5, 0x80, v5
	v_add_nc_u32_e32 v4, 0x400, v4
	;; [unrolled: 1-line block ×3, first 2 shown]
	s_delay_alu instid0(VALU_DEP_3) | instskip(SKIP_1) | instid1(SALU_CYCLE_1)
	v_cmp_le_i32_e64 s1, s16, v5
	s_or_b32 s15, s1, s15
	s_and_not1_b32 exec_lo, exec_lo, s15
	s_cbranch_execz .LBB101_6
.LBB101_3:                              ; =>This Loop Header: Depth=1
                                        ;     Child Loop BB101_5 Depth 2
	s_and_saveexec_b32 s21, vcc_lo
	s_cbranch_execz .LBB101_2
; %bb.4:                                ;   in Loop: Header=BB101_3 Depth=1
	s_delay_alu instid0(VALU_DEP_1)
	v_dual_mov_b32 v6, v3 :: v_dual_mov_b32 v7, v4
	v_mov_b32_e32 v10, v2
	s_mov_b32 s22, 0
.LBB101_5:                              ;   Parent Loop BB101_3 Depth=1
                                        ; =>  This Inner Loop Header: Depth=2
	global_load_b64 v[12:13], v6, s[12:13] scale_offset
	v_add_nc_u32_e32 v10, 2, v10
	s_wait_xcnt 0x0
	v_add_nc_u32_e32 v6, s14, v6
	s_wait_loadcnt 0x0
	ds_store_b64 v7, v[12:13]
	v_add_nc_u32_e32 v7, s5, v7
	v_cmp_le_i32_e64 s1, s17, v10
	s_or_b32 s22, s1, s22
	s_delay_alu instid0(SALU_CYCLE_1)
	s_and_not1_b32 exec_lo, exec_lo, s22
	s_cbranch_execnz .LBB101_5
	s_branch .LBB101_2
.LBB101_6:
	s_or_b32 exec_lo, exec_lo, s4
	s_min_i32 s21, s17, s16
	s_wait_dscnt 0x0
	s_cmp_lt_i32 s21, 1
	s_barrier_signal -1
	s_barrier_wait -1
	s_cbranch_scc1 .LBB101_46
; %bb.7:
	v_mbcnt_lo_u32_b32 v2, -1, 0
	s_mul_i32 s1, s17, s16
	s_mul_u64 s[4:5], s[8:9], s[18:19]
	s_lshl_b32 s1, s1, 3
	s_mul_u64 s[2:3], s[2:3], s[18:19]
	v_cmp_ne_u32_e32 vcc_lo, 31, v2
	s_add_co_i32 s22, s1, 0
	s_lshl_b32 s1, s17, 3
	s_lshl_b64 s[4:5], s[4:5], 2
	s_lshl_b64 s[2:3], s[2:3], 3
	v_add_co_ci_u32_e64 v3, null, 0, v2, vcc_lo
	v_cmp_gt_u32_e32 vcc_lo, 30, v2
	s_add_co_i32 s23, s22, s1
	v_lshl_or_b32 v14, v2, 2, 64
	s_delay_alu instid0(VALU_DEP_3)
	v_dual_lshlrev_b32 v10, 2, v3 :: v_dual_bitop2_b32 v3, 31, v0 bitop3:0x40
	v_cndmask_b32_e64 v4, 0, 2, vcc_lo
	v_cmp_gt_u32_e32 vcc_lo, 28, v2
	s_cmp_lg_u64 s[6:7], 0
	s_add_nc_u64 s[8:9], s[6:7], s[4:5]
	v_cmp_eq_u32_e64 s1, 0, v3
	v_add_lshl_u32 v11, v4, v2, 2
	v_cndmask_b32_e64 v5, 0, 4, vcc_lo
	v_cmp_gt_u32_e32 vcc_lo, 24, v2
	v_mad_u32 v4, s16, v0, s16
	s_cselect_b32 s7, -1, 0
	s_lshl_b32 s24, s16, 3
	v_add_lshl_u32 v12, v5, v2, 2
	v_cndmask_b32_e64 v6, 0, 8, vcc_lo
	v_lshlrev_b32_e32 v3, 3, v0
	s_add_nc_u64 s[10:11], s[10:11], s[2:3]
	v_cmp_eq_u32_e64 s2, 0, v0
	v_mov_b32_e32 v20, 1.0
	v_add_lshl_u32 v13, v6, v2, 2
	v_lshrrev_b32_e32 v2, 2, v0
	v_add3_u32 v15, v3, 0, 8
	v_add3_u32 v17, 0, s24, v3
	v_lshl_add_u32 v16, v4, 3, 0
	s_delay_alu instid0(VALU_DEP_4)
	v_dual_mov_b32 v19, 0 :: v_dual_add_nc_u32 v18, s23, v2
	v_mov_b64_e32 v[2:3], 0
	s_mov_b32 s15, 0
	s_add_co_i32 s25, s24, 8
	s_lshl_b32 s26, s16, 11
	s_mov_b32 s27, 0
	s_mov_b32 s28, s17
	;; [unrolled: 1-line block ×4, first 2 shown]
	s_branch .LBB101_9
.LBB101_8:                              ;   in Loop: Header=BB101_9 Depth=1
	s_or_b32 exec_lo, exec_lo, s4
	v_dual_add_nc_u32 v15, s25, v15 :: v_dual_add_nc_u32 v16, s25, v16
	v_add_nc_u32_e32 v17, s25, v17
	s_add_co_i32 s14, s14, 1
	s_add_co_i32 s28, s28, -1
	s_add_co_i32 s29, s29, -1
	s_add_co_i32 s27, s27, s25
	s_cmp_eq_u32 s14, s21
	s_wait_dscnt 0x0
	s_barrier_signal -1
	s_barrier_wait -1
	s_cbranch_scc1 .LBB101_46
.LBB101_9:                              ; =>This Loop Header: Depth=1
                                        ;     Child Loop BB101_11 Depth 2
                                        ;     Child Loop BB101_31 Depth 2
                                        ;     Child Loop BB101_36 Depth 2
                                        ;       Child Loop BB101_38 Depth 3
                                        ;     Child Loop BB101_42 Depth 2
                                        ;       Child Loop BB101_44 Depth 3
	s_sub_co_i32 s30, s16, s14
	v_dual_mov_b32 v4, 0 :: v_dual_mov_b32 v5, 0
	s_add_co_i32 s33, s30, -1
	s_delay_alu instid0(SALU_CYCLE_1)
	v_cmp_gt_i32_e64 s3, s33, v0
	s_and_saveexec_b32 s4, s3
	s_cbranch_execz .LBB101_13
; %bb.10:                               ;   in Loop: Header=BB101_9 Depth=1
	v_dual_mov_b32 v4, 0 :: v_dual_mov_b32 v6, v15
	v_dual_mov_b32 v7, v0 :: v_dual_mov_b32 v5, 0
	s_mov_b32 s5, 0
.LBB101_11:                             ;   Parent Loop BB101_9 Depth=1
                                        ; =>  This Inner Loop Header: Depth=2
	ds_load_b64 v[22:23], v6
	s_wait_dscnt 0x0
	v_dual_mul_f32 v21, v23, v23 :: v_dual_mul_f32 v24, v23, v22
	s_delay_alu instid0(VALU_DEP_1) | instskip(SKIP_1) | instid1(VALU_DEP_2)
	v_dual_fmac_f32 v21, v22, v22 :: v_dual_fma_f32 v22, v22, v23, -v24
	v_add_nc_u32_e32 v7, 0x100, v7
	v_dual_add_f32 v5, v5, v21 :: v_dual_add_nc_u32 v6, 0x800, v6
	s_delay_alu instid0(VALU_DEP_3) | instskip(NEXT) | instid1(VALU_DEP_3)
	v_add_f32_e32 v4, v4, v22
	v_cmp_le_i32_e32 vcc_lo, s33, v7
	s_or_b32 s5, vcc_lo, s5
	s_delay_alu instid0(SALU_CYCLE_1)
	s_and_not1_b32 exec_lo, exec_lo, s5
	s_cbranch_execnz .LBB101_11
; %bb.12:                               ;   in Loop: Header=BB101_9 Depth=1
	s_or_b32 exec_lo, exec_lo, s5
.LBB101_13:                             ;   in Loop: Header=BB101_9 Depth=1
	s_delay_alu instid0(SALU_CYCLE_1)
	s_or_b32 exec_lo, exec_lo, s4
	ds_bpermute_b32 v6, v10, v5
	ds_bpermute_b32 v7, v10, v4
	s_wait_dscnt 0x0
	v_dual_add_f32 v5, v5, v6 :: v_dual_add_f32 v4, v4, v7
	ds_bpermute_b32 v6, v11, v5
	ds_bpermute_b32 v7, v11, v4
	s_wait_dscnt 0x0
	v_dual_add_f32 v5, v5, v6 :: v_dual_add_f32 v4, v4, v7
	ds_bpermute_b32 v6, v12, v5
	ds_bpermute_b32 v7, v12, v4
	s_wait_dscnt 0x0
	v_dual_add_f32 v5, v5, v6 :: v_dual_add_f32 v4, v4, v7
	ds_bpermute_b32 v6, v13, v5
	ds_bpermute_b32 v7, v13, v4
	s_wait_dscnt 0x0
	v_dual_add_f32 v21, v5, v6 :: v_dual_add_f32 v5, v4, v7
	ds_bpermute_b32 v4, v14, v21
	ds_bpermute_b32 v6, v14, v5
	s_wait_dscnt 0x1
	v_add_f32_e32 v4, v21, v4
	s_and_saveexec_b32 s4, s1
	s_cbranch_execz .LBB101_15
; %bb.14:                               ;   in Loop: Header=BB101_9 Depth=1
	s_wait_dscnt 0x0
	v_add_f32_e32 v5, v5, v6
	ds_store_2addr_b32 v18, v4, v5 offset0:2 offset1:3
.LBB101_15:                             ;   in Loop: Header=BB101_9 Depth=1
	s_or_b32 exec_lo, exec_lo, s4
	s_lshl_b32 s4, s14, 3
	s_mul_i32 s5, s14, s16
	s_add_co_i32 s31, s4, 0
	s_lshl_b32 s4, s5, 3
	s_wait_dscnt 0x0
	s_add_co_i32 s31, s31, s4
	s_barrier_signal -1
	s_barrier_wait -1
	s_and_saveexec_b32 s34, s2
	s_cbranch_execz .LBB101_29
; %bb.16:                               ;   in Loop: Header=BB101_9 Depth=1
	v_mov_b32_e32 v21, s23
	s_lshl_b64 s[4:5], s[14:15], 2
	s_mov_b32 s35, 0
	s_add_nc_u64 s[18:19], s[8:9], s[4:5]
	s_mov_b32 s4, exec_lo
	ds_load_2addr_b32 v[6:7], v21 offset0:4 offset1:6
	ds_load_2addr_b32 v[22:23], v21 offset0:8 offset1:10
	s_wait_dscnt 0x1
	v_add_f32_e32 v6, v4, v6
	ds_load_2addr_b32 v[4:5], v21 offset0:12 offset1:14
	v_dual_add_f32 v6, v6, v7 :: v_dual_mov_b32 v7, s31
	s_wait_dscnt 0x1
	s_delay_alu instid0(VALU_DEP_1) | instskip(SKIP_4) | instid1(VALU_DEP_1)
	v_add_f32_e32 v22, v6, v22
	ds_load_b32 v21, v21 offset:64
	ds_load_b32 v6, v7 offset:4
	v_add_f32_e32 v7, v22, v23
	s_wait_dscnt 0x2
	v_add_f32_e32 v4, v7, v4
	s_delay_alu instid0(VALU_DEP_1) | instskip(SKIP_1) | instid1(VALU_DEP_1)
	v_add_f32_e32 v4, v4, v5
	s_wait_dscnt 0x0
	v_dual_add_f32 v21, v4, v21 :: v_dual_mul_f32 v7, v6, v6
	s_delay_alu instid0(VALU_DEP_1) | instskip(NEXT) | instid1(VALU_DEP_1)
	v_max_num_f32_e32 v4, v21, v7
	v_cmpx_nlt_f32_e32 0, v4
	s_xor_b32 s4, exec_lo, s4
	s_cbranch_execz .LBB101_21
; %bb.17:                               ;   in Loop: Header=BB101_9 Depth=1
	v_mov_b32_e32 v4, s23
	s_and_b32 vcc_lo, exec_lo, s7
	ds_store_b64 v4, v[2:3]
	s_cbranch_vccz .LBB101_19
; %bb.18:                               ;   in Loop: Header=BB101_9 Depth=1
	v_mov_b32_e32 v4, s31
	s_mov_b32 s5, -1
	ds_load_b32 v5, v4
	ds_store_b32 v4, v20
	s_wait_dscnt 0x1
	global_store_b32 v19, v5, s[18:19]
	s_branch .LBB101_20
.LBB101_19:                             ;   in Loop: Header=BB101_9 Depth=1
	s_mov_b32 s5, 0
.LBB101_20:                             ;   in Loop: Header=BB101_9 Depth=1
	s_delay_alu instid0(SALU_CYCLE_1)
	s_and_b32 s35, s5, exec_lo
                                        ; implicit-def: $vgpr7
                                        ; implicit-def: $vgpr21
                                        ; implicit-def: $vgpr6
.LBB101_21:                             ;   in Loop: Header=BB101_9 Depth=1
	s_wait_xcnt 0x0
	s_or_saveexec_b32 s36, s4
	v_dual_mov_b32 v4, 1.0 :: v_dual_mov_b32 v5, 0
	v_dual_mov_b32 v22, 0 :: v_dual_mov_b32 v23, 1.0
	s_xor_b32 exec_lo, exec_lo, s36
	s_cbranch_execz .LBB101_26
; %bb.22:                               ;   in Loop: Header=BB101_9 Depth=1
	v_mov_b32_e32 v22, s31
	ds_load_b32 v22, v22
	s_wait_dscnt 0x0
	v_fma_f32 v23, v22, v22, v7
	s_delay_alu instid0(VALU_DEP_1) | instskip(NEXT) | instid1(VALU_DEP_1)
	v_add_f32_e32 v21, v21, v23
	v_mul_f32_e32 v23, 0x4f800000, v21
	v_cmp_gt_f32_e32 vcc_lo, 0xf800000, v21
	s_delay_alu instid0(VALU_DEP_2) | instskip(NEXT) | instid1(VALU_DEP_1)
	v_cndmask_b32_e32 v21, v21, v23, vcc_lo
	v_sqrt_f32_e32 v23, v21
	v_nop
	s_delay_alu instid0(TRANS32_DEP_1) | instskip(NEXT) | instid1(VALU_DEP_1)
	v_dual_add_nc_u32 v24, -1, v23 :: v_dual_add_nc_u32 v25, 1, v23
	v_fma_f32 v26, -v24, v23, v21
	s_delay_alu instid0(VALU_DEP_1) | instskip(NEXT) | instid1(VALU_DEP_1)
	v_cmp_ge_f32_e64 s4, 0, v26
	v_dual_fma_f32 v27, -v25, v23, v21 :: v_dual_cndmask_b32 v23, v23, v24, s4
	s_delay_alu instid0(VALU_DEP_1) | instskip(NEXT) | instid1(VALU_DEP_1)
	v_cmp_lt_f32_e64 s4, 0, v27
	v_cndmask_b32_e64 v23, v23, v25, s4
	s_delay_alu instid0(VALU_DEP_1) | instskip(NEXT) | instid1(VALU_DEP_1)
	v_mul_f32_e32 v24, 0x37800000, v23
	v_cndmask_b32_e32 v23, v23, v24, vcc_lo
	v_cmp_class_f32_e64 vcc_lo, v21, 0x260
	s_delay_alu instid0(VALU_DEP_2) | instskip(SKIP_1) | instid1(VALU_DEP_2)
	v_cndmask_b32_e32 v21, v23, v21, vcc_lo
	v_cmp_le_f32_e32 vcc_lo, 0, v22
	v_cndmask_b32_e64 v21, v21, -v21, vcc_lo
	s_delay_alu instid0(VALU_DEP_1) | instskip(SKIP_2) | instid1(VALU_DEP_3)
	v_dual_sub_f32 v23, v22, v21 :: v_dual_sub_f32 v22, v21, v22
	v_div_scale_f32 v24, null, v21, v21, -v6
	v_div_scale_f32 v28, s4, -v6, v21, -v6
	v_fmac_f32_e32 v7, v23, v23
	s_delay_alu instid0(VALU_DEP_4) | instskip(NEXT) | instid1(VALU_DEP_4)
	v_div_scale_f32 v25, null, v21, v21, v22
	v_rcp_f32_e32 v29, v24
	v_div_scale_f32 v33, s5, v22, v21, v22
	s_delay_alu instid0(VALU_DEP_3) | instskip(NEXT) | instid1(VALU_DEP_3)
	v_div_scale_f32 v27, null, v7, v7, -v6
	v_rcp_f32_e32 v30, v25
	s_delay_alu instid0(TRANS32_DEP_2) | instskip(NEXT) | instid1(VALU_DEP_2)
	v_fma_f32 v35, -v24, v29, 1.0
	v_rcp_f32_e32 v32, v27
	s_delay_alu instid0(TRANS32_DEP_2) | instskip(NEXT) | instid1(TRANS32_DEP_1)
	v_fma_f32 v36, -v25, v30, 1.0
	v_fma_f32 v38, -v27, v32, 1.0
	s_delay_alu instid0(VALU_DEP_1) | instskip(SKIP_2) | instid1(VALU_DEP_2)
	v_dual_fmac_f32 v30, v36, v30 :: v_dual_fmac_f32 v32, v38, v32
	v_div_scale_f32 v26, null, v7, v7, v23
	v_div_scale_f32 v39, s6, -v6, v7, -v6
	v_rcp_f32_e32 v31, v26
	s_delay_alu instid0(VALU_DEP_1) | instskip(NEXT) | instid1(TRANS32_DEP_1)
	v_mul_f32_e32 v38, v39, v32
	v_fma_f32 v37, -v26, v31, 1.0
	s_delay_alu instid0(VALU_DEP_2) | instskip(NEXT) | instid1(VALU_DEP_2)
	v_fma_f32 v43, -v27, v38, v39
	v_fmac_f32_e32 v31, v37, v31
	v_mul_f32_e32 v37, v33, v30
	v_div_scale_f32 v34, vcc_lo, v23, v7, v23
	v_fmac_f32_e32 v29, v35, v29
	s_delay_alu instid0(VALU_DEP_3) | instskip(NEXT) | instid1(VALU_DEP_2)
	v_dual_fmac_f32 v38, v43, v32 :: v_dual_fma_f32 v42, -v25, v37, v33
	v_dual_mul_f32 v36, v34, v31 :: v_dual_mul_f32 v35, v28, v29
	s_delay_alu instid0(VALU_DEP_2) | instskip(NEXT) | instid1(VALU_DEP_3)
	v_fma_f32 v27, -v27, v38, v39
	v_fmac_f32_e32 v37, v42, v30
	s_delay_alu instid0(VALU_DEP_3) | instskip(NEXT) | instid1(VALU_DEP_2)
	v_dual_fma_f32 v41, -v26, v36, v34 :: v_dual_fma_f32 v40, -v24, v35, v28
	v_fma_f32 v25, -v25, v37, v33
	s_delay_alu instid0(VALU_DEP_2) | instskip(NEXT) | instid1(VALU_DEP_1)
	v_dual_fmac_f32 v36, v41, v31 :: v_dual_fmac_f32 v35, v40, v29
	v_dual_fma_f32 v26, -v26, v36, v34 :: v_dual_fma_f32 v24, -v24, v35, v28
	s_delay_alu instid0(VALU_DEP_1) | instskip(SKIP_3) | instid1(VALU_DEP_2)
	v_div_fmas_f32 v26, v26, v31, v36
	s_mov_b32 vcc_lo, s6
	v_div_fmas_f32 v27, v27, v32, v38
	s_mov_b32 vcc_lo, s5
	v_div_fixup_f32 v23, v26, v7, v23
	v_div_fmas_f32 v25, v25, v30, v37
	s_mov_b32 vcc_lo, s4
	v_div_fmas_f32 v28, v24, v29, v35
	v_mov_b32_e32 v29, s23
	s_delay_alu instid0(VALU_DEP_3)
	v_div_fixup_f32 v24, v25, v21, v22
	v_div_fixup_f32 v22, v27, v7, -v6
	s_and_b32 vcc_lo, exec_lo, s7
	v_div_fixup_f32 v25, v28, v21, -v6
	ds_store_b64 v29, v[24:25]
	s_cbranch_vccz .LBB101_45
; %bb.23:                               ;   in Loop: Header=BB101_9 Depth=1
	v_mov_b32_e32 v6, s31
	global_store_b32 v19, v21, s[18:19]
	ds_store_b32 v6, v20
	s_cbranch_execnz .LBB101_25
.LBB101_24:                             ;   in Loop: Header=BB101_9 Depth=1
	v_mov_b32_e32 v6, s31
	ds_store_b32 v6, v21
.LBB101_25:                             ;   in Loop: Header=BB101_9 Depth=1
	s_or_b32 s35, s35, exec_lo
.LBB101_26:                             ;   in Loop: Header=BB101_9 Depth=1
	s_wait_xcnt 0x0
	s_or_b32 exec_lo, exec_lo, s36
	v_mov_b64_e32 v[6:7], 0
	s_and_saveexec_b32 s4, s35
	s_cbranch_execz .LBB101_28
; %bb.27:                               ;   in Loop: Header=BB101_9 Depth=1
	v_dual_mov_b32 v4, s31 :: v_dual_mov_b32 v5, s23
	ds_store_b32 v4, v19 offset:4
	ds_load_b64 v[6:7], v5
	v_dual_mov_b32 v4, v23 :: v_dual_mov_b32 v5, v22
.LBB101_28:                             ;   in Loop: Header=BB101_9 Depth=1
	s_or_b32 exec_lo, exec_lo, s4
	s_lshl_b64 s[4:5], s[14:15], 3
	v_mov_b32_e32 v21, s23
	s_add_nc_u64 s[4:5], s[10:11], s[4:5]
	s_wait_dscnt 0x0
	global_store_b64 v19, v[6:7], s[4:5]
	s_wait_xcnt 0x0
	v_xor_b32_e32 v7, 0x80000000, v7
	ds_store_2addr_b64 v21, v[6:7], v[4:5] offset1:1
.LBB101_29:                             ;   in Loop: Header=BB101_9 Depth=1
	s_or_b32 exec_lo, exec_lo, s34
	s_wait_storecnt_dscnt 0x0
	s_barrier_signal -1
	s_barrier_wait -1
	s_and_saveexec_b32 s4, s3
	s_cbranch_execz .LBB101_32
; %bb.30:                               ;   in Loop: Header=BB101_9 Depth=1
	v_mov_b32_e32 v4, v0
	s_mov_b32 s3, 0
	s_mov_b32 s5, 0
.LBB101_31:                             ;   Parent Loop BB101_9 Depth=1
                                        ; =>  This Inner Loop Header: Depth=2
	s_delay_alu instid0(SALU_CYCLE_1)
	v_dual_add_nc_u32 v5, s5, v15 :: v_dual_mov_b32 v21, s23
	s_addk_co_i32 s5, 0x800
	ds_load_b64 v[6:7], v5
	ds_load_b64 v[22:23], v21 offset:8
	s_wait_dscnt 0x0
	v_pk_mul_f32 v[24:25], v[22:23], v[6:7] op_sel:[1,1] op_sel_hi:[0,1]
	s_delay_alu instid0(VALU_DEP_1) | instskip(SKIP_2) | instid1(VALU_DEP_3)
	v_pk_fma_f32 v[26:27], v[22:23], v[6:7], v[24:25] op_sel_hi:[1,0,1]
	v_add_nc_u32_e32 v4, 0x100, v4
	v_pk_fma_f32 v[6:7], v[22:23], v[6:7], v[24:25] neg_lo:[0,0,1] neg_hi:[0,0,1]
	v_mov_b32_e32 v7, v27
	s_delay_alu instid0(VALU_DEP_3) | instskip(SKIP_2) | instid1(SALU_CYCLE_1)
	v_cmp_le_i32_e32 vcc_lo, s33, v4
	ds_store_b64 v5, v[6:7]
	s_or_b32 s3, vcc_lo, s3
	s_and_not1_b32 exec_lo, exec_lo, s3
	s_cbranch_execnz .LBB101_31
.LBB101_32:                             ;   in Loop: Header=BB101_9 Depth=1
	s_or_b32 exec_lo, exec_lo, s4
	s_not_b32 s3, s14
	s_mov_b32 s4, exec_lo
	s_add_co_i32 s3, s17, s3
	s_wait_dscnt 0x0
	s_barrier_signal -1
	s_barrier_wait -1
	v_cmpx_gt_i32_e64 s3, v0
	s_cbranch_execz .LBB101_39
; %bb.33:                               ;   in Loop: Header=BB101_9 Depth=1
	v_dual_mov_b32 v6, v16 :: v_dual_mov_b32 v7, v0
	s_cmp_gt_i32 s30, 0
	s_mov_b32 s5, 0
	s_cselect_b32 s6, -1, 0
	s_branch .LBB101_36
.LBB101_34:                             ;   in Loop: Header=BB101_36 Depth=2
	v_mov_b32_e32 v5, 0
	s_delay_alu instid0(VALU_DEP_1)
	v_mov_b32_e32 v4, v5
.LBB101_35:                             ;   in Loop: Header=BB101_36 Depth=2
	s_delay_alu instid0(VALU_DEP_1) | instskip(NEXT) | instid1(VALU_DEP_2)
	v_dual_mov_b32 v21, s23 :: v_dual_mov_b32 v24, v5
	v_dual_mov_b32 v25, v4 :: v_dual_add_nc_u32 v6, s26, v6
	ds_load_b64 v[22:23], v21
	v_lshl_add_u32 v21, v7, 3, s22
	v_add_nc_u32_e32 v7, 0x100, v7
	s_delay_alu instid0(VALU_DEP_1) | instskip(SKIP_3) | instid1(VALU_DEP_1)
	v_cmp_le_i32_e32 vcc_lo, s3, v7
	s_or_b32 s5, vcc_lo, s5
	s_wait_dscnt 0x0
	v_pk_mul_f32 v[24:25], v[24:25], v[22:23] op_sel:[0,1]
	v_pk_fma_f32 v[26:27], v[4:5], v[22:23], v[24:25] op_sel_hi:[1,0,1]
	v_pk_fma_f32 v[4:5], v[4:5], v[22:23], v[24:25] neg_lo:[0,0,1] neg_hi:[0,0,1]
	s_delay_alu instid0(VALU_DEP_2)
	v_mov_b32_e32 v5, v27
	ds_store_b64 v21, v[4:5]
	s_and_not1_b32 exec_lo, exec_lo, s5
	s_cbranch_execz .LBB101_39
.LBB101_36:                             ;   Parent Loop BB101_9 Depth=1
                                        ; =>  This Loop Header: Depth=2
                                        ;       Child Loop BB101_38 Depth 3
	s_and_not1_b32 vcc_lo, exec_lo, s6
	s_cbranch_vccnz .LBB101_34
; %bb.37:                               ;   in Loop: Header=BB101_36 Depth=2
	v_dual_mov_b32 v4, 0 :: v_dual_mov_b32 v21, v6
	s_mov_b32 s18, s27
	s_mov_b32 s19, s29
	s_delay_alu instid0(VALU_DEP_1)
	v_mov_b32_e32 v5, v4
.LBB101_38:                             ;   Parent Loop BB101_9 Depth=1
                                        ;     Parent Loop BB101_36 Depth=2
                                        ; =>    This Inner Loop Header: Depth=3
	v_mov_b32_e32 v24, s18
	s_add_co_i32 s19, s19, -1
	s_add_co_i32 s18, s18, 8
	s_cmp_eq_u32 s19, 0
	ds_load_b64 v[22:23], v21
	ds_load_b64 v[24:25], v24
	s_wait_dscnt 0x1
	v_dual_mov_b32 v28, v23 :: v_dual_add_nc_u32 v21, 8, v21
	s_wait_dscnt 0x0
	v_pk_mul_f32 v[26:27], v[24:25], v[22:23] op_sel_hi:[1,0]
	s_delay_alu instid0(VALU_DEP_1) | instskip(NEXT) | instid1(VALU_DEP_3)
	v_pk_fma_f32 v[22:23], v[24:25], v[22:23], v[26:27] op_sel:[1,1,0] op_sel_hi:[0,1,1] neg_lo:[0,0,1] neg_hi:[0,0,1]
	v_pk_fma_f32 v[24:25], v[24:25], v[28:29], v[26:27] op_sel:[1,0,0] op_sel_hi:[0,1,1]
	s_delay_alu instid0(VALU_DEP_2) | instskip(NEXT) | instid1(VALU_DEP_1)
	v_mov_b32_e32 v25, v23
	v_pk_add_f32 v[4:5], v[4:5], v[24:25]
	s_cbranch_scc0 .LBB101_38
	s_branch .LBB101_35
.LBB101_39:                             ;   in Loop: Header=BB101_9 Depth=1
	s_or_b32 exec_lo, exec_lo, s4
	s_delay_alu instid0(SALU_CYCLE_1)
	s_mov_b32 s4, exec_lo
	s_wait_dscnt 0x0
	s_barrier_signal -1
	s_barrier_wait -1
	v_cmpx_gt_i32_e64 s30, v0
	s_cbranch_execz .LBB101_8
; %bb.40:                               ;   in Loop: Header=BB101_9 Depth=1
	v_dual_mov_b32 v4, v17 :: v_dual_mov_b32 v5, v0
	s_cmp_gt_i32 s3, 0
	s_mov_b32 s3, 0
	s_cselect_b32 s5, -1, 0
	s_branch .LBB101_42
.LBB101_41:                             ;   in Loop: Header=BB101_42 Depth=2
	v_add_nc_u32_e32 v5, 0x100, v5
	v_add_nc_u32_e32 v4, 0x800, v4
	s_delay_alu instid0(VALU_DEP_2) | instskip(SKIP_1) | instid1(SALU_CYCLE_1)
	v_cmp_le_i32_e32 vcc_lo, s30, v5
	s_or_b32 s3, vcc_lo, s3
	s_and_not1_b32 exec_lo, exec_lo, s3
	s_cbranch_execz .LBB101_8
.LBB101_42:                             ;   Parent Loop BB101_9 Depth=1
                                        ; =>  This Loop Header: Depth=2
                                        ;       Child Loop BB101_44 Depth 3
	s_and_not1_b32 vcc_lo, exec_lo, s5
	s_cbranch_vccnz .LBB101_41
; %bb.43:                               ;   in Loop: Header=BB101_42 Depth=2
	v_lshl_add_u32 v6, v5, 3, s31
	v_mov_b32_e32 v7, v4
	s_mov_b32 s6, 1
	s_mov_b32 s18, s22
.LBB101_44:                             ;   Parent Loop BB101_9 Depth=1
                                        ;     Parent Loop BB101_42 Depth=2
                                        ; =>    This Inner Loop Header: Depth=3
	s_delay_alu instid0(SALU_CYCLE_1)
	v_mov_b32_e32 v21, s18
	s_add_co_i32 s6, s6, 1
	s_add_co_i32 s18, s18, 8
	s_cmp_eq_u32 s28, s6
	ds_load_b64 v[22:23], v6
	ds_load_b64 v[24:25], v21
	;; [unrolled: 1-line block ×3, first 2 shown]
	s_wait_dscnt 0x1
	v_pk_mul_f32 v[28:29], v[24:25], v[22:23] op_sel:[1,1] op_sel_hi:[0,1]
	s_delay_alu instid0(VALU_DEP_1) | instskip(SKIP_1) | instid1(VALU_DEP_2)
	v_pk_fma_f32 v[30:31], v[24:25], v[22:23], v[28:29] op_sel_hi:[1,0,1]
	v_pk_fma_f32 v[22:23], v[24:25], v[22:23], v[28:29] neg_lo:[0,0,1] neg_hi:[0,0,1]
	v_mov_b32_e32 v23, v31
	s_wait_dscnt 0x0
	s_delay_alu instid0(VALU_DEP_1)
	v_pk_add_f32 v[22:23], v[26:27], v[22:23] neg_lo:[0,1] neg_hi:[0,1]
	ds_store_b64 v7, v[22:23]
	v_add_nc_u32_e32 v7, s24, v7
	s_cbranch_scc0 .LBB101_44
	s_branch .LBB101_41
.LBB101_45:                             ;   in Loop: Header=BB101_9 Depth=1
	s_branch .LBB101_24
.LBB101_46:
	s_and_saveexec_b32 s1, s0
	s_cbranch_execz .LBB101_52
; %bb.47:
	v_mul_lo_u32 v2, s16, v8
	v_mad_u32 v0, s20, v8, v1
	s_lshl_b32 s1, s20, 1
	s_mov_b32 s2, 0
	s_lshl_b32 s3, s16, 4
	v_cmp_gt_i32_e32 vcc_lo, s17, v8
	s_delay_alu instid0(VALU_DEP_3) | instskip(NEXT) | instid1(VALU_DEP_1)
	v_lshlrev_b32_e32 v2, 3, v2
	v_add3_u32 v2, v2, v9, 0
	s_branch .LBB101_49
.LBB101_48:                             ;   in Loop: Header=BB101_49 Depth=1
	s_or_b32 exec_lo, exec_lo, s4
	v_add_nc_u32_e32 v1, 0x80, v1
	v_add_nc_u32_e32 v0, 0x80, v0
	;; [unrolled: 1-line block ×3, first 2 shown]
	s_delay_alu instid0(VALU_DEP_3) | instskip(SKIP_1) | instid1(SALU_CYCLE_1)
	v_cmp_le_i32_e64 s0, s16, v1
	s_or_b32 s2, s0, s2
	s_and_not1_b32 exec_lo, exec_lo, s2
	s_cbranch_execz .LBB101_52
.LBB101_49:                             ; =>This Loop Header: Depth=1
                                        ;     Child Loop BB101_51 Depth 2
	s_and_saveexec_b32 s4, vcc_lo
	s_cbranch_execz .LBB101_48
; %bb.50:                               ;   in Loop: Header=BB101_49 Depth=1
	s_delay_alu instid0(VALU_DEP_1)
	v_dual_mov_b32 v3, v2 :: v_dual_mov_b32 v4, v0
	v_mov_b32_e32 v5, v8
	s_mov_b32 s5, 0
.LBB101_51:                             ;   Parent Loop BB101_49 Depth=1
                                        ; =>  This Inner Loop Header: Depth=2
	ds_load_b64 v[6:7], v3
	v_dual_add_nc_u32 v5, 2, v5 :: v_dual_add_nc_u32 v3, s3, v3
	s_delay_alu instid0(VALU_DEP_1)
	v_cmp_le_i32_e64 s0, s17, v5
	s_or_b32 s5, s0, s5
	s_wait_dscnt 0x0
	global_store_b64 v4, v[6:7], s[12:13] scale_offset
	s_wait_xcnt 0x0
	v_add_nc_u32_e32 v4, s1, v4
	s_and_not1_b32 exec_lo, exec_lo, s5
	s_cbranch_execnz .LBB101_51
	s_branch .LBB101_48
.LBB101_52:
	s_endpgm
	.section	.rodata,"a",@progbits
	.p2align	6, 0x0
	.amdhsa_kernel _ZN9rocsolver6v33100L18geqr2_kernel_smallILi256E19rocblas_complex_numIfEifPS3_EEvT1_S5_T3_lS5_lPT2_lPT0_l
		.amdhsa_group_segment_fixed_size 0
		.amdhsa_private_segment_fixed_size 0
		.amdhsa_kernarg_size 72
		.amdhsa_user_sgpr_count 2
		.amdhsa_user_sgpr_dispatch_ptr 0
		.amdhsa_user_sgpr_queue_ptr 0
		.amdhsa_user_sgpr_kernarg_segment_ptr 1
		.amdhsa_user_sgpr_dispatch_id 0
		.amdhsa_user_sgpr_kernarg_preload_length 0
		.amdhsa_user_sgpr_kernarg_preload_offset 0
		.amdhsa_user_sgpr_private_segment_size 0
		.amdhsa_wavefront_size32 1
		.amdhsa_uses_dynamic_stack 0
		.amdhsa_enable_private_segment 0
		.amdhsa_system_sgpr_workgroup_id_x 1
		.amdhsa_system_sgpr_workgroup_id_y 0
		.amdhsa_system_sgpr_workgroup_id_z 1
		.amdhsa_system_sgpr_workgroup_info 0
		.amdhsa_system_vgpr_workitem_id 0
		.amdhsa_next_free_vgpr 44
		.amdhsa_next_free_sgpr 37
		.amdhsa_named_barrier_count 0
		.amdhsa_reserve_vcc 1
		.amdhsa_float_round_mode_32 0
		.amdhsa_float_round_mode_16_64 0
		.amdhsa_float_denorm_mode_32 3
		.amdhsa_float_denorm_mode_16_64 3
		.amdhsa_fp16_overflow 0
		.amdhsa_memory_ordered 1
		.amdhsa_forward_progress 1
		.amdhsa_inst_pref_size 24
		.amdhsa_round_robin_scheduling 0
		.amdhsa_exception_fp_ieee_invalid_op 0
		.amdhsa_exception_fp_denorm_src 0
		.amdhsa_exception_fp_ieee_div_zero 0
		.amdhsa_exception_fp_ieee_overflow 0
		.amdhsa_exception_fp_ieee_underflow 0
		.amdhsa_exception_fp_ieee_inexact 0
		.amdhsa_exception_int_div_zero 0
	.end_amdhsa_kernel
	.section	.text._ZN9rocsolver6v33100L18geqr2_kernel_smallILi256E19rocblas_complex_numIfEifPS3_EEvT1_S5_T3_lS5_lPT2_lPT0_l,"axG",@progbits,_ZN9rocsolver6v33100L18geqr2_kernel_smallILi256E19rocblas_complex_numIfEifPS3_EEvT1_S5_T3_lS5_lPT2_lPT0_l,comdat
.Lfunc_end101:
	.size	_ZN9rocsolver6v33100L18geqr2_kernel_smallILi256E19rocblas_complex_numIfEifPS3_EEvT1_S5_T3_lS5_lPT2_lPT0_l, .Lfunc_end101-_ZN9rocsolver6v33100L18geqr2_kernel_smallILi256E19rocblas_complex_numIfEifPS3_EEvT1_S5_T3_lS5_lPT2_lPT0_l
                                        ; -- End function
	.set _ZN9rocsolver6v33100L18geqr2_kernel_smallILi256E19rocblas_complex_numIfEifPS3_EEvT1_S5_T3_lS5_lPT2_lPT0_l.num_vgpr, 44
	.set _ZN9rocsolver6v33100L18geqr2_kernel_smallILi256E19rocblas_complex_numIfEifPS3_EEvT1_S5_T3_lS5_lPT2_lPT0_l.num_agpr, 0
	.set _ZN9rocsolver6v33100L18geqr2_kernel_smallILi256E19rocblas_complex_numIfEifPS3_EEvT1_S5_T3_lS5_lPT2_lPT0_l.numbered_sgpr, 37
	.set _ZN9rocsolver6v33100L18geqr2_kernel_smallILi256E19rocblas_complex_numIfEifPS3_EEvT1_S5_T3_lS5_lPT2_lPT0_l.num_named_barrier, 0
	.set _ZN9rocsolver6v33100L18geqr2_kernel_smallILi256E19rocblas_complex_numIfEifPS3_EEvT1_S5_T3_lS5_lPT2_lPT0_l.private_seg_size, 0
	.set _ZN9rocsolver6v33100L18geqr2_kernel_smallILi256E19rocblas_complex_numIfEifPS3_EEvT1_S5_T3_lS5_lPT2_lPT0_l.uses_vcc, 1
	.set _ZN9rocsolver6v33100L18geqr2_kernel_smallILi256E19rocblas_complex_numIfEifPS3_EEvT1_S5_T3_lS5_lPT2_lPT0_l.uses_flat_scratch, 0
	.set _ZN9rocsolver6v33100L18geqr2_kernel_smallILi256E19rocblas_complex_numIfEifPS3_EEvT1_S5_T3_lS5_lPT2_lPT0_l.has_dyn_sized_stack, 0
	.set _ZN9rocsolver6v33100L18geqr2_kernel_smallILi256E19rocblas_complex_numIfEifPS3_EEvT1_S5_T3_lS5_lPT2_lPT0_l.has_recursion, 0
	.set _ZN9rocsolver6v33100L18geqr2_kernel_smallILi256E19rocblas_complex_numIfEifPS3_EEvT1_S5_T3_lS5_lPT2_lPT0_l.has_indirect_call, 0
	.section	.AMDGPU.csdata,"",@progbits
; Kernel info:
; codeLenInByte = 2980
; TotalNumSgprs: 39
; NumVgprs: 44
; ScratchSize: 0
; MemoryBound: 0
; FloatMode: 240
; IeeeMode: 1
; LDSByteSize: 0 bytes/workgroup (compile time only)
; SGPRBlocks: 0
; VGPRBlocks: 2
; NumSGPRsForWavesPerEU: 39
; NumVGPRsForWavesPerEU: 44
; NamedBarCnt: 0
; Occupancy: 16
; WaveLimiterHint : 0
; COMPUTE_PGM_RSRC2:SCRATCH_EN: 0
; COMPUTE_PGM_RSRC2:USER_SGPR: 2
; COMPUTE_PGM_RSRC2:TRAP_HANDLER: 0
; COMPUTE_PGM_RSRC2:TGID_X_EN: 1
; COMPUTE_PGM_RSRC2:TGID_Y_EN: 0
; COMPUTE_PGM_RSRC2:TGID_Z_EN: 1
; COMPUTE_PGM_RSRC2:TIDIG_COMP_CNT: 0
	.section	.text._ZN9rocsolver6v33100L16reset_batch_infoI19rocblas_complex_numIfEiiPS3_EEvT2_lT0_T1_,"axG",@progbits,_ZN9rocsolver6v33100L16reset_batch_infoI19rocblas_complex_numIfEiiPS3_EEvT2_lT0_T1_,comdat
	.globl	_ZN9rocsolver6v33100L16reset_batch_infoI19rocblas_complex_numIfEiiPS3_EEvT2_lT0_T1_ ; -- Begin function _ZN9rocsolver6v33100L16reset_batch_infoI19rocblas_complex_numIfEiiPS3_EEvT2_lT0_T1_
	.p2align	8
	.type	_ZN9rocsolver6v33100L16reset_batch_infoI19rocblas_complex_numIfEiiPS3_EEvT2_lT0_T1_,@function
_ZN9rocsolver6v33100L16reset_batch_infoI19rocblas_complex_numIfEiiPS3_EEvT2_lT0_T1_: ; @_ZN9rocsolver6v33100L16reset_batch_infoI19rocblas_complex_numIfEiiPS3_EEvT2_lT0_T1_
; %bb.0:
	s_clause 0x1
	s_load_b32 s5, s[0:1], 0x24
	s_load_b64 s[2:3], s[0:1], 0x10
	s_bfe_u32 s4, ttmp6, 0x4000c
	s_and_b32 s6, ttmp6, 15
	s_add_co_i32 s7, s4, 1
	s_getreg_b32 s4, hwreg(HW_REG_IB_STS2, 6, 4)
	s_mul_i32 s7, ttmp9, s7
	s_delay_alu instid0(SALU_CYCLE_1) | instskip(SKIP_4) | instid1(SALU_CYCLE_1)
	s_add_co_i32 s6, s6, s7
	s_wait_kmcnt 0x0
	s_and_b32 s5, s5, 0xffff
	s_cmp_eq_u32 s4, 0
	s_cselect_b32 s6, ttmp9, s6
	v_mad_u32 v0, s6, s5, v0
	s_delay_alu instid0(VALU_DEP_1)
	v_cmp_gt_i32_e32 vcc_lo, s2, v0
	s_and_saveexec_b32 s2, vcc_lo
	s_cbranch_execz .LBB102_2
; %bb.1:
	s_load_b128 s[8:11], s[0:1], 0x0
	s_wait_xcnt 0x0
	s_bfe_u32 s0, ttmp6, 0x40010
	s_bfe_u32 s1, ttmp6, 0x40004
	s_add_co_i32 s0, s0, 1
	s_cvt_f32_i32 s2, s3
	s_mul_i32 s0, ttmp7, s0
	v_mov_b32_e32 v3, 0
	s_add_co_i32 s1, s1, s0
	s_cmp_eq_u32 s4, 0
	v_mov_b32_e32 v2, s2
	s_cselect_b32 s0, ttmp7, s1
	s_delay_alu instid0(SALU_CYCLE_1) | instskip(SKIP_2) | instid1(SALU_CYCLE_1)
	s_ashr_i32 s1, s0, 31
	s_wait_kmcnt 0x0
	s_mul_u64 s[0:1], s[10:11], s[0:1]
	s_lshl_b64 s[0:1], s[0:1], 3
	s_delay_alu instid0(SALU_CYCLE_1)
	s_add_nc_u64 s[0:1], s[8:9], s[0:1]
	global_store_b64 v0, v[2:3], s[0:1] scale_offset
.LBB102_2:
	s_endpgm
	.section	.rodata,"a",@progbits
	.p2align	6, 0x0
	.amdhsa_kernel _ZN9rocsolver6v33100L16reset_batch_infoI19rocblas_complex_numIfEiiPS3_EEvT2_lT0_T1_
		.amdhsa_group_segment_fixed_size 0
		.amdhsa_private_segment_fixed_size 0
		.amdhsa_kernarg_size 280
		.amdhsa_user_sgpr_count 2
		.amdhsa_user_sgpr_dispatch_ptr 0
		.amdhsa_user_sgpr_queue_ptr 0
		.amdhsa_user_sgpr_kernarg_segment_ptr 1
		.amdhsa_user_sgpr_dispatch_id 0
		.amdhsa_user_sgpr_kernarg_preload_length 0
		.amdhsa_user_sgpr_kernarg_preload_offset 0
		.amdhsa_user_sgpr_private_segment_size 0
		.amdhsa_wavefront_size32 1
		.amdhsa_uses_dynamic_stack 0
		.amdhsa_enable_private_segment 0
		.amdhsa_system_sgpr_workgroup_id_x 1
		.amdhsa_system_sgpr_workgroup_id_y 1
		.amdhsa_system_sgpr_workgroup_id_z 0
		.amdhsa_system_sgpr_workgroup_info 0
		.amdhsa_system_vgpr_workitem_id 0
		.amdhsa_next_free_vgpr 4
		.amdhsa_next_free_sgpr 12
		.amdhsa_named_barrier_count 0
		.amdhsa_reserve_vcc 1
		.amdhsa_float_round_mode_32 0
		.amdhsa_float_round_mode_16_64 0
		.amdhsa_float_denorm_mode_32 3
		.amdhsa_float_denorm_mode_16_64 3
		.amdhsa_fp16_overflow 0
		.amdhsa_memory_ordered 1
		.amdhsa_forward_progress 1
		.amdhsa_inst_pref_size 2
		.amdhsa_round_robin_scheduling 0
		.amdhsa_exception_fp_ieee_invalid_op 0
		.amdhsa_exception_fp_denorm_src 0
		.amdhsa_exception_fp_ieee_div_zero 0
		.amdhsa_exception_fp_ieee_overflow 0
		.amdhsa_exception_fp_ieee_underflow 0
		.amdhsa_exception_fp_ieee_inexact 0
		.amdhsa_exception_int_div_zero 0
	.end_amdhsa_kernel
	.section	.text._ZN9rocsolver6v33100L16reset_batch_infoI19rocblas_complex_numIfEiiPS3_EEvT2_lT0_T1_,"axG",@progbits,_ZN9rocsolver6v33100L16reset_batch_infoI19rocblas_complex_numIfEiiPS3_EEvT2_lT0_T1_,comdat
.Lfunc_end102:
	.size	_ZN9rocsolver6v33100L16reset_batch_infoI19rocblas_complex_numIfEiiPS3_EEvT2_lT0_T1_, .Lfunc_end102-_ZN9rocsolver6v33100L16reset_batch_infoI19rocblas_complex_numIfEiiPS3_EEvT2_lT0_T1_
                                        ; -- End function
	.set _ZN9rocsolver6v33100L16reset_batch_infoI19rocblas_complex_numIfEiiPS3_EEvT2_lT0_T1_.num_vgpr, 4
	.set _ZN9rocsolver6v33100L16reset_batch_infoI19rocblas_complex_numIfEiiPS3_EEvT2_lT0_T1_.num_agpr, 0
	.set _ZN9rocsolver6v33100L16reset_batch_infoI19rocblas_complex_numIfEiiPS3_EEvT2_lT0_T1_.numbered_sgpr, 12
	.set _ZN9rocsolver6v33100L16reset_batch_infoI19rocblas_complex_numIfEiiPS3_EEvT2_lT0_T1_.num_named_barrier, 0
	.set _ZN9rocsolver6v33100L16reset_batch_infoI19rocblas_complex_numIfEiiPS3_EEvT2_lT0_T1_.private_seg_size, 0
	.set _ZN9rocsolver6v33100L16reset_batch_infoI19rocblas_complex_numIfEiiPS3_EEvT2_lT0_T1_.uses_vcc, 1
	.set _ZN9rocsolver6v33100L16reset_batch_infoI19rocblas_complex_numIfEiiPS3_EEvT2_lT0_T1_.uses_flat_scratch, 0
	.set _ZN9rocsolver6v33100L16reset_batch_infoI19rocblas_complex_numIfEiiPS3_EEvT2_lT0_T1_.has_dyn_sized_stack, 0
	.set _ZN9rocsolver6v33100L16reset_batch_infoI19rocblas_complex_numIfEiiPS3_EEvT2_lT0_T1_.has_recursion, 0
	.set _ZN9rocsolver6v33100L16reset_batch_infoI19rocblas_complex_numIfEiiPS3_EEvT2_lT0_T1_.has_indirect_call, 0
	.section	.AMDGPU.csdata,"",@progbits
; Kernel info:
; codeLenInByte = 200
; TotalNumSgprs: 14
; NumVgprs: 4
; ScratchSize: 0
; MemoryBound: 0
; FloatMode: 240
; IeeeMode: 1
; LDSByteSize: 0 bytes/workgroup (compile time only)
; SGPRBlocks: 0
; VGPRBlocks: 0
; NumSGPRsForWavesPerEU: 14
; NumVGPRsForWavesPerEU: 4
; NamedBarCnt: 0
; Occupancy: 16
; WaveLimiterHint : 0
; COMPUTE_PGM_RSRC2:SCRATCH_EN: 0
; COMPUTE_PGM_RSRC2:USER_SGPR: 2
; COMPUTE_PGM_RSRC2:TRAP_HANDLER: 0
; COMPUTE_PGM_RSRC2:TGID_X_EN: 1
; COMPUTE_PGM_RSRC2:TGID_Y_EN: 1
; COMPUTE_PGM_RSRC2:TGID_Z_EN: 0
; COMPUTE_PGM_RSRC2:TIDIG_COMP_CNT: 0
	.section	.text._ZN9rocsolver6v33100L8set_diagI19rocblas_complex_numIfEifPS3_TnNSt9enable_ifIXaa18rocblas_is_complexIT_Ent18rocblas_is_complexIT1_EEiE4typeELi0EEEvPS7_llT2_lT0_lSC_b,"axG",@progbits,_ZN9rocsolver6v33100L8set_diagI19rocblas_complex_numIfEifPS3_TnNSt9enable_ifIXaa18rocblas_is_complexIT_Ent18rocblas_is_complexIT1_EEiE4typeELi0EEEvPS7_llT2_lT0_lSC_b,comdat
	.globl	_ZN9rocsolver6v33100L8set_diagI19rocblas_complex_numIfEifPS3_TnNSt9enable_ifIXaa18rocblas_is_complexIT_Ent18rocblas_is_complexIT1_EEiE4typeELi0EEEvPS7_llT2_lT0_lSC_b ; -- Begin function _ZN9rocsolver6v33100L8set_diagI19rocblas_complex_numIfEifPS3_TnNSt9enable_ifIXaa18rocblas_is_complexIT_Ent18rocblas_is_complexIT1_EEiE4typeELi0EEEvPS7_llT2_lT0_lSC_b
	.p2align	8
	.type	_ZN9rocsolver6v33100L8set_diagI19rocblas_complex_numIfEifPS3_TnNSt9enable_ifIXaa18rocblas_is_complexIT_Ent18rocblas_is_complexIT1_EEiE4typeELi0EEEvPS7_llT2_lT0_lSC_b,@function
_ZN9rocsolver6v33100L8set_diagI19rocblas_complex_numIfEifPS3_TnNSt9enable_ifIXaa18rocblas_is_complexIT_Ent18rocblas_is_complexIT1_EEiE4typeELi0EEEvPS7_llT2_lT0_lSC_b: ; @_ZN9rocsolver6v33100L8set_diagI19rocblas_complex_numIfEifPS3_TnNSt9enable_ifIXaa18rocblas_is_complexIT_Ent18rocblas_is_complexIT1_EEiE4typeELi0EEEvPS7_llT2_lT0_lSC_b
; %bb.0:
	s_load_u16 s4, s[0:1], 0x4e
	s_bfe_u32 s2, ttmp6, 0x40010
	s_bfe_u32 s6, ttmp6, 0x40004
	s_add_co_i32 s5, s2, 1
	s_load_b64 s[2:3], s[0:1], 0x38
	s_mul_i32 s5, ttmp7, s5
	s_getreg_b32 s12, hwreg(HW_REG_IB_STS2, 6, 4)
	s_add_co_i32 s6, s6, s5
	v_bfe_u32 v0, v0, 10, 10
	s_cmp_eq_u32 s12, 0
	s_cselect_b32 s5, ttmp7, s6
	s_wait_kmcnt 0x0
	s_delay_alu instid0(VALU_DEP_1) | instskip(NEXT) | instid1(VALU_DEP_1)
	v_mad_u32 v3, s5, s4, v0
	v_cmp_gt_i32_e32 vcc_lo, s2, v3
	s_and_saveexec_b32 s2, vcc_lo
	s_cbranch_execz .LBB103_5
; %bb.1:
	s_clause 0x2
	s_load_b96 s[16:18], s[0:1], 0x20
	s_load_b64 s[14:15], s[0:1], 0x30
	s_load_b256 s[4:11], s[0:1], 0x0
	s_bitcmp1_b32 s3, 0
	s_cselect_b32 s19, -1, 0
	s_wait_xcnt 0x0
	s_bfe_u32 s0, ttmp6, 0x4000c
	s_and_b32 s1, ttmp6, 15
	s_add_co_i32 s0, s0, 1
	s_delay_alu instid0(SALU_CYCLE_1) | instskip(NEXT) | instid1(SALU_CYCLE_1)
	s_mul_i32 s0, ttmp9, s0
	s_add_co_i32 s1, s1, s0
	s_cmp_eq_u32 s12, 0
	s_cselect_b32 s0, ttmp9, s1
	s_and_b32 vcc_lo, exec_lo, s19
	s_ashr_i32 s1, s0, 31
	s_wait_kmcnt 0x0
	v_mad_u32 v0, v3, s18, v3
	s_mul_u64 s[2:3], s[14:15], s[0:1]
	s_lshl_b64 s[12:13], s[16:17], 3
	s_lshl_b64 s[2:3], s[2:3], 3
	s_mul_u64 s[0:1], s[8:9], s[0:1]
	s_add_nc_u64 s[2:3], s[10:11], s[2:3]
	s_lshl_b64 s[0:1], s[0:1], 2
	s_add_nc_u64 s[2:3], s[2:3], s[12:13]
	s_add_nc_u64 s[0:1], s[4:5], s[0:1]
	s_delay_alu instid0(VALU_DEP_1) | instskip(NEXT) | instid1(VALU_DEP_1)
	v_ashrrev_i32_e32 v1, 31, v0
	v_lshl_add_u64 v[0:1], v[0:1], 3, s[2:3]
	s_lshl_b64 s[2:3], s[6:7], 2
	s_delay_alu instid0(SALU_CYCLE_1)
	s_add_nc_u64 s[0:1], s[0:1], s[2:3]
	global_load_b32 v2, v[0:1], off
	s_wait_loadcnt 0x0
	global_store_b32 v3, v2, s[0:1] scale_offset
	s_cbranch_vccnz .LBB103_3
; %bb.2:
	global_load_b32 v3, v[0:1], off offset:4
	s_branch .LBB103_4
.LBB103_3:
	s_wait_xcnt 0x0
	v_dual_mov_b32 v3, 0 :: v_dual_mov_b32 v2, 1.0
.LBB103_4:
	s_wait_loadcnt 0x0
	global_store_b64 v[0:1], v[2:3], off
.LBB103_5:
	s_endpgm
	.section	.rodata,"a",@progbits
	.p2align	6, 0x0
	.amdhsa_kernel _ZN9rocsolver6v33100L8set_diagI19rocblas_complex_numIfEifPS3_TnNSt9enable_ifIXaa18rocblas_is_complexIT_Ent18rocblas_is_complexIT1_EEiE4typeELi0EEEvPS7_llT2_lT0_lSC_b
		.amdhsa_group_segment_fixed_size 0
		.amdhsa_private_segment_fixed_size 0
		.amdhsa_kernarg_size 320
		.amdhsa_user_sgpr_count 2
		.amdhsa_user_sgpr_dispatch_ptr 0
		.amdhsa_user_sgpr_queue_ptr 0
		.amdhsa_user_sgpr_kernarg_segment_ptr 1
		.amdhsa_user_sgpr_dispatch_id 0
		.amdhsa_user_sgpr_kernarg_preload_length 0
		.amdhsa_user_sgpr_kernarg_preload_offset 0
		.amdhsa_user_sgpr_private_segment_size 0
		.amdhsa_wavefront_size32 1
		.amdhsa_uses_dynamic_stack 0
		.amdhsa_enable_private_segment 0
		.amdhsa_system_sgpr_workgroup_id_x 1
		.amdhsa_system_sgpr_workgroup_id_y 1
		.amdhsa_system_sgpr_workgroup_id_z 0
		.amdhsa_system_sgpr_workgroup_info 0
		.amdhsa_system_vgpr_workitem_id 1
		.amdhsa_next_free_vgpr 4
		.amdhsa_next_free_sgpr 20
		.amdhsa_named_barrier_count 0
		.amdhsa_reserve_vcc 1
		.amdhsa_float_round_mode_32 0
		.amdhsa_float_round_mode_16_64 0
		.amdhsa_float_denorm_mode_32 3
		.amdhsa_float_denorm_mode_16_64 3
		.amdhsa_fp16_overflow 0
		.amdhsa_memory_ordered 1
		.amdhsa_forward_progress 1
		.amdhsa_inst_pref_size 3
		.amdhsa_round_robin_scheduling 0
		.amdhsa_exception_fp_ieee_invalid_op 0
		.amdhsa_exception_fp_denorm_src 0
		.amdhsa_exception_fp_ieee_div_zero 0
		.amdhsa_exception_fp_ieee_overflow 0
		.amdhsa_exception_fp_ieee_underflow 0
		.amdhsa_exception_fp_ieee_inexact 0
		.amdhsa_exception_int_div_zero 0
	.end_amdhsa_kernel
	.section	.text._ZN9rocsolver6v33100L8set_diagI19rocblas_complex_numIfEifPS3_TnNSt9enable_ifIXaa18rocblas_is_complexIT_Ent18rocblas_is_complexIT1_EEiE4typeELi0EEEvPS7_llT2_lT0_lSC_b,"axG",@progbits,_ZN9rocsolver6v33100L8set_diagI19rocblas_complex_numIfEifPS3_TnNSt9enable_ifIXaa18rocblas_is_complexIT_Ent18rocblas_is_complexIT1_EEiE4typeELi0EEEvPS7_llT2_lT0_lSC_b,comdat
.Lfunc_end103:
	.size	_ZN9rocsolver6v33100L8set_diagI19rocblas_complex_numIfEifPS3_TnNSt9enable_ifIXaa18rocblas_is_complexIT_Ent18rocblas_is_complexIT1_EEiE4typeELi0EEEvPS7_llT2_lT0_lSC_b, .Lfunc_end103-_ZN9rocsolver6v33100L8set_diagI19rocblas_complex_numIfEifPS3_TnNSt9enable_ifIXaa18rocblas_is_complexIT_Ent18rocblas_is_complexIT1_EEiE4typeELi0EEEvPS7_llT2_lT0_lSC_b
                                        ; -- End function
	.set _ZN9rocsolver6v33100L8set_diagI19rocblas_complex_numIfEifPS3_TnNSt9enable_ifIXaa18rocblas_is_complexIT_Ent18rocblas_is_complexIT1_EEiE4typeELi0EEEvPS7_llT2_lT0_lSC_b.num_vgpr, 4
	.set _ZN9rocsolver6v33100L8set_diagI19rocblas_complex_numIfEifPS3_TnNSt9enable_ifIXaa18rocblas_is_complexIT_Ent18rocblas_is_complexIT1_EEiE4typeELi0EEEvPS7_llT2_lT0_lSC_b.num_agpr, 0
	.set _ZN9rocsolver6v33100L8set_diagI19rocblas_complex_numIfEifPS3_TnNSt9enable_ifIXaa18rocblas_is_complexIT_Ent18rocblas_is_complexIT1_EEiE4typeELi0EEEvPS7_llT2_lT0_lSC_b.numbered_sgpr, 20
	.set _ZN9rocsolver6v33100L8set_diagI19rocblas_complex_numIfEifPS3_TnNSt9enable_ifIXaa18rocblas_is_complexIT_Ent18rocblas_is_complexIT1_EEiE4typeELi0EEEvPS7_llT2_lT0_lSC_b.num_named_barrier, 0
	.set _ZN9rocsolver6v33100L8set_diagI19rocblas_complex_numIfEifPS3_TnNSt9enable_ifIXaa18rocblas_is_complexIT_Ent18rocblas_is_complexIT1_EEiE4typeELi0EEEvPS7_llT2_lT0_lSC_b.private_seg_size, 0
	.set _ZN9rocsolver6v33100L8set_diagI19rocblas_complex_numIfEifPS3_TnNSt9enable_ifIXaa18rocblas_is_complexIT_Ent18rocblas_is_complexIT1_EEiE4typeELi0EEEvPS7_llT2_lT0_lSC_b.uses_vcc, 1
	.set _ZN9rocsolver6v33100L8set_diagI19rocblas_complex_numIfEifPS3_TnNSt9enable_ifIXaa18rocblas_is_complexIT_Ent18rocblas_is_complexIT1_EEiE4typeELi0EEEvPS7_llT2_lT0_lSC_b.uses_flat_scratch, 0
	.set _ZN9rocsolver6v33100L8set_diagI19rocblas_complex_numIfEifPS3_TnNSt9enable_ifIXaa18rocblas_is_complexIT_Ent18rocblas_is_complexIT1_EEiE4typeELi0EEEvPS7_llT2_lT0_lSC_b.has_dyn_sized_stack, 0
	.set _ZN9rocsolver6v33100L8set_diagI19rocblas_complex_numIfEifPS3_TnNSt9enable_ifIXaa18rocblas_is_complexIT_Ent18rocblas_is_complexIT1_EEiE4typeELi0EEEvPS7_llT2_lT0_lSC_b.has_recursion, 0
	.set _ZN9rocsolver6v33100L8set_diagI19rocblas_complex_numIfEifPS3_TnNSt9enable_ifIXaa18rocblas_is_complexIT_Ent18rocblas_is_complexIT1_EEiE4typeELi0EEEvPS7_llT2_lT0_lSC_b.has_indirect_call, 0
	.section	.AMDGPU.csdata,"",@progbits
; Kernel info:
; codeLenInByte = 328
; TotalNumSgprs: 22
; NumVgprs: 4
; ScratchSize: 0
; MemoryBound: 0
; FloatMode: 240
; IeeeMode: 1
; LDSByteSize: 0 bytes/workgroup (compile time only)
; SGPRBlocks: 0
; VGPRBlocks: 0
; NumSGPRsForWavesPerEU: 22
; NumVGPRsForWavesPerEU: 4
; NamedBarCnt: 0
; Occupancy: 16
; WaveLimiterHint : 0
; COMPUTE_PGM_RSRC2:SCRATCH_EN: 0
; COMPUTE_PGM_RSRC2:USER_SGPR: 2
; COMPUTE_PGM_RSRC2:TRAP_HANDLER: 0
; COMPUTE_PGM_RSRC2:TGID_X_EN: 1
; COMPUTE_PGM_RSRC2:TGID_Y_EN: 1
; COMPUTE_PGM_RSRC2:TGID_Z_EN: 0
; COMPUTE_PGM_RSRC2:TIDIG_COMP_CNT: 1
	.section	.text._ZN9rocsolver6v33100L11set_taubetaI19rocblas_complex_numIfEifPS3_EEvPT_lS6_T2_llPT1_ll,"axG",@progbits,_ZN9rocsolver6v33100L11set_taubetaI19rocblas_complex_numIfEifPS3_EEvPT_lS6_T2_llPT1_ll,comdat
	.globl	_ZN9rocsolver6v33100L11set_taubetaI19rocblas_complex_numIfEifPS3_EEvPT_lS6_T2_llPT1_ll ; -- Begin function _ZN9rocsolver6v33100L11set_taubetaI19rocblas_complex_numIfEifPS3_EEvPT_lS6_T2_llPT1_ll
	.p2align	8
	.type	_ZN9rocsolver6v33100L11set_taubetaI19rocblas_complex_numIfEifPS3_EEvPT_lS6_T2_llPT1_ll,@function
_ZN9rocsolver6v33100L11set_taubetaI19rocblas_complex_numIfEifPS3_EEvPT_lS6_T2_llPT1_ll: ; @_ZN9rocsolver6v33100L11set_taubetaI19rocblas_complex_numIfEifPS3_EEvPT_lS6_T2_llPT1_ll
; %bb.0:
	s_load_b512 s[4:19], s[0:1], 0x0
	s_bfe_u32 s2, ttmp6, 0x4000c
	s_and_b32 s3, ttmp6, 15
	s_add_co_i32 s2, s2, 1
	s_getreg_b32 s20, hwreg(HW_REG_IB_STS2, 6, 4)
	s_mul_i32 s2, ttmp9, s2
	s_mov_b32 s22, 0
	s_add_co_i32 s3, s3, s2
	s_cmp_eq_u32 s20, 0
	s_mov_b64 s[20:21], 0
	s_cselect_b32 s2, ttmp9, s3
	s_delay_alu instid0(SALU_CYCLE_1)
	s_ashr_i32 s3, s2, 31
	s_wait_kmcnt 0x0
	s_cmp_eq_u64 s[16:17], 0
	s_cbranch_scc1 .LBB104_2
; %bb.1:
	s_load_b64 s[0:1], s[0:1], 0x40
	s_wait_kmcnt 0x0
	s_mul_u64 s[0:1], s[0:1], s[2:3]
	s_delay_alu instid0(SALU_CYCLE_1) | instskip(NEXT) | instid1(SALU_CYCLE_1)
	s_lshl_b64 s[0:1], s[0:1], 2
	s_add_nc_u64 s[0:1], s[16:17], s[0:1]
	s_lshl_b64 s[16:17], s[18:19], 2
	s_delay_alu instid0(SALU_CYCLE_1)
	s_add_nc_u64 s[20:21], s[0:1], s[16:17]
.LBB104_2:
	s_mul_u64 s[0:1], s[14:15], s[2:3]
	s_lshl_b64 s[14:15], s[2:3], 3
	s_lshl_b64 s[0:1], s[0:1], 3
	;; [unrolled: 1-line block ×3, first 2 shown]
	s_add_nc_u64 s[0:1], s[10:11], s[0:1]
	s_add_nc_u64 s[10:11], s[8:9], s[14:15]
	;; [unrolled: 1-line block ×3, first 2 shown]
	s_load_b32 s0, s[10:11], 0x0
	s_load_b32 s12, s[8:9], 0x4
	s_mul_u64 s[2:3], s[6:7], s[2:3]
	s_mov_b32 s6, -1
	s_lshl_b64 s[2:3], s[2:3], 3
	s_cmp_lg_u64 s[20:21], 0
	s_add_nc_u64 s[4:5], s[4:5], s[2:3]
	s_cselect_b32 s3, -1, 0
	s_mov_b32 s2, 0
	s_wait_kmcnt 0x0
	v_max_num_f32_e64 v0, s0, s0
	s_mul_f32 s1, s12, s12
	s_delay_alu instid0(VALU_DEP_1) | instid1(SALU_CYCLE_3)
	v_max_num_f32_e32 v0, s1, v0
	s_delay_alu instid0(VALU_DEP_1)
	v_cmp_nlt_f32_e32 vcc_lo, 0, v0
	s_cbranch_vccnz .LBB104_6
; %bb.3:
	s_and_b32 vcc_lo, exec_lo, s6
	s_cbranch_vccnz .LBB104_9
.LBB104_4:
	s_and_not1_b32 vcc_lo, exec_lo, s22
	s_cbranch_vccz .LBB104_14
; %bb.5:
	s_endpgm
.LBB104_6:
	v_mov_b64_e32 v[2:3], 0x3f800000
	v_mov_b64_e32 v[4:5], 0
	v_mov_b32_e32 v0, 0
	s_and_b32 vcc_lo, exec_lo, s3
	s_clause 0x1
	global_store_b64 v0, v[2:3], s[10:11]
	global_store_b64 v0, v[4:5], s[4:5]
	s_cbranch_vccz .LBB104_8
; %bb.7:
	global_load_b32 v1, v0, s[8:9]
	s_wait_xcnt 0x2
	v_mov_b32_e32 v2, 1.0
	s_mov_b32 s2, -1
	s_wait_loadcnt 0x0
	s_clause 0x1
	global_store_b32 v0, v1, s[20:21]
	global_store_b32 v0, v2, s[8:9]
.LBB104_8:
	s_mov_b32 s22, s2
	s_branch .LBB104_4
.LBB104_9:
	s_wait_xcnt 0x0
	v_mov_b32_e32 v0, 0
	s_mov_b32 s6, s1
	global_load_b32 v2, v0, s[8:9]
	s_wait_loadcnt 0x0
	v_readfirstlane_b32 s2, v2
	v_cmp_le_f32_e32 vcc_lo, 0, v2
	s_fmac_f32 s6, s2, s2
	s_delay_alu instid0(SALU_CYCLE_3) | instskip(NEXT) | instid1(SALU_CYCLE_3)
	s_add_f32 s0, s0, s6
	s_mul_f32 s2, s0, 0x4f800000
	s_cmp_lt_f32 s0, 0xf800000
	s_delay_alu instid0(SALU_CYCLE_2) | instskip(NEXT) | instid1(SALU_CYCLE_1)
	s_cselect_b32 s2, s2, s0
	v_s_sqrt_f32 s6, s2
	s_mov_b32 s13, s2
	s_delay_alu instid0(TRANS32_DEP_1) | instskip(NEXT) | instid1(SALU_CYCLE_1)
	s_add_co_i32 s7, s6, -1
	s_xor_b32 s14, s7, 0x80000000
	s_delay_alu instid0(SALU_CYCLE_1) | instskip(SKIP_1) | instid1(SALU_CYCLE_2)
	s_fmac_f32 s13, s14, s6
	s_mov_b32 s14, s2
	s_cmp_le_f32 s13, 0
	s_cselect_b32 s7, s7, s6
	s_add_co_i32 s13, s6, 1
	s_delay_alu instid0(SALU_CYCLE_1) | instskip(NEXT) | instid1(SALU_CYCLE_1)
	s_xor_b32 s15, s13, 0x80000000
	s_fmac_f32 s14, s15, s6
	v_cmp_class_f32_e64 s6, s2, 0x260
	s_delay_alu instid0(SALU_CYCLE_2) | instskip(SKIP_3) | instid1(SALU_CYCLE_3)
	s_cmp_gt_f32 s14, 0
	s_cselect_b32 s7, s13, s7
	s_cmp_lt_f32 s0, 0xf800000
	s_mul_f32 s0, s7, 0x37800000
	s_cselect_b32 s0, s0, s7
	s_and_b32 s6, s6, exec_lo
	s_cselect_b32 s0, s2, s0
	s_delay_alu instid0(SALU_CYCLE_1) | instskip(NEXT) | instid1(SALU_CYCLE_1)
	s_xor_b32 s2, s0, 0x80000000
	v_mov_b32_e32 v1, s2
	s_delay_alu instid0(VALU_DEP_1) | instskip(NEXT) | instid1(VALU_DEP_1)
	v_cndmask_b32_e32 v1, s0, v1, vcc_lo
	v_dual_sub_f32 v3, v2, v1 :: v_dual_sub_f32 v4, v1, v2
	v_div_scale_f32 v2, null, v1, v1, -s12
	s_delay_alu instid0(VALU_DEP_2) | instskip(NEXT) | instid1(VALU_DEP_2)
	v_fma_f32 v6, v3, v3, s1
	v_xor_b32_e32 v9, 0x80000000, v2
	v_rcp_f32_e32 v2, v2
	s_delay_alu instid0(VALU_DEP_2) | instskip(SKIP_2) | instid1(TRANS32_DEP_1)
	v_div_scale_f32 v10, null, v6, v6, v3
	v_div_scale_f32 v11, null, v6, v6, -s12
	v_div_scale_f32 v20, s2, -s12, v6, -s12
	v_fma_f32 v16, v9, v2, 1.0
	s_delay_alu instid0(VALU_DEP_4)
	v_xor_b32_e32 v13, 0x80000000, v10
	v_rcp_f32_e32 v10, v10
	v_rcp_f32_e32 v14, v11
	v_nop
	v_xor_b32_e32 v11, 0x80000000, v11
	v_fmac_f32_e32 v2, v16, v2
	v_div_scale_f32 v7, null, v1, v1, v4
	v_div_scale_f32 v8, s1, v4, v1, v4
	v_fma_f32 v18, v13, v10, 1.0
	s_delay_alu instid0(VALU_DEP_3) | instskip(SKIP_4) | instid1(TRANS32_DEP_1)
	v_xor_b32_e32 v12, 0x80000000, v7
	v_rcp_f32_e32 v7, v7
	v_fma_f32 v19, v11, v14, 1.0
	v_div_scale_f32 v5, s0, -s12, v1, -s12
	v_div_scale_f32 v15, vcc_lo, v3, v6, v3
	v_fma_f32 v17, v12, v7, 1.0
	s_delay_alu instid0(VALU_DEP_1) | instskip(NEXT) | instid1(VALU_DEP_1)
	v_dual_fmac_f32 v10, v18, v10 :: v_dual_fmac_f32 v7, v17, v7
	v_dual_fmac_f32 v14, v19, v14 :: v_dual_mul_f32 v18, v8, v7
	s_delay_alu instid0(VALU_DEP_1) | instskip(NEXT) | instid1(VALU_DEP_1)
	v_mul_f32_e32 v19, v20, v14
	v_dual_mul_f32 v16, v5, v2 :: v_dual_fma_f32 v24, v11, v19, v20
	s_delay_alu instid0(VALU_DEP_1) | instskip(NEXT) | instid1(VALU_DEP_1)
	v_dual_mul_f32 v17, v15, v10 :: v_dual_fma_f32 v21, v9, v16, v5
	v_fma_f32 v22, v13, v17, v15
	s_delay_alu instid0(VALU_DEP_2) | instskip(SKIP_2) | instid1(VALU_DEP_4)
	v_fmac_f32_e32 v16, v21, v2
	v_fma_f32 v23, v12, v18, v8
	v_fmac_f32_e32 v19, v24, v14
	v_fmac_f32_e32 v17, v22, v10
	s_delay_alu instid0(VALU_DEP_3) | instskip(NEXT) | instid1(VALU_DEP_2)
	v_dual_fmac_f32 v5, v9, v16 :: v_dual_fmac_f32 v18, v23, v7
	v_dual_fmac_f32 v20, v11, v19 :: v_dual_fmac_f32 v15, v13, v17
	s_delay_alu instid0(VALU_DEP_2) | instskip(NEXT) | instid1(VALU_DEP_2)
	v_fmac_f32_e32 v8, v12, v18
	v_div_fmas_f32 v9, v15, v10, v17
	s_mov_b32 vcc_lo, s2
	s_delay_alu instid0(VALU_DEP_3)
	v_div_fmas_f32 v10, v20, v14, v19
	s_mov_b32 vcc_lo, s1
	v_div_fmas_f32 v7, v8, v7, v18
	s_mov_b32 vcc_lo, s0
	s_mov_b32 s0, -1
	v_div_fmas_f32 v5, v5, v2, v16
	v_div_fixup_f32 v2, v9, v6, v3
	v_div_fixup_f32 v3, v10, v6, -s12
	v_div_fixup_f32 v4, v7, v1, v4
	s_and_b32 vcc_lo, exec_lo, s3
	v_div_fixup_f32 v5, v5, v1, -s12
	s_clause 0x1
	global_store_b64 v0, v[2:3], s[10:11]
	global_store_b64 v0, v[4:5], s[4:5]
	s_cbranch_vccz .LBB104_11
; %bb.10:
	s_wait_xcnt 0x1
	v_mov_b32_e32 v2, 1.0
	global_store_b32 v0, v1, s[20:21]
	s_mov_b32 s0, 0
	global_store_b32 v0, v2, s[8:9]
.LBB104_11:
	s_and_not1_b32 vcc_lo, exec_lo, s0
	s_cbranch_vccnz .LBB104_13
; %bb.12:
	s_wait_xcnt 0x0
	v_mov_b32_e32 v0, 0
	global_store_b32 v0, v1, s[8:9]
.LBB104_13:
.LBB104_14:
	s_wait_xcnt 0x0
	v_mov_b32_e32 v0, 0
	global_store_b32 v0, v0, s[8:9] offset:4
	s_endpgm
	.section	.rodata,"a",@progbits
	.p2align	6, 0x0
	.amdhsa_kernel _ZN9rocsolver6v33100L11set_taubetaI19rocblas_complex_numIfEifPS3_EEvPT_lS6_T2_llPT1_ll
		.amdhsa_group_segment_fixed_size 0
		.amdhsa_private_segment_fixed_size 0
		.amdhsa_kernarg_size 72
		.amdhsa_user_sgpr_count 2
		.amdhsa_user_sgpr_dispatch_ptr 0
		.amdhsa_user_sgpr_queue_ptr 0
		.amdhsa_user_sgpr_kernarg_segment_ptr 1
		.amdhsa_user_sgpr_dispatch_id 0
		.amdhsa_user_sgpr_kernarg_preload_length 0
		.amdhsa_user_sgpr_kernarg_preload_offset 0
		.amdhsa_user_sgpr_private_segment_size 0
		.amdhsa_wavefront_size32 1
		.amdhsa_uses_dynamic_stack 0
		.amdhsa_enable_private_segment 0
		.amdhsa_system_sgpr_workgroup_id_x 1
		.amdhsa_system_sgpr_workgroup_id_y 0
		.amdhsa_system_sgpr_workgroup_id_z 0
		.amdhsa_system_sgpr_workgroup_info 0
		.amdhsa_system_vgpr_workitem_id 0
		.amdhsa_next_free_vgpr 25
		.amdhsa_next_free_sgpr 23
		.amdhsa_named_barrier_count 0
		.amdhsa_reserve_vcc 1
		.amdhsa_float_round_mode_32 0
		.amdhsa_float_round_mode_16_64 0
		.amdhsa_float_denorm_mode_32 3
		.amdhsa_float_denorm_mode_16_64 3
		.amdhsa_fp16_overflow 0
		.amdhsa_memory_ordered 1
		.amdhsa_forward_progress 1
		.amdhsa_inst_pref_size 9
		.amdhsa_round_robin_scheduling 0
		.amdhsa_exception_fp_ieee_invalid_op 0
		.amdhsa_exception_fp_denorm_src 0
		.amdhsa_exception_fp_ieee_div_zero 0
		.amdhsa_exception_fp_ieee_overflow 0
		.amdhsa_exception_fp_ieee_underflow 0
		.amdhsa_exception_fp_ieee_inexact 0
		.amdhsa_exception_int_div_zero 0
	.end_amdhsa_kernel
	.section	.text._ZN9rocsolver6v33100L11set_taubetaI19rocblas_complex_numIfEifPS3_EEvPT_lS6_T2_llPT1_ll,"axG",@progbits,_ZN9rocsolver6v33100L11set_taubetaI19rocblas_complex_numIfEifPS3_EEvPT_lS6_T2_llPT1_ll,comdat
.Lfunc_end104:
	.size	_ZN9rocsolver6v33100L11set_taubetaI19rocblas_complex_numIfEifPS3_EEvPT_lS6_T2_llPT1_ll, .Lfunc_end104-_ZN9rocsolver6v33100L11set_taubetaI19rocblas_complex_numIfEifPS3_EEvPT_lS6_T2_llPT1_ll
                                        ; -- End function
	.set _ZN9rocsolver6v33100L11set_taubetaI19rocblas_complex_numIfEifPS3_EEvPT_lS6_T2_llPT1_ll.num_vgpr, 25
	.set _ZN9rocsolver6v33100L11set_taubetaI19rocblas_complex_numIfEifPS3_EEvPT_lS6_T2_llPT1_ll.num_agpr, 0
	.set _ZN9rocsolver6v33100L11set_taubetaI19rocblas_complex_numIfEifPS3_EEvPT_lS6_T2_llPT1_ll.numbered_sgpr, 23
	.set _ZN9rocsolver6v33100L11set_taubetaI19rocblas_complex_numIfEifPS3_EEvPT_lS6_T2_llPT1_ll.num_named_barrier, 0
	.set _ZN9rocsolver6v33100L11set_taubetaI19rocblas_complex_numIfEifPS3_EEvPT_lS6_T2_llPT1_ll.private_seg_size, 0
	.set _ZN9rocsolver6v33100L11set_taubetaI19rocblas_complex_numIfEifPS3_EEvPT_lS6_T2_llPT1_ll.uses_vcc, 1
	.set _ZN9rocsolver6v33100L11set_taubetaI19rocblas_complex_numIfEifPS3_EEvPT_lS6_T2_llPT1_ll.uses_flat_scratch, 0
	.set _ZN9rocsolver6v33100L11set_taubetaI19rocblas_complex_numIfEifPS3_EEvPT_lS6_T2_llPT1_ll.has_dyn_sized_stack, 0
	.set _ZN9rocsolver6v33100L11set_taubetaI19rocblas_complex_numIfEifPS3_EEvPT_lS6_T2_llPT1_ll.has_recursion, 0
	.set _ZN9rocsolver6v33100L11set_taubetaI19rocblas_complex_numIfEifPS3_EEvPT_lS6_T2_llPT1_ll.has_indirect_call, 0
	.section	.AMDGPU.csdata,"",@progbits
; Kernel info:
; codeLenInByte = 1084
; TotalNumSgprs: 25
; NumVgprs: 25
; ScratchSize: 0
; MemoryBound: 0
; FloatMode: 240
; IeeeMode: 1
; LDSByteSize: 0 bytes/workgroup (compile time only)
; SGPRBlocks: 0
; VGPRBlocks: 1
; NumSGPRsForWavesPerEU: 25
; NumVGPRsForWavesPerEU: 25
; NamedBarCnt: 0
; Occupancy: 16
; WaveLimiterHint : 0
; COMPUTE_PGM_RSRC2:SCRATCH_EN: 0
; COMPUTE_PGM_RSRC2:USER_SGPR: 2
; COMPUTE_PGM_RSRC2:TRAP_HANDLER: 0
; COMPUTE_PGM_RSRC2:TGID_X_EN: 1
; COMPUTE_PGM_RSRC2:TGID_Y_EN: 0
; COMPUTE_PGM_RSRC2:TGID_Z_EN: 0
; COMPUTE_PGM_RSRC2:TIDIG_COMP_CNT: 0
	.section	.text._ZN9rocsolver6v33100L13conj_in_placeI19rocblas_complex_numIfEiPS3_TnNSt9enable_ifIX18rocblas_is_complexIT_EEiE4typeELi0EEEvT0_S9_T1_lS9_l,"axG",@progbits,_ZN9rocsolver6v33100L13conj_in_placeI19rocblas_complex_numIfEiPS3_TnNSt9enable_ifIX18rocblas_is_complexIT_EEiE4typeELi0EEEvT0_S9_T1_lS9_l,comdat
	.globl	_ZN9rocsolver6v33100L13conj_in_placeI19rocblas_complex_numIfEiPS3_TnNSt9enable_ifIX18rocblas_is_complexIT_EEiE4typeELi0EEEvT0_S9_T1_lS9_l ; -- Begin function _ZN9rocsolver6v33100L13conj_in_placeI19rocblas_complex_numIfEiPS3_TnNSt9enable_ifIX18rocblas_is_complexIT_EEiE4typeELi0EEEvT0_S9_T1_lS9_l
	.p2align	8
	.type	_ZN9rocsolver6v33100L13conj_in_placeI19rocblas_complex_numIfEiPS3_TnNSt9enable_ifIX18rocblas_is_complexIT_EEiE4typeELi0EEEvT0_S9_T1_lS9_l,@function
_ZN9rocsolver6v33100L13conj_in_placeI19rocblas_complex_numIfEiPS3_TnNSt9enable_ifIX18rocblas_is_complexIT_EEiE4typeELi0EEEvT0_S9_T1_lS9_l: ; @_ZN9rocsolver6v33100L13conj_in_placeI19rocblas_complex_numIfEiPS3_TnNSt9enable_ifIX18rocblas_is_complexIT_EEiE4typeELi0EEEvT0_S9_T1_lS9_l
; %bb.0:
	s_clause 0x1
	s_load_b32 s5, s[0:1], 0x34
	s_load_b64 s[2:3], s[0:1], 0x0
	s_bfe_u32 s7, ttmp6, 0x40010
	s_bfe_u32 s10, ttmp6, 0x4000c
	s_and_b32 s6, ttmp7, 0xffff
	s_add_co_i32 s7, s7, 1
	s_add_co_i32 s10, s10, 1
	s_bfe_u32 s8, ttmp6, 0x40004
	s_and_b32 s9, ttmp6, 15
	s_mul_i32 s7, s6, s7
	s_mul_i32 s10, ttmp9, s10
	s_getreg_b32 s4, hwreg(HW_REG_IB_STS2, 6, 4)
	v_and_b32_e32 v1, 0x3ff, v0
	v_bfe_u32 v2, v0, 10, 10
	s_add_co_i32 s8, s8, s7
	s_add_co_i32 s9, s9, s10
	s_wait_kmcnt 0x0
	s_lshr_b32 s7, s5, 16
	s_and_b32 s5, s5, 0xffff
	s_cmp_eq_u32 s4, 0
	s_cselect_b32 s9, ttmp9, s9
	s_cselect_b32 s6, s6, s8
	v_mad_u32 v0, s9, s5, v1
	v_mad_u32 v2, s6, s7, v2
	s_delay_alu instid0(VALU_DEP_2) | instskip(NEXT) | instid1(VALU_DEP_2)
	v_cmp_gt_i32_e32 vcc_lo, s2, v0
	v_cmp_gt_i32_e64 s2, s3, v2
	s_mov_b32 s3, 0
	s_and_b32 s2, vcc_lo, s2
	s_delay_alu instid0(SALU_CYCLE_1)
	s_and_saveexec_b32 s5, s2
	s_cbranch_execz .LBB105_2
; %bb.1:
	s_load_b32 s6, s[0:1], 0x18
	v_dual_ashrrev_i32 v3, 31, v2 :: v_dual_ashrrev_i32 v1, 31, v0
	s_clause 0x1
	s_load_b64 s[12:13], s[0:1], 0x20
	s_load_b128 s[8:11], s[0:1], 0x8
	s_wait_xcnt 0x0
	s_bfe_u32 s0, ttmp6, 0x40014
	s_lshr_b32 s1, ttmp7, 16
	s_add_co_i32 s0, s0, 1
	s_bfe_u32 s2, ttmp6, 0x40008
	s_mul_i32 s0, s1, s0
	s_delay_alu instid0(SALU_CYCLE_1)
	s_add_co_i32 s2, s2, s0
	s_wait_kmcnt 0x0
	s_ashr_i32 s7, s6, 31
	s_cmp_eq_u32 s4, 0
	v_mul_u64_e32 v[4:5], s[6:7], v[2:3]
	s_cselect_b32 s2, s1, s2
	s_delay_alu instid0(SALU_CYCLE_1) | instskip(SKIP_2) | instid1(SALU_CYCLE_1)
	s_mul_u64 s[0:1], s[12:13], s[2:3]
	s_lshl_b64 s[2:3], s[10:11], 3
	s_lshl_b64 s[0:1], s[0:1], 3
	s_add_nc_u64 s[0:1], s[8:9], s[0:1]
	s_delay_alu instid0(SALU_CYCLE_1)
	s_add_nc_u64 s[0:1], s[0:1], s[2:3]
	s_delay_alu instid0(VALU_DEP_1) | instid1(SALU_CYCLE_1)
	v_lshl_add_u64 v[4:5], v[4:5], 3, s[0:1]
	s_delay_alu instid0(VALU_DEP_1)
	v_lshl_add_u64 v[4:5], v[0:1], 3, v[4:5]
	v_mad_u32 v0, v2, s6, v0
	global_load_b64 v[4:5], v[4:5], off
	s_wait_loadcnt 0x0
	v_xor_b32_e32 v5, 0x80000000, v5
	global_store_b64 v0, v[4:5], s[0:1] scale_offset
.LBB105_2:
	s_endpgm
	.section	.rodata,"a",@progbits
	.p2align	6, 0x0
	.amdhsa_kernel _ZN9rocsolver6v33100L13conj_in_placeI19rocblas_complex_numIfEiPS3_TnNSt9enable_ifIX18rocblas_is_complexIT_EEiE4typeELi0EEEvT0_S9_T1_lS9_l
		.amdhsa_group_segment_fixed_size 0
		.amdhsa_private_segment_fixed_size 0
		.amdhsa_kernarg_size 296
		.amdhsa_user_sgpr_count 2
		.amdhsa_user_sgpr_dispatch_ptr 0
		.amdhsa_user_sgpr_queue_ptr 0
		.amdhsa_user_sgpr_kernarg_segment_ptr 1
		.amdhsa_user_sgpr_dispatch_id 0
		.amdhsa_user_sgpr_kernarg_preload_length 0
		.amdhsa_user_sgpr_kernarg_preload_offset 0
		.amdhsa_user_sgpr_private_segment_size 0
		.amdhsa_wavefront_size32 1
		.amdhsa_uses_dynamic_stack 0
		.amdhsa_enable_private_segment 0
		.amdhsa_system_sgpr_workgroup_id_x 1
		.amdhsa_system_sgpr_workgroup_id_y 1
		.amdhsa_system_sgpr_workgroup_id_z 1
		.amdhsa_system_sgpr_workgroup_info 0
		.amdhsa_system_vgpr_workitem_id 1
		.amdhsa_next_free_vgpr 6
		.amdhsa_next_free_sgpr 14
		.amdhsa_named_barrier_count 0
		.amdhsa_reserve_vcc 1
		.amdhsa_float_round_mode_32 0
		.amdhsa_float_round_mode_16_64 0
		.amdhsa_float_denorm_mode_32 3
		.amdhsa_float_denorm_mode_16_64 3
		.amdhsa_fp16_overflow 0
		.amdhsa_memory_ordered 1
		.amdhsa_forward_progress 1
		.amdhsa_inst_pref_size 3
		.amdhsa_round_robin_scheduling 0
		.amdhsa_exception_fp_ieee_invalid_op 0
		.amdhsa_exception_fp_denorm_src 0
		.amdhsa_exception_fp_ieee_div_zero 0
		.amdhsa_exception_fp_ieee_overflow 0
		.amdhsa_exception_fp_ieee_underflow 0
		.amdhsa_exception_fp_ieee_inexact 0
		.amdhsa_exception_int_div_zero 0
	.end_amdhsa_kernel
	.section	.text._ZN9rocsolver6v33100L13conj_in_placeI19rocblas_complex_numIfEiPS3_TnNSt9enable_ifIX18rocblas_is_complexIT_EEiE4typeELi0EEEvT0_S9_T1_lS9_l,"axG",@progbits,_ZN9rocsolver6v33100L13conj_in_placeI19rocblas_complex_numIfEiPS3_TnNSt9enable_ifIX18rocblas_is_complexIT_EEiE4typeELi0EEEvT0_S9_T1_lS9_l,comdat
.Lfunc_end105:
	.size	_ZN9rocsolver6v33100L13conj_in_placeI19rocblas_complex_numIfEiPS3_TnNSt9enable_ifIX18rocblas_is_complexIT_EEiE4typeELi0EEEvT0_S9_T1_lS9_l, .Lfunc_end105-_ZN9rocsolver6v33100L13conj_in_placeI19rocblas_complex_numIfEiPS3_TnNSt9enable_ifIX18rocblas_is_complexIT_EEiE4typeELi0EEEvT0_S9_T1_lS9_l
                                        ; -- End function
	.set _ZN9rocsolver6v33100L13conj_in_placeI19rocblas_complex_numIfEiPS3_TnNSt9enable_ifIX18rocblas_is_complexIT_EEiE4typeELi0EEEvT0_S9_T1_lS9_l.num_vgpr, 6
	.set _ZN9rocsolver6v33100L13conj_in_placeI19rocblas_complex_numIfEiPS3_TnNSt9enable_ifIX18rocblas_is_complexIT_EEiE4typeELi0EEEvT0_S9_T1_lS9_l.num_agpr, 0
	.set _ZN9rocsolver6v33100L13conj_in_placeI19rocblas_complex_numIfEiPS3_TnNSt9enable_ifIX18rocblas_is_complexIT_EEiE4typeELi0EEEvT0_S9_T1_lS9_l.numbered_sgpr, 14
	.set _ZN9rocsolver6v33100L13conj_in_placeI19rocblas_complex_numIfEiPS3_TnNSt9enable_ifIX18rocblas_is_complexIT_EEiE4typeELi0EEEvT0_S9_T1_lS9_l.num_named_barrier, 0
	.set _ZN9rocsolver6v33100L13conj_in_placeI19rocblas_complex_numIfEiPS3_TnNSt9enable_ifIX18rocblas_is_complexIT_EEiE4typeELi0EEEvT0_S9_T1_lS9_l.private_seg_size, 0
	.set _ZN9rocsolver6v33100L13conj_in_placeI19rocblas_complex_numIfEiPS3_TnNSt9enable_ifIX18rocblas_is_complexIT_EEiE4typeELi0EEEvT0_S9_T1_lS9_l.uses_vcc, 1
	.set _ZN9rocsolver6v33100L13conj_in_placeI19rocblas_complex_numIfEiPS3_TnNSt9enable_ifIX18rocblas_is_complexIT_EEiE4typeELi0EEEvT0_S9_T1_lS9_l.uses_flat_scratch, 0
	.set _ZN9rocsolver6v33100L13conj_in_placeI19rocblas_complex_numIfEiPS3_TnNSt9enable_ifIX18rocblas_is_complexIT_EEiE4typeELi0EEEvT0_S9_T1_lS9_l.has_dyn_sized_stack, 0
	.set _ZN9rocsolver6v33100L13conj_in_placeI19rocblas_complex_numIfEiPS3_TnNSt9enable_ifIX18rocblas_is_complexIT_EEiE4typeELi0EEEvT0_S9_T1_lS9_l.has_recursion, 0
	.set _ZN9rocsolver6v33100L13conj_in_placeI19rocblas_complex_numIfEiPS3_TnNSt9enable_ifIX18rocblas_is_complexIT_EEiE4typeELi0EEEvT0_S9_T1_lS9_l.has_indirect_call, 0
	.section	.AMDGPU.csdata,"",@progbits
; Kernel info:
; codeLenInByte = 380
; TotalNumSgprs: 16
; NumVgprs: 6
; ScratchSize: 0
; MemoryBound: 0
; FloatMode: 240
; IeeeMode: 1
; LDSByteSize: 0 bytes/workgroup (compile time only)
; SGPRBlocks: 0
; VGPRBlocks: 0
; NumSGPRsForWavesPerEU: 16
; NumVGPRsForWavesPerEU: 6
; NamedBarCnt: 0
; Occupancy: 16
; WaveLimiterHint : 0
; COMPUTE_PGM_RSRC2:SCRATCH_EN: 0
; COMPUTE_PGM_RSRC2:USER_SGPR: 2
; COMPUTE_PGM_RSRC2:TRAP_HANDLER: 0
; COMPUTE_PGM_RSRC2:TGID_X_EN: 1
; COMPUTE_PGM_RSRC2:TGID_Y_EN: 1
; COMPUTE_PGM_RSRC2:TGID_Z_EN: 1
; COMPUTE_PGM_RSRC2:TIDIG_COMP_CNT: 1
	.section	.text._ZN9rocsolver6v33100L16larf_left_kernelILi1024E19rocblas_complex_numIfEiPS3_EEvT1_S5_T2_lS5_lPKT0_lS6_lS5_l,"axG",@progbits,_ZN9rocsolver6v33100L16larf_left_kernelILi1024E19rocblas_complex_numIfEiPS3_EEvT1_S5_T2_lS5_lPKT0_lS6_lS5_l,comdat
	.globl	_ZN9rocsolver6v33100L16larf_left_kernelILi1024E19rocblas_complex_numIfEiPS3_EEvT1_S5_T2_lS5_lPKT0_lS6_lS5_l ; -- Begin function _ZN9rocsolver6v33100L16larf_left_kernelILi1024E19rocblas_complex_numIfEiPS3_EEvT1_S5_T2_lS5_lPKT0_lS6_lS5_l
	.p2align	8
	.type	_ZN9rocsolver6v33100L16larf_left_kernelILi1024E19rocblas_complex_numIfEiPS3_EEvT1_S5_T2_lS5_lPKT0_lS6_lS5_l,@function
_ZN9rocsolver6v33100L16larf_left_kernelILi1024E19rocblas_complex_numIfEiPS3_EEvT1_S5_T2_lS5_lPKT0_lS6_lS5_l: ; @_ZN9rocsolver6v33100L16larf_left_kernelILi1024E19rocblas_complex_numIfEiPS3_EEvT1_S5_T2_lS5_lPKT0_lS6_lS5_l
; %bb.0:
	s_clause 0x3
	s_load_b96 s[12:14], s[0:1], 0x40
	s_load_b64 s[2:3], s[0:1], 0x50
	s_load_b32 s18, s[0:1], 0x0
	s_load_b256 s[4:11], s[0:1], 0x20
	s_bfe_u32 s15, ttmp6, 0x40010
	s_bfe_u32 s21, ttmp6, 0x40014
	s_and_b32 s19, ttmp7, 0xffff
	s_lshr_b32 s20, ttmp7, 16
	s_add_co_i32 s15, s15, 1
	s_add_co_i32 s21, s21, 1
	v_mov_b32_e32 v3, 0
	s_bfe_u32 s16, ttmp6, 0x40004
	s_bfe_u32 s22, ttmp6, 0x40008
	s_mul_i32 s15, s19, s15
	s_mul_i32 s21, s20, s21
	s_getreg_b32 s23, hwreg(HW_REG_IB_STS2, 6, 4)
	s_add_co_i32 s24, s16, s15
	s_add_co_i32 s22, s22, s21
	s_mov_b32 s17, 0
	v_mov_b32_e32 v2, v3
	s_wait_kmcnt 0x0
	s_ashr_i32 s15, s14, 31
	s_cmp_eq_u32 s23, 0
	v_cmp_gt_i32_e32 vcc_lo, s18, v0
	s_cselect_b32 s16, s20, s22
	s_cselect_b32 s20, s19, s24
	s_mov_b32 s21, s17
	s_mul_u64 s[2:3], s[2:3], s[16:17]
	s_mul_u64 s[14:15], s[14:15], s[20:21]
	s_and_saveexec_b32 s19, vcc_lo
	s_cbranch_execz .LBB106_6
; %bb.1:
	s_clause 0x1
	s_load_b32 s24, s[0:1], 0x18
	s_load_b128 s[20:23], s[0:1], 0x8
	v_dual_mov_b32 v1, 0 :: v_dual_mov_b32 v5, v0
	s_wait_xcnt 0x0
	s_sub_co_i32 s1, 1, s18
	s_mul_u64 s[4:5], s[4:5], s[16:17]
	s_wait_kmcnt 0x0
	s_ashr_i32 s25, s24, 31
	s_mul_i32 s1, s24, s1
	v_mul_u64_e32 v[2:3], s[24:25], v[0:1]
	v_cmp_lt_i64_e64 s0, s[24:25], 1
	v_lshlrev_b32_e32 v1, 3, v0
	s_delay_alu instid0(VALU_DEP_1)
	v_add3_u32 v1, v1, 0, 0x100
	s_and_b32 s0, s0, exec_lo
	s_cselect_b32 s0, s1, 0
	s_lshl_b64 s[22:23], s[22:23], 3
	s_ashr_i32 s1, s0, 31
	s_lshl_b64 s[4:5], s[4:5], 3
	s_lshl_b64 s[0:1], s[0:1], 3
	v_mov_b32_e32 v4, v1
	s_add_nc_u64 s[0:1], s[20:21], s[0:1]
	s_delay_alu instid0(SALU_CYCLE_1) | instskip(NEXT) | instid1(SALU_CYCLE_1)
	s_add_nc_u64 s[0:1], s[0:1], s[22:23]
	s_add_nc_u64 s[0:1], s[0:1], s[4:5]
	s_lshl_b64 s[4:5], s[24:25], 13
	v_lshl_add_u64 v[2:3], v[2:3], 3, s[0:1]
	s_mov_b32 s1, s17
.LBB106_2:                              ; =>This Inner Loop Header: Depth=1
	global_load_b64 v[6:7], v[2:3], off
	v_add_nc_u32_e32 v5, 0x400, v5
	s_wait_xcnt 0x0
	v_add_nc_u64_e32 v[2:3], s[4:5], v[2:3]
	s_delay_alu instid0(VALU_DEP_2)
	v_cmp_le_i32_e64 s0, s18, v5
	s_or_b32 s1, s0, s1
	s_wait_loadcnt 0x0
	ds_store_b64 v4, v[6:7]
	v_add_nc_u32_e32 v4, 0x2000, v4
	s_and_not1_b32 exec_lo, exec_lo, s1
	s_cbranch_execnz .LBB106_2
; %bb.3:
	s_or_b32 exec_lo, exec_lo, s1
	s_lshl_b64 s[0:1], s[2:3], 3
	s_lshl_b64 s[4:5], s[14:15], 3
	v_dual_mov_b32 v3, 0 :: v_dual_lshlrev_b32 v2, 3, v0
	s_add_nc_u64 s[0:1], s[0:1], s[4:5]
	s_lshl_b64 s[4:5], s[12:13], 3
	v_mov_b32_e32 v6, v0
	s_add_nc_u64 s[0:1], s[0:1], s[4:5]
	s_delay_alu instid0(SALU_CYCLE_1) | instskip(NEXT) | instid1(SALU_CYCLE_1)
	s_add_nc_u64 s[0:1], s[10:11], s[0:1]
	v_add_nc_u64_e32 v[4:5], s[0:1], v[2:3]
	v_mov_b32_e32 v2, v3
	s_mov_b32 s1, 0
	s_delay_alu instid0(VALU_DEP_2)
	v_add_nc_u64_e32 v[4:5], 4, v[4:5]
.LBB106_4:                              ; =>This Inner Loop Header: Depth=1
	global_load_b64 v[8:9], v[4:5], off offset:-4
	ds_load_b64 v[10:11], v1
	s_wait_xcnt 0x0
	v_add_nc_u64_e32 v[4:5], 0x2000, v[4:5]
	v_add_nc_u32_e32 v1, 0x2000, v1
	s_wait_loadcnt_dscnt 0x0
	v_pk_mul_f32 v[12:13], v[8:9], v[10:11] op_sel:[1,1] op_sel_hi:[1,0]
	s_delay_alu instid0(VALU_DEP_1) | instskip(SKIP_2) | instid1(VALU_DEP_3)
	v_pk_fma_f32 v[14:15], v[8:9], v[10:11], v[12:13] op_sel_hi:[0,1,1] neg_lo:[0,0,1] neg_hi:[0,0,1]
	v_add_nc_u32_e32 v6, 0x400, v6
	v_pk_fma_f32 v[8:9], v[8:9], v[10:11], v[12:13]
	v_mov_b32_e32 v9, v15
	s_delay_alu instid0(VALU_DEP_3) | instskip(NEXT) | instid1(VALU_DEP_2)
	v_cmp_le_i32_e64 s0, s18, v6
	v_pk_add_f32 v[2:3], v[2:3], v[8:9]
	s_or_b32 s1, s0, s1
	s_delay_alu instid0(SALU_CYCLE_1)
	s_and_not1_b32 exec_lo, exec_lo, s1
	s_cbranch_execnz .LBB106_4
; %bb.5:
	s_or_b32 exec_lo, exec_lo, s1
.LBB106_6:
	s_delay_alu instid0(SALU_CYCLE_1) | instskip(SKIP_2) | instid1(VALU_DEP_1)
	s_or_b32 exec_lo, exec_lo, s19
	v_mbcnt_lo_u32_b32 v1, -1, 0
	s_mov_b32 s1, exec_lo
	v_cmp_ne_u32_e64 s0, 31, v1
	s_delay_alu instid0(VALU_DEP_1) | instskip(SKIP_1) | instid1(VALU_DEP_2)
	v_add_co_ci_u32_e64 v4, null, 0, v1, s0
	v_cmp_gt_u32_e64 s0, 30, v1
	v_lshlrev_b32_e32 v5, 2, v4
	s_delay_alu instid0(VALU_DEP_2)
	v_cndmask_b32_e64 v6, 0, 2, s0
	v_cmp_gt_u32_e64 s0, 28, v1
	ds_bpermute_b32 v4, v5, v2
	ds_bpermute_b32 v5, v5, v3
	v_add_lshl_u32 v6, v6, v1, 2
	s_wait_dscnt 0x0
	v_pk_add_f32 v[2:3], v[2:3], v[4:5]
	ds_bpermute_b32 v4, v6, v2
	ds_bpermute_b32 v5, v6, v3
	v_cndmask_b32_e64 v6, 0, 4, s0
	v_cmp_gt_u32_e64 s0, 24, v1
	s_delay_alu instid0(VALU_DEP_2)
	v_add_lshl_u32 v6, v6, v1, 2
	s_wait_dscnt 0x0
	v_pk_add_f32 v[2:3], v[2:3], v[4:5]
	ds_bpermute_b32 v4, v6, v2
	ds_bpermute_b32 v5, v6, v3
	v_cndmask_b32_e64 v6, 0, 8, s0
	s_delay_alu instid0(VALU_DEP_1)
	v_add_lshl_u32 v6, v6, v1, 2
	v_lshl_or_b32 v1, v1, 2, 64
	s_wait_dscnt 0x0
	v_pk_add_f32 v[2:3], v[2:3], v[4:5]
	ds_bpermute_b32 v4, v6, v2
	ds_bpermute_b32 v5, v6, v3
	s_wait_dscnt 0x0
	v_pk_add_f32 v[2:3], v[2:3], v[4:5]
	ds_bpermute_b32 v4, v1, v2
	ds_bpermute_b32 v5, v1, v3
	v_and_b32_e32 v1, 31, v0
	s_wait_dscnt 0x0
	v_pk_add_f32 v[2:3], v[2:3], v[4:5]
	s_delay_alu instid0(VALU_DEP_2)
	v_cmpx_eq_u32_e32 0, v1
; %bb.7:
	v_lshrrev_b32_e32 v1, 2, v0
	s_delay_alu instid0(VALU_DEP_1)
	v_add_nc_u32_e32 v1, 0, v1
	ds_store_2addr_b32 v1, v2, v3 offset1:1
; %bb.8:
	s_or_b32 exec_lo, exec_lo, s1
	s_delay_alu instid0(SALU_CYCLE_1)
	s_mov_b32 s1, exec_lo
	s_wait_dscnt 0x0
	s_barrier_signal -1
	s_barrier_wait -1
	v_cmpx_eq_u32_e32 0, v0
	s_cbranch_execz .LBB106_10
; %bb.9:
	v_mov_b32_e32 v1, 0
	ds_load_2addr_b64 v[4:7], v1 offset0:1 offset1:2
	ds_load_2addr_b64 v[8:11], v1 offset0:3 offset1:4
	;; [unrolled: 1-line block ×3, first 2 shown]
	s_wait_dscnt 0x2
	v_pk_add_f32 v[2:3], v[2:3], v[4:5]
	s_delay_alu instid0(VALU_DEP_1) | instskip(SKIP_3) | instid1(VALU_DEP_1)
	v_pk_add_f32 v[6:7], v[2:3], v[6:7]
	ds_load_2addr_b64 v[2:5], v1 offset0:7 offset1:8
	s_wait_dscnt 0x2
	v_pk_add_f32 v[6:7], v[6:7], v[8:9]
	v_pk_add_f32 v[10:11], v[6:7], v[10:11]
	ds_load_2addr_b64 v[6:9], v1 offset0:9 offset1:10
	s_wait_dscnt 0x2
	v_pk_add_f32 v[10:11], v[10:11], v[12:13]
	s_delay_alu instid0(VALU_DEP_1) | instskip(SKIP_3) | instid1(VALU_DEP_1)
	v_pk_add_f32 v[14:15], v[10:11], v[14:15]
	ds_load_2addr_b64 v[10:13], v1 offset0:11 offset1:12
	s_wait_dscnt 0x2
	v_pk_add_f32 v[2:3], v[14:15], v[2:3]
	v_pk_add_f32 v[14:15], v[2:3], v[4:5]
	ds_load_2addr_b64 v[2:5], v1 offset0:13 offset1:14
	;; [unrolled: 9-line block ×5, first 2 shown]
	s_wait_dscnt 0x2
	v_pk_add_f32 v[6:7], v[14:15], v[6:7]
	s_delay_alu instid0(VALU_DEP_1) | instskip(SKIP_3) | instid1(VALU_DEP_1)
	v_pk_add_f32 v[14:15], v[6:7], v[8:9]
	ds_load_2addr_b64 v[6:9], v1 offset0:27 offset1:28
	s_wait_dscnt 0x2
	v_pk_add_f32 v[10:11], v[14:15], v[10:11]
	v_pk_add_f32 v[10:11], v[10:11], v[12:13]
	s_wait_dscnt 0x1
	s_delay_alu instid0(VALU_DEP_1)
	v_pk_add_f32 v[2:3], v[10:11], v[2:3]
	ds_load_2addr_b64 v[10:13], v1 offset0:29 offset1:30
	v_pk_add_f32 v[2:3], v[2:3], v[4:5]
	ds_load_b64 v[4:5], v1 offset:248
	s_wait_dscnt 0x2
	v_pk_add_f32 v[2:3], v[2:3], v[6:7]
	s_delay_alu instid0(VALU_DEP_1) | instskip(SKIP_1) | instid1(VALU_DEP_1)
	v_pk_add_f32 v[2:3], v[2:3], v[8:9]
	s_wait_dscnt 0x1
	v_pk_add_f32 v[2:3], v[2:3], v[10:11]
	s_delay_alu instid0(VALU_DEP_1) | instskip(SKIP_1) | instid1(VALU_DEP_1)
	v_pk_add_f32 v[2:3], v[2:3], v[12:13]
	s_wait_dscnt 0x0
	v_pk_add_f32 v[2:3], v[2:3], v[4:5]
	ds_store_b64 v1, v[2:3]
.LBB106_10:
	s_or_b32 exec_lo, exec_lo, s1
	s_wait_dscnt 0x0
	s_barrier_signal -1
	s_barrier_wait -1
	s_and_saveexec_b32 s0, vcc_lo
	s_cbranch_execz .LBB106_20
; %bb.11:
	s_mul_u64 s[0:1], s[8:9], s[16:17]
	s_delay_alu instid0(SALU_CYCLE_1) | instskip(NEXT) | instid1(SALU_CYCLE_1)
	s_lshl_b64 s[0:1], s[0:1], 3
	s_add_nc_u64 s[0:1], s[6:7], s[0:1]
	s_load_b64 s[4:5], s[0:1], 0x0
	v_mov_b32_e32 v7, 0
	s_wait_xcnt 0x0
	s_mov_b32 s1, exec_lo
	ds_load_b64 v[8:9], v7
	s_wait_kmcnt 0x0
	s_xor_b32 s0, s4, 0x80000000
	s_wait_dscnt 0x0
	v_mul_f32_e32 v1, s5, v9
	s_delay_alu instid0(VALU_DEP_1) | instskip(SKIP_2) | instid1(VALU_DEP_3)
	v_xor_b32_e32 v2, 0x80000000, v1
	v_mul_f32_e32 v3, s5, v8
	v_xad_u32 v1, v0, -1, s18
	v_fmac_f32_e32 v2, s0, v8
	s_delay_alu instid0(VALU_DEP_3) | instskip(SKIP_1) | instid1(VALU_DEP_1)
	v_xor_b32_e32 v4, 0x80000000, v3
	s_mov_b32 s0, 0
	v_fmac_f32_e32 v4, s4, v9
	v_cmpx_lt_u32_e32 0x3ff, v1
	s_xor_b32 s4, exec_lo, s1
	s_cbranch_execnz .LBB106_14
; %bb.12:
	s_and_not1_saveexec_b32 s1, s4
	s_cbranch_execnz .LBB106_17
.LBB106_13:
	s_or_b32 exec_lo, exec_lo, s1
	s_delay_alu instid0(SALU_CYCLE_1)
	s_and_b32 exec_lo, exec_lo, s0
	s_cbranch_execnz .LBB106_18
	s_branch .LBB106_20
.LBB106_14:
	v_dual_lshrrev_b32 v1, 10, v1 :: v_dual_mov_b32 v3, v2
	s_lshl_b64 s[0:1], s[2:3], 3
	s_lshl_b64 s[6:7], s[12:13], 3
	s_add_nc_u64 s[0:1], s[10:11], s[0:1]
	s_delay_alu instid0(VALU_DEP_1) | instskip(SKIP_3) | instid1(VALU_DEP_2)
	v_dual_add_nc_u32 v10, 1, v1 :: v_dual_lshlrev_b32 v6, 3, v0
	v_or_b32_e32 v1, 0x400, v0
	s_lshl_b64 s[8:9], s[14:15], 3
	s_add_nc_u64 s[0:1], s[0:1], s[6:7]
	v_and_b32_e32 v11, 0x7ffffe, v10
	v_mov_b32_e32 v5, v4
	v_mov_b64_e32 v[8:9], v[0:1]
	v_add3_u32 v12, v6, 0, 0x100
	s_add_nc_u64 s[0:1], s[0:1], s[8:9]
	v_mov_b32_e32 v13, v11
	s_mov_b32 s5, 0
.LBB106_15:                             ; =>This Inner Loop Header: Depth=1
	s_delay_alu instid0(VALU_DEP_3) | instskip(NEXT) | instid1(VALU_DEP_1)
	v_mov_b32_e32 v6, v8
	v_lshl_add_u64 v[18:19], v[6:7], 3, s[0:1]
	v_dual_mov_b32 v6, v9 :: v_dual_add_nc_u32 v9, 0x800, v9
	s_delay_alu instid0(VALU_DEP_1)
	v_lshl_add_u64 v[20:21], v[6:7], 3, s[0:1]
	s_clause 0x1
	global_load_b64 v[22:23], v[18:19], off
	global_load_b64 v[24:25], v[20:21], off
	ds_load_2addr_stride64_b64 v[14:17], v12 offset1:16
	s_wait_dscnt 0x0
	v_dual_mov_b32 v27, v16 :: v_dual_add_nc_u32 v12, 0x4000, v12
	v_dual_mov_b32 v16, v15 :: v_dual_mov_b32 v26, v14
	s_delay_alu instid0(VALU_DEP_1) | instskip(SKIP_1) | instid1(VALU_DEP_2)
	v_pk_mul_f32 v[14:15], v[4:5], v[16:17]
	v_pk_mul_f32 v[16:17], v[2:3], v[16:17]
	v_pk_fma_f32 v[14:15], v[2:3], v[26:27], v[14:15] neg_lo:[0,0,1] neg_hi:[0,0,1]
	s_delay_alu instid0(VALU_DEP_2) | instskip(SKIP_3) | instid1(VALU_DEP_2)
	v_pk_fma_f32 v[16:17], v[4:5], v[26:27], v[16:17]
	s_wait_loadcnt 0x0
	v_dual_mov_b32 v26, v22 :: v_dual_mov_b32 v27, v24
	v_mov_b32_e32 v24, v23
	v_pk_add_f32 v[14:15], v[26:27], v[14:15]
	v_add_nc_u32_e32 v13, -2, v13
	s_delay_alu instid0(VALU_DEP_3) | instskip(SKIP_1) | instid1(VALU_DEP_4)
	v_pk_add_f32 v[16:17], v[16:17], v[24:25]
	v_add_nc_u32_e32 v8, 0x800, v8
	v_mov_b32_e32 v22, v14
	s_delay_alu instid0(VALU_DEP_4) | instskip(NEXT) | instid1(VALU_DEP_4)
	v_cmp_eq_u32_e32 vcc_lo, 0, v13
	v_dual_mov_b32 v23, v16 :: v_dual_mov_b32 v16, v15
	s_clause 0x1
	global_store_b64 v[18:19], v[22:23], off
	global_store_b64 v[20:21], v[16:17], off
	s_or_b32 s5, vcc_lo, s5
	s_wait_xcnt 0x0
	s_and_not1_b32 exec_lo, exec_lo, s5
	s_cbranch_execnz .LBB106_15
; %bb.16:
	s_or_b32 exec_lo, exec_lo, s5
	v_cmp_ne_u32_e32 vcc_lo, v10, v11
	v_lshl_or_b32 v0, v11, 10, v0
	s_and_b32 s0, vcc_lo, exec_lo
	s_and_not1_saveexec_b32 s1, s4
	s_cbranch_execz .LBB106_13
.LBB106_17:
	s_or_b32 s0, s0, exec_lo
	s_or_b32 exec_lo, exec_lo, s1
	s_delay_alu instid0(SALU_CYCLE_1)
	s_and_b32 exec_lo, exec_lo, s0
	s_cbranch_execz .LBB106_20
.LBB106_18:
	s_lshl_b64 s[0:1], s[2:3], 3
	s_lshl_b64 s[2:3], s[14:15], 3
	v_dual_mov_b32 v5, v4 :: v_dual_lshlrev_b32 v6, 3, v0
	s_add_nc_u64 s[0:1], s[0:1], s[2:3]
	s_lshl_b64 s[2:3], s[12:13], 3
	v_dual_mov_b32 v1, 0 :: v_dual_mov_b32 v3, v2
	s_add_nc_u64 s[0:1], s[0:1], s[2:3]
	v_add3_u32 v8, v6, 0, 0x100
	s_add_nc_u64 s[0:1], s[10:11], s[0:1]
	s_delay_alu instid0(VALU_DEP_2) | instid1(SALU_CYCLE_1)
	v_lshl_add_u64 v[6:7], v[0:1], 3, s[0:1]
	s_mov_b32 s0, 0
.LBB106_19:                             ; =>This Inner Loop Header: Depth=1
	global_load_b64 v[10:11], v[6:7], off
	ds_load_b64 v[12:13], v8
	v_add_nc_u32_e32 v8, 0x2000, v8
	v_add_nc_u32_e32 v0, 0x400, v0
	s_delay_alu instid0(VALU_DEP_1) | instskip(SKIP_3) | instid1(VALU_DEP_1)
	v_cmp_le_i32_e32 vcc_lo, s18, v0
	s_or_b32 s0, vcc_lo, s0
	s_wait_dscnt 0x0
	v_pk_mul_f32 v[14:15], v[4:5], v[12:13] op_sel:[0,1] op_sel_hi:[1,0]
	v_pk_fma_f32 v[16:17], v[2:3], v[12:13], v[14:15]
	v_pk_fma_f32 v[12:13], v[2:3], v[12:13], v[14:15] neg_lo:[0,0,1] neg_hi:[0,0,1]
	s_delay_alu instid0(VALU_DEP_2) | instskip(SKIP_1) | instid1(VALU_DEP_1)
	v_mov_b32_e32 v13, v17
	s_wait_loadcnt 0x0
	v_pk_add_f32 v[10:11], v[10:11], v[12:13]
	global_store_b64 v[6:7], v[10:11], off
	s_wait_xcnt 0x0
	v_add_nc_u64_e32 v[6:7], 0x2000, v[6:7]
	s_and_not1_b32 exec_lo, exec_lo, s0
	s_cbranch_execnz .LBB106_19
.LBB106_20:
	s_endpgm
	.section	.rodata,"a",@progbits
	.p2align	6, 0x0
	.amdhsa_kernel _ZN9rocsolver6v33100L16larf_left_kernelILi1024E19rocblas_complex_numIfEiPS3_EEvT1_S5_T2_lS5_lPKT0_lS6_lS5_l
		.amdhsa_group_segment_fixed_size 0
		.amdhsa_private_segment_fixed_size 0
		.amdhsa_kernarg_size 88
		.amdhsa_user_sgpr_count 2
		.amdhsa_user_sgpr_dispatch_ptr 0
		.amdhsa_user_sgpr_queue_ptr 0
		.amdhsa_user_sgpr_kernarg_segment_ptr 1
		.amdhsa_user_sgpr_dispatch_id 0
		.amdhsa_user_sgpr_kernarg_preload_length 0
		.amdhsa_user_sgpr_kernarg_preload_offset 0
		.amdhsa_user_sgpr_private_segment_size 0
		.amdhsa_wavefront_size32 1
		.amdhsa_uses_dynamic_stack 0
		.amdhsa_enable_private_segment 0
		.amdhsa_system_sgpr_workgroup_id_x 1
		.amdhsa_system_sgpr_workgroup_id_y 1
		.amdhsa_system_sgpr_workgroup_id_z 1
		.amdhsa_system_sgpr_workgroup_info 0
		.amdhsa_system_vgpr_workitem_id 0
		.amdhsa_next_free_vgpr 28
		.amdhsa_next_free_sgpr 26
		.amdhsa_named_barrier_count 0
		.amdhsa_reserve_vcc 1
		.amdhsa_float_round_mode_32 0
		.amdhsa_float_round_mode_16_64 0
		.amdhsa_float_denorm_mode_32 3
		.amdhsa_float_denorm_mode_16_64 3
		.amdhsa_fp16_overflow 0
		.amdhsa_memory_ordered 1
		.amdhsa_forward_progress 1
		.amdhsa_inst_pref_size 18
		.amdhsa_round_robin_scheduling 0
		.amdhsa_exception_fp_ieee_invalid_op 0
		.amdhsa_exception_fp_denorm_src 0
		.amdhsa_exception_fp_ieee_div_zero 0
		.amdhsa_exception_fp_ieee_overflow 0
		.amdhsa_exception_fp_ieee_underflow 0
		.amdhsa_exception_fp_ieee_inexact 0
		.amdhsa_exception_int_div_zero 0
	.end_amdhsa_kernel
	.section	.text._ZN9rocsolver6v33100L16larf_left_kernelILi1024E19rocblas_complex_numIfEiPS3_EEvT1_S5_T2_lS5_lPKT0_lS6_lS5_l,"axG",@progbits,_ZN9rocsolver6v33100L16larf_left_kernelILi1024E19rocblas_complex_numIfEiPS3_EEvT1_S5_T2_lS5_lPKT0_lS6_lS5_l,comdat
.Lfunc_end106:
	.size	_ZN9rocsolver6v33100L16larf_left_kernelILi1024E19rocblas_complex_numIfEiPS3_EEvT1_S5_T2_lS5_lPKT0_lS6_lS5_l, .Lfunc_end106-_ZN9rocsolver6v33100L16larf_left_kernelILi1024E19rocblas_complex_numIfEiPS3_EEvT1_S5_T2_lS5_lPKT0_lS6_lS5_l
                                        ; -- End function
	.set _ZN9rocsolver6v33100L16larf_left_kernelILi1024E19rocblas_complex_numIfEiPS3_EEvT1_S5_T2_lS5_lPKT0_lS6_lS5_l.num_vgpr, 28
	.set _ZN9rocsolver6v33100L16larf_left_kernelILi1024E19rocblas_complex_numIfEiPS3_EEvT1_S5_T2_lS5_lPKT0_lS6_lS5_l.num_agpr, 0
	.set _ZN9rocsolver6v33100L16larf_left_kernelILi1024E19rocblas_complex_numIfEiPS3_EEvT1_S5_T2_lS5_lPKT0_lS6_lS5_l.numbered_sgpr, 26
	.set _ZN9rocsolver6v33100L16larf_left_kernelILi1024E19rocblas_complex_numIfEiPS3_EEvT1_S5_T2_lS5_lPKT0_lS6_lS5_l.num_named_barrier, 0
	.set _ZN9rocsolver6v33100L16larf_left_kernelILi1024E19rocblas_complex_numIfEiPS3_EEvT1_S5_T2_lS5_lPKT0_lS6_lS5_l.private_seg_size, 0
	.set _ZN9rocsolver6v33100L16larf_left_kernelILi1024E19rocblas_complex_numIfEiPS3_EEvT1_S5_T2_lS5_lPKT0_lS6_lS5_l.uses_vcc, 1
	.set _ZN9rocsolver6v33100L16larf_left_kernelILi1024E19rocblas_complex_numIfEiPS3_EEvT1_S5_T2_lS5_lPKT0_lS6_lS5_l.uses_flat_scratch, 0
	.set _ZN9rocsolver6v33100L16larf_left_kernelILi1024E19rocblas_complex_numIfEiPS3_EEvT1_S5_T2_lS5_lPKT0_lS6_lS5_l.has_dyn_sized_stack, 0
	.set _ZN9rocsolver6v33100L16larf_left_kernelILi1024E19rocblas_complex_numIfEiPS3_EEvT1_S5_T2_lS5_lPKT0_lS6_lS5_l.has_recursion, 0
	.set _ZN9rocsolver6v33100L16larf_left_kernelILi1024E19rocblas_complex_numIfEiPS3_EEvT1_S5_T2_lS5_lPKT0_lS6_lS5_l.has_indirect_call, 0
	.section	.AMDGPU.csdata,"",@progbits
; Kernel info:
; codeLenInByte = 2184
; TotalNumSgprs: 28
; NumVgprs: 28
; ScratchSize: 0
; MemoryBound: 0
; FloatMode: 240
; IeeeMode: 1
; LDSByteSize: 0 bytes/workgroup (compile time only)
; SGPRBlocks: 0
; VGPRBlocks: 1
; NumSGPRsForWavesPerEU: 28
; NumVGPRsForWavesPerEU: 28
; NamedBarCnt: 0
; Occupancy: 16
; WaveLimiterHint : 0
; COMPUTE_PGM_RSRC2:SCRATCH_EN: 0
; COMPUTE_PGM_RSRC2:USER_SGPR: 2
; COMPUTE_PGM_RSRC2:TRAP_HANDLER: 0
; COMPUTE_PGM_RSRC2:TGID_X_EN: 1
; COMPUTE_PGM_RSRC2:TGID_Y_EN: 1
; COMPUTE_PGM_RSRC2:TGID_Z_EN: 1
; COMPUTE_PGM_RSRC2:TIDIG_COMP_CNT: 0
	.section	.text._ZN9rocsolver6v33100L17larf_right_kernelILi1024E19rocblas_complex_numIfEiPS3_EEvT1_S5_T2_lS5_lPKT0_lS6_lS5_l,"axG",@progbits,_ZN9rocsolver6v33100L17larf_right_kernelILi1024E19rocblas_complex_numIfEiPS3_EEvT1_S5_T2_lS5_lPKT0_lS6_lS5_l,comdat
	.globl	_ZN9rocsolver6v33100L17larf_right_kernelILi1024E19rocblas_complex_numIfEiPS3_EEvT1_S5_T2_lS5_lPKT0_lS6_lS5_l ; -- Begin function _ZN9rocsolver6v33100L17larf_right_kernelILi1024E19rocblas_complex_numIfEiPS3_EEvT1_S5_T2_lS5_lPKT0_lS6_lS5_l
	.p2align	8
	.type	_ZN9rocsolver6v33100L17larf_right_kernelILi1024E19rocblas_complex_numIfEiPS3_EEvT1_S5_T2_lS5_lPKT0_lS6_lS5_l,@function
_ZN9rocsolver6v33100L17larf_right_kernelILi1024E19rocblas_complex_numIfEiPS3_EEvT1_S5_T2_lS5_lPKT0_lS6_lS5_l: ; @_ZN9rocsolver6v33100L17larf_right_kernelILi1024E19rocblas_complex_numIfEiPS3_EEvT1_S5_T2_lS5_lPKT0_lS6_lS5_l
; %bb.0:
	s_clause 0x3
	s_load_b32 s15, s[0:1], 0x4
	s_load_b96 s[12:14], s[0:1], 0x40
	s_load_b64 s[16:17], s[0:1], 0x50
	s_load_b256 s[4:11], s[0:1], 0x20
	s_bfe_u32 s2, ttmp6, 0x40010
	s_bfe_u32 s21, ttmp6, 0x40014
	s_and_b32 s18, ttmp7, 0xffff
	s_lshr_b32 s20, ttmp7, 16
	s_add_co_i32 s2, s2, 1
	s_add_co_i32 s21, s21, 1
	v_dual_mov_b32 v3, 0 :: v_dual_lshlrev_b32 v6, 3, v0
	s_bfe_u32 s19, ttmp6, 0x40004
	s_bfe_u32 s22, ttmp6, 0x40008
	s_mul_i32 s2, s18, s2
	s_mul_i32 s21, s20, s21
	s_getreg_b32 s23, hwreg(HW_REG_IB_STS2, 6, 4)
	s_add_co_i32 s19, s19, s2
	s_add_co_i32 s22, s22, s21
	s_cmp_eq_u32 s23, 0
	v_mov_b32_e32 v2, v3
	s_wait_kmcnt 0x0
	v_cmp_gt_i32_e32 vcc_lo, s15, v0
	s_mov_b32 s3, 0
	s_cselect_b32 s2, s20, s22
	s_cselect_b32 s18, s18, s19
	s_mul_u64 s[16:17], s[16:17], s[2:3]
	s_and_saveexec_b32 s19, vcc_lo
	s_cbranch_execz .LBB107_6
; %bb.1:
	s_clause 0x1
	s_load_b32 s24, s[0:1], 0x18
	s_load_b128 s[20:23], s[0:1], 0x8
	v_add3_u32 v7, v6, 0, 0x100
	v_mov_b32_e32 v1, 0
	s_wait_xcnt 0x0
	s_sub_co_i32 s1, 1, s15
	s_mul_u64 s[4:5], s[4:5], s[2:3]
	v_dual_mov_b32 v5, v0 :: v_dual_mov_b32 v4, v7
	s_wait_kmcnt 0x0
	s_ashr_i32 s25, s24, 31
	s_mul_i32 s1, s24, s1
	v_mul_u64_e32 v[2:3], s[24:25], v[0:1]
	v_cmp_lt_i64_e64 s0, s[24:25], 1
	s_and_b32 s0, s0, exec_lo
	s_cselect_b32 s0, s1, 0
	s_lshl_b64 s[22:23], s[22:23], 3
	s_ashr_i32 s1, s0, 31
	s_lshl_b64 s[4:5], s[4:5], 3
	s_lshl_b64 s[0:1], s[0:1], 3
	s_delay_alu instid0(SALU_CYCLE_1) | instskip(NEXT) | instid1(SALU_CYCLE_1)
	s_add_nc_u64 s[0:1], s[20:21], s[0:1]
	s_add_nc_u64 s[0:1], s[0:1], s[22:23]
	s_delay_alu instid0(SALU_CYCLE_1)
	s_add_nc_u64 s[0:1], s[0:1], s[4:5]
	s_lshl_b64 s[4:5], s[24:25], 13
	v_lshl_add_u64 v[2:3], v[2:3], 3, s[0:1]
	s_mov_b32 s1, s3
.LBB107_2:                              ; =>This Inner Loop Header: Depth=1
	global_load_b64 v[8:9], v[2:3], off
	v_add_nc_u32_e32 v5, 0x400, v5
	s_wait_xcnt 0x0
	v_add_nc_u64_e32 v[2:3], s[4:5], v[2:3]
	s_delay_alu instid0(VALU_DEP_2)
	v_cmp_le_i32_e64 s0, s15, v5
	s_or_b32 s1, s0, s1
	s_wait_loadcnt 0x0
	ds_store_b64 v4, v[8:9]
	v_add_nc_u32_e32 v4, 0x2000, v4
	s_and_not1_b32 exec_lo, exec_lo, s1
	s_cbranch_execnz .LBB107_2
; %bb.3:
	s_or_b32 exec_lo, exec_lo, s1
	s_ashr_i32 s5, s14, 31
	s_mov_b32 s4, s14
	s_lshl_b32 s0, s18, 3
	v_mul_u64_e32 v[4:5], s[4:5], v[0:1]
	s_mov_b32 s1, 0
	s_lshl_b64 s[22:23], s[12:13], 3
	s_add_nc_u64 s[24:25], s[10:11], s[0:1]
	v_dual_mov_b32 v2, 0 :: v_dual_mov_b32 v1, v0
	s_lshl_b64 s[20:21], s[16:17], 3
	s_add_nc_u64 s[22:23], s[24:25], s[22:23]
	s_lshl_b64 s[4:5], s[4:5], 13
	s_add_nc_u64 s[20:21], s[22:23], s[20:21]
	v_mov_b32_e32 v3, v2
	s_delay_alu instid0(VALU_DEP_3)
	v_lshl_add_u64 v[4:5], v[4:5], 3, s[20:21]
.LBB107_4:                              ; =>This Inner Loop Header: Depth=1
	global_load_b64 v[8:9], v[4:5], off
	ds_load_b64 v[10:11], v7
	v_add_nc_u32_e32 v1, 0x400, v1
	s_wait_xcnt 0x0
	v_add_nc_u64_e32 v[4:5], s[4:5], v[4:5]
	v_add_nc_u32_e32 v7, 0x2000, v7
	s_delay_alu instid0(VALU_DEP_3) | instskip(SKIP_3) | instid1(VALU_DEP_1)
	v_cmp_le_i32_e64 s0, s15, v1
	s_or_b32 s1, s0, s1
	s_wait_loadcnt_dscnt 0x0
	v_pk_mul_f32 v[12:13], v[10:11], v[8:9] op_sel:[1,1] op_sel_hi:[0,1]
	v_pk_fma_f32 v[14:15], v[10:11], v[8:9], v[12:13] op_sel_hi:[1,0,1]
	v_pk_fma_f32 v[8:9], v[10:11], v[8:9], v[12:13] neg_lo:[0,0,1] neg_hi:[0,0,1]
	s_delay_alu instid0(VALU_DEP_2) | instskip(NEXT) | instid1(VALU_DEP_1)
	v_mov_b32_e32 v9, v15
	v_pk_add_f32 v[2:3], v[2:3], v[8:9]
	s_and_not1_b32 exec_lo, exec_lo, s1
	s_cbranch_execnz .LBB107_4
; %bb.5:
	s_or_b32 exec_lo, exec_lo, s1
.LBB107_6:
	s_delay_alu instid0(SALU_CYCLE_1) | instskip(SKIP_2) | instid1(VALU_DEP_1)
	s_or_b32 exec_lo, exec_lo, s19
	v_mbcnt_lo_u32_b32 v1, -1, 0
	s_mov_b32 s1, exec_lo
	v_cmp_ne_u32_e64 s0, 31, v1
	s_delay_alu instid0(VALU_DEP_1) | instskip(SKIP_1) | instid1(VALU_DEP_2)
	v_add_co_ci_u32_e64 v4, null, 0, v1, s0
	v_cmp_gt_u32_e64 s0, 30, v1
	v_lshlrev_b32_e32 v5, 2, v4
	s_delay_alu instid0(VALU_DEP_2)
	v_cndmask_b32_e64 v7, 0, 2, s0
	v_cmp_gt_u32_e64 s0, 28, v1
	ds_bpermute_b32 v4, v5, v2
	ds_bpermute_b32 v5, v5, v3
	v_add_lshl_u32 v7, v7, v1, 2
	s_wait_dscnt 0x0
	v_pk_add_f32 v[2:3], v[2:3], v[4:5]
	ds_bpermute_b32 v4, v7, v2
	ds_bpermute_b32 v5, v7, v3
	v_cndmask_b32_e64 v7, 0, 4, s0
	v_cmp_gt_u32_e64 s0, 24, v1
	s_delay_alu instid0(VALU_DEP_2)
	v_add_lshl_u32 v7, v7, v1, 2
	s_wait_dscnt 0x0
	v_pk_add_f32 v[2:3], v[2:3], v[4:5]
	ds_bpermute_b32 v4, v7, v2
	ds_bpermute_b32 v5, v7, v3
	v_cndmask_b32_e64 v7, 0, 8, s0
	s_delay_alu instid0(VALU_DEP_1)
	v_add_lshl_u32 v7, v7, v1, 2
	v_lshl_or_b32 v1, v1, 2, 64
	s_wait_dscnt 0x0
	v_pk_add_f32 v[2:3], v[2:3], v[4:5]
	ds_bpermute_b32 v4, v7, v2
	ds_bpermute_b32 v5, v7, v3
	s_wait_dscnt 0x0
	v_pk_add_f32 v[2:3], v[2:3], v[4:5]
	ds_bpermute_b32 v4, v1, v2
	ds_bpermute_b32 v5, v1, v3
	v_and_b32_e32 v1, 31, v0
	s_wait_dscnt 0x0
	v_pk_add_f32 v[2:3], v[2:3], v[4:5]
	s_delay_alu instid0(VALU_DEP_2)
	v_cmpx_eq_u32_e32 0, v1
; %bb.7:
	v_lshrrev_b32_e32 v1, 2, v0
	s_delay_alu instid0(VALU_DEP_1)
	v_add_nc_u32_e32 v1, 0, v1
	ds_store_2addr_b32 v1, v2, v3 offset1:1
; %bb.8:
	s_or_b32 exec_lo, exec_lo, s1
	s_delay_alu instid0(SALU_CYCLE_1)
	s_mov_b32 s1, exec_lo
	s_wait_dscnt 0x0
	s_barrier_signal -1
	s_barrier_wait -1
	v_cmpx_eq_u32_e32 0, v0
	s_cbranch_execz .LBB107_10
; %bb.9:
	v_mov_b32_e32 v1, 0
	ds_load_2addr_b64 v[8:11], v1 offset0:1 offset1:2
	ds_load_2addr_b64 v[12:15], v1 offset0:3 offset1:4
	;; [unrolled: 1-line block ×3, first 2 shown]
	s_wait_dscnt 0x2
	v_pk_add_f32 v[2:3], v[2:3], v[8:9]
	s_delay_alu instid0(VALU_DEP_1) | instskip(SKIP_3) | instid1(VALU_DEP_1)
	v_pk_add_f32 v[8:9], v[2:3], v[10:11]
	ds_load_2addr_b64 v[2:5], v1 offset0:7 offset1:8
	s_wait_dscnt 0x2
	v_pk_add_f32 v[8:9], v[8:9], v[12:13]
	v_pk_add_f32 v[12:13], v[8:9], v[14:15]
	ds_load_2addr_b64 v[8:11], v1 offset0:9 offset1:10
	s_wait_dscnt 0x2
	v_pk_add_f32 v[12:13], v[12:13], v[16:17]
	s_delay_alu instid0(VALU_DEP_1) | instskip(SKIP_3) | instid1(VALU_DEP_1)
	v_pk_add_f32 v[16:17], v[12:13], v[18:19]
	ds_load_2addr_b64 v[12:15], v1 offset0:11 offset1:12
	s_wait_dscnt 0x2
	v_pk_add_f32 v[2:3], v[16:17], v[2:3]
	v_pk_add_f32 v[16:17], v[2:3], v[4:5]
	ds_load_2addr_b64 v[2:5], v1 offset0:13 offset1:14
	;; [unrolled: 9-line block ×5, first 2 shown]
	s_wait_dscnt 0x2
	v_pk_add_f32 v[8:9], v[16:17], v[8:9]
	s_delay_alu instid0(VALU_DEP_1) | instskip(SKIP_3) | instid1(VALU_DEP_1)
	v_pk_add_f32 v[16:17], v[8:9], v[10:11]
	ds_load_2addr_b64 v[8:11], v1 offset0:27 offset1:28
	s_wait_dscnt 0x2
	v_pk_add_f32 v[12:13], v[16:17], v[12:13]
	v_pk_add_f32 v[12:13], v[12:13], v[14:15]
	s_wait_dscnt 0x1
	s_delay_alu instid0(VALU_DEP_1)
	v_pk_add_f32 v[2:3], v[12:13], v[2:3]
	ds_load_2addr_b64 v[12:15], v1 offset0:29 offset1:30
	v_pk_add_f32 v[2:3], v[2:3], v[4:5]
	ds_load_b64 v[4:5], v1 offset:248
	s_wait_dscnt 0x2
	v_pk_add_f32 v[2:3], v[2:3], v[8:9]
	s_delay_alu instid0(VALU_DEP_1) | instskip(SKIP_1) | instid1(VALU_DEP_1)
	v_pk_add_f32 v[2:3], v[2:3], v[10:11]
	s_wait_dscnt 0x1
	v_pk_add_f32 v[2:3], v[2:3], v[12:13]
	s_delay_alu instid0(VALU_DEP_1) | instskip(SKIP_1) | instid1(VALU_DEP_1)
	v_pk_add_f32 v[2:3], v[2:3], v[14:15]
	s_wait_dscnt 0x0
	v_pk_add_f32 v[2:3], v[2:3], v[4:5]
	ds_store_b64 v1, v[2:3]
.LBB107_10:
	s_or_b32 exec_lo, exec_lo, s1
	s_wait_dscnt 0x0
	s_barrier_signal -1
	s_barrier_wait -1
	s_and_saveexec_b32 s0, vcc_lo
	s_cbranch_execz .LBB107_13
; %bb.11:
	s_mul_u64 s[0:1], s[8:9], s[2:3]
	s_ashr_i32 s5, s14, 31
	s_lshl_b64 s[0:1], s[0:1], 3
	s_mov_b32 s4, s14
	s_add_nc_u64 s[0:1], s[6:7], s[0:1]
	s_lshl_b64 s[8:9], s[12:13], 3
	s_load_b64 s[2:3], s[0:1], 0x0
	v_mov_b32_e32 v1, 0
	s_wait_xcnt 0x0
	s_mov_b32 s1, 0
	s_lshl_b32 s0, s18, 3
	s_lshl_b64 s[6:7], s[16:17], 3
	s_add_nc_u64 s[10:11], s[10:11], s[0:1]
	ds_load_b64 v[8:9], v1
	s_wait_kmcnt 0x0
	s_xor_b32 s0, s3, 0x80000000
	s_wait_dscnt 0x0
	v_mul_f32_e32 v3, s2, v9
	v_mul_u64_e32 v[10:11], s[4:5], v[0:1]
	v_mul_f32_e32 v1, s2, v8
	s_delay_alu instid0(VALU_DEP_3) | instskip(NEXT) | instid1(VALU_DEP_2)
	v_xor_b32_e32 v4, 0x80000000, v3
	v_xor_b32_e32 v2, 0x80000000, v1
	v_add3_u32 v1, v6, 0, 0x100
	s_delay_alu instid0(VALU_DEP_2) | instskip(SKIP_1) | instid1(SALU_CYCLE_1)
	v_dual_fmac_f32 v2, s3, v9 :: v_dual_fmac_f32 v4, s0, v8
	s_add_nc_u64 s[2:3], s[10:11], s[8:9]
	s_add_nc_u64 s[2:3], s[2:3], s[6:7]
	s_delay_alu instid0(VALU_DEP_1)
	v_dual_mov_b32 v3, v2 :: v_dual_mov_b32 v5, v4
	v_lshl_add_u64 v[6:7], v[10:11], 3, s[2:3]
	s_lshl_b64 s[2:3], s[4:5], 13
.LBB107_12:                             ; =>This Inner Loop Header: Depth=1
	global_load_b64 v[8:9], v[6:7], off
	ds_load_b64 v[10:11], v1
	v_add_nc_u32_e32 v1, 0x2000, v1
	v_add_nc_u32_e32 v0, 0x400, v0
	s_delay_alu instid0(VALU_DEP_1) | instskip(SKIP_3) | instid1(VALU_DEP_1)
	v_cmp_le_i32_e32 vcc_lo, s15, v0
	s_or_b32 s1, vcc_lo, s1
	s_wait_dscnt 0x0
	v_pk_mul_f32 v[12:13], v[2:3], v[10:11]
	v_pk_fma_f32 v[14:15], v[4:5], v[10:11], v[12:13] op_sel:[0,1,0] op_sel_hi:[1,0,1] neg_lo:[0,0,1] neg_hi:[0,0,1]
	v_pk_fma_f32 v[10:11], v[4:5], v[10:11], v[12:13] op_sel:[0,1,0] op_sel_hi:[1,0,1]
	s_delay_alu instid0(VALU_DEP_2) | instskip(SKIP_1) | instid1(VALU_DEP_1)
	v_mov_b32_e32 v11, v15
	s_wait_loadcnt 0x0
	v_pk_add_f32 v[8:9], v[8:9], v[10:11]
	global_store_b64 v[6:7], v[8:9], off
	s_wait_xcnt 0x0
	v_add_nc_u64_e32 v[6:7], s[2:3], v[6:7]
	s_and_not1_b32 exec_lo, exec_lo, s1
	s_cbranch_execnz .LBB107_12
.LBB107_13:
	s_endpgm
	.section	.rodata,"a",@progbits
	.p2align	6, 0x0
	.amdhsa_kernel _ZN9rocsolver6v33100L17larf_right_kernelILi1024E19rocblas_complex_numIfEiPS3_EEvT1_S5_T2_lS5_lPKT0_lS6_lS5_l
		.amdhsa_group_segment_fixed_size 0
		.amdhsa_private_segment_fixed_size 0
		.amdhsa_kernarg_size 88
		.amdhsa_user_sgpr_count 2
		.amdhsa_user_sgpr_dispatch_ptr 0
		.amdhsa_user_sgpr_queue_ptr 0
		.amdhsa_user_sgpr_kernarg_segment_ptr 1
		.amdhsa_user_sgpr_dispatch_id 0
		.amdhsa_user_sgpr_kernarg_preload_length 0
		.amdhsa_user_sgpr_kernarg_preload_offset 0
		.amdhsa_user_sgpr_private_segment_size 0
		.amdhsa_wavefront_size32 1
		.amdhsa_uses_dynamic_stack 0
		.amdhsa_enable_private_segment 0
		.amdhsa_system_sgpr_workgroup_id_x 1
		.amdhsa_system_sgpr_workgroup_id_y 1
		.amdhsa_system_sgpr_workgroup_id_z 1
		.amdhsa_system_sgpr_workgroup_info 0
		.amdhsa_system_vgpr_workitem_id 0
		.amdhsa_next_free_vgpr 20
		.amdhsa_next_free_sgpr 26
		.amdhsa_named_barrier_count 0
		.amdhsa_reserve_vcc 1
		.amdhsa_float_round_mode_32 0
		.amdhsa_float_round_mode_16_64 0
		.amdhsa_float_denorm_mode_32 3
		.amdhsa_float_denorm_mode_16_64 3
		.amdhsa_fp16_overflow 0
		.amdhsa_memory_ordered 1
		.amdhsa_forward_progress 1
		.amdhsa_inst_pref_size 14
		.amdhsa_round_robin_scheduling 0
		.amdhsa_exception_fp_ieee_invalid_op 0
		.amdhsa_exception_fp_denorm_src 0
		.amdhsa_exception_fp_ieee_div_zero 0
		.amdhsa_exception_fp_ieee_overflow 0
		.amdhsa_exception_fp_ieee_underflow 0
		.amdhsa_exception_fp_ieee_inexact 0
		.amdhsa_exception_int_div_zero 0
	.end_amdhsa_kernel
	.section	.text._ZN9rocsolver6v33100L17larf_right_kernelILi1024E19rocblas_complex_numIfEiPS3_EEvT1_S5_T2_lS5_lPKT0_lS6_lS5_l,"axG",@progbits,_ZN9rocsolver6v33100L17larf_right_kernelILi1024E19rocblas_complex_numIfEiPS3_EEvT1_S5_T2_lS5_lPKT0_lS6_lS5_l,comdat
.Lfunc_end107:
	.size	_ZN9rocsolver6v33100L17larf_right_kernelILi1024E19rocblas_complex_numIfEiPS3_EEvT1_S5_T2_lS5_lPKT0_lS6_lS5_l, .Lfunc_end107-_ZN9rocsolver6v33100L17larf_right_kernelILi1024E19rocblas_complex_numIfEiPS3_EEvT1_S5_T2_lS5_lPKT0_lS6_lS5_l
                                        ; -- End function
	.set _ZN9rocsolver6v33100L17larf_right_kernelILi1024E19rocblas_complex_numIfEiPS3_EEvT1_S5_T2_lS5_lPKT0_lS6_lS5_l.num_vgpr, 20
	.set _ZN9rocsolver6v33100L17larf_right_kernelILi1024E19rocblas_complex_numIfEiPS3_EEvT1_S5_T2_lS5_lPKT0_lS6_lS5_l.num_agpr, 0
	.set _ZN9rocsolver6v33100L17larf_right_kernelILi1024E19rocblas_complex_numIfEiPS3_EEvT1_S5_T2_lS5_lPKT0_lS6_lS5_l.numbered_sgpr, 26
	.set _ZN9rocsolver6v33100L17larf_right_kernelILi1024E19rocblas_complex_numIfEiPS3_EEvT1_S5_T2_lS5_lPKT0_lS6_lS5_l.num_named_barrier, 0
	.set _ZN9rocsolver6v33100L17larf_right_kernelILi1024E19rocblas_complex_numIfEiPS3_EEvT1_S5_T2_lS5_lPKT0_lS6_lS5_l.private_seg_size, 0
	.set _ZN9rocsolver6v33100L17larf_right_kernelILi1024E19rocblas_complex_numIfEiPS3_EEvT1_S5_T2_lS5_lPKT0_lS6_lS5_l.uses_vcc, 1
	.set _ZN9rocsolver6v33100L17larf_right_kernelILi1024E19rocblas_complex_numIfEiPS3_EEvT1_S5_T2_lS5_lPKT0_lS6_lS5_l.uses_flat_scratch, 0
	.set _ZN9rocsolver6v33100L17larf_right_kernelILi1024E19rocblas_complex_numIfEiPS3_EEvT1_S5_T2_lS5_lPKT0_lS6_lS5_l.has_dyn_sized_stack, 0
	.set _ZN9rocsolver6v33100L17larf_right_kernelILi1024E19rocblas_complex_numIfEiPS3_EEvT1_S5_T2_lS5_lPKT0_lS6_lS5_l.has_recursion, 0
	.set _ZN9rocsolver6v33100L17larf_right_kernelILi1024E19rocblas_complex_numIfEiPS3_EEvT1_S5_T2_lS5_lPKT0_lS6_lS5_l.has_indirect_call, 0
	.section	.AMDGPU.csdata,"",@progbits
; Kernel info:
; codeLenInByte = 1712
; TotalNumSgprs: 28
; NumVgprs: 20
; ScratchSize: 0
; MemoryBound: 0
; FloatMode: 240
; IeeeMode: 1
; LDSByteSize: 0 bytes/workgroup (compile time only)
; SGPRBlocks: 0
; VGPRBlocks: 1
; NumSGPRsForWavesPerEU: 28
; NumVGPRsForWavesPerEU: 20
; NamedBarCnt: 0
; Occupancy: 16
; WaveLimiterHint : 0
; COMPUTE_PGM_RSRC2:SCRATCH_EN: 0
; COMPUTE_PGM_RSRC2:USER_SGPR: 2
; COMPUTE_PGM_RSRC2:TRAP_HANDLER: 0
; COMPUTE_PGM_RSRC2:TGID_X_EN: 1
; COMPUTE_PGM_RSRC2:TGID_Y_EN: 1
; COMPUTE_PGM_RSRC2:TGID_Z_EN: 1
; COMPUTE_PGM_RSRC2:TIDIG_COMP_CNT: 0
	.section	.text._ZN9rocsolver6v33100L12restore_diagI19rocblas_complex_numIfEifPS3_EEvPT1_llT2_lT0_lS8_,"axG",@progbits,_ZN9rocsolver6v33100L12restore_diagI19rocblas_complex_numIfEifPS3_EEvPT1_llT2_lT0_lS8_,comdat
	.globl	_ZN9rocsolver6v33100L12restore_diagI19rocblas_complex_numIfEifPS3_EEvPT1_llT2_lT0_lS8_ ; -- Begin function _ZN9rocsolver6v33100L12restore_diagI19rocblas_complex_numIfEifPS3_EEvPT1_llT2_lT0_lS8_
	.p2align	8
	.type	_ZN9rocsolver6v33100L12restore_diagI19rocblas_complex_numIfEifPS3_EEvPT1_llT2_lT0_lS8_,@function
_ZN9rocsolver6v33100L12restore_diagI19rocblas_complex_numIfEifPS3_EEvPT1_llT2_lT0_lS8_: ; @_ZN9rocsolver6v33100L12restore_diagI19rocblas_complex_numIfEifPS3_EEvPT1_llT2_lT0_lS8_
; %bb.0:
	s_clause 0x1
	s_load_u16 s3, s[0:1], 0x4e
	s_load_b32 s4, s[0:1], 0x38
	s_bfe_u32 s2, ttmp6, 0x40010
	s_bfe_u32 s5, ttmp6, 0x40004
	s_add_co_i32 s2, s2, 1
	v_bfe_u32 v0, v0, 10, 10
	s_mul_i32 s2, ttmp7, s2
	s_delay_alu instid0(SALU_CYCLE_1) | instskip(SKIP_1) | instid1(SALU_CYCLE_1)
	s_add_co_i32 s5, s5, s2
	s_getreg_b32 s2, hwreg(HW_REG_IB_STS2, 6, 4)
	s_cmp_eq_u32 s2, 0
	s_cselect_b32 s5, ttmp7, s5
	s_wait_kmcnt 0x0
	v_mad_u32 v0, s5, s3, v0
	s_mov_b32 s3, exec_lo
	s_delay_alu instid0(VALU_DEP_1)
	v_cmpx_gt_i32_e64 s4, v0
	s_cbranch_execz .LBB108_2
; %bb.1:
	s_load_b256 s[4:11], s[0:1], 0x0
	s_bfe_u32 s3, ttmp6, 0x4000c
	s_and_b32 s12, ttmp6, 15
	s_add_co_i32 s3, s3, 1
	v_mov_b32_e32 v3, 0
	s_mul_i32 s3, ttmp9, s3
	s_delay_alu instid0(SALU_CYCLE_1) | instskip(SKIP_2) | instid1(SALU_CYCLE_1)
	s_add_co_i32 s12, s12, s3
	s_cmp_eq_u32 s2, 0
	s_cselect_b32 s2, ttmp9, s12
	s_ashr_i32 s3, s2, 31
	s_wait_kmcnt 0x0
	s_mul_u64 s[8:9], s[8:9], s[2:3]
	s_lshl_b64 s[6:7], s[6:7], 2
	s_lshl_b64 s[8:9], s[8:9], 2
	s_delay_alu instid0(SALU_CYCLE_1) | instskip(NEXT) | instid1(SALU_CYCLE_1)
	s_add_nc_u64 s[4:5], s[4:5], s[8:9]
	s_add_nc_u64 s[4:5], s[4:5], s[6:7]
	global_load_b32 v2, v0, s[4:5] scale_offset
	s_wait_xcnt 0x0
	s_clause 0x1
	s_load_b96 s[4:6], s[0:1], 0x20
	s_load_b64 s[8:9], s[0:1], 0x30
	s_wait_kmcnt 0x0
	v_mad_u32 v0, v0, s6, v0
	s_mul_u64 s[0:1], s[8:9], s[2:3]
	s_lshl_b64 s[2:3], s[4:5], 3
	s_lshl_b64 s[0:1], s[0:1], 3
	s_delay_alu instid0(SALU_CYCLE_1) | instskip(NEXT) | instid1(SALU_CYCLE_1)
	s_add_nc_u64 s[0:1], s[10:11], s[0:1]
	s_add_nc_u64 s[0:1], s[0:1], s[2:3]
	s_wait_loadcnt 0x0
	global_store_b64 v0, v[2:3], s[0:1] scale_offset
.LBB108_2:
	s_endpgm
	.section	.rodata,"a",@progbits
	.p2align	6, 0x0
	.amdhsa_kernel _ZN9rocsolver6v33100L12restore_diagI19rocblas_complex_numIfEifPS3_EEvPT1_llT2_lT0_lS8_
		.amdhsa_group_segment_fixed_size 0
		.amdhsa_private_segment_fixed_size 0
		.amdhsa_kernarg_size 320
		.amdhsa_user_sgpr_count 2
		.amdhsa_user_sgpr_dispatch_ptr 0
		.amdhsa_user_sgpr_queue_ptr 0
		.amdhsa_user_sgpr_kernarg_segment_ptr 1
		.amdhsa_user_sgpr_dispatch_id 0
		.amdhsa_user_sgpr_kernarg_preload_length 0
		.amdhsa_user_sgpr_kernarg_preload_offset 0
		.amdhsa_user_sgpr_private_segment_size 0
		.amdhsa_wavefront_size32 1
		.amdhsa_uses_dynamic_stack 0
		.amdhsa_enable_private_segment 0
		.amdhsa_system_sgpr_workgroup_id_x 1
		.amdhsa_system_sgpr_workgroup_id_y 1
		.amdhsa_system_sgpr_workgroup_id_z 0
		.amdhsa_system_sgpr_workgroup_info 0
		.amdhsa_system_vgpr_workitem_id 1
		.amdhsa_next_free_vgpr 4
		.amdhsa_next_free_sgpr 13
		.amdhsa_named_barrier_count 0
		.amdhsa_reserve_vcc 0
		.amdhsa_float_round_mode_32 0
		.amdhsa_float_round_mode_16_64 0
		.amdhsa_float_denorm_mode_32 3
		.amdhsa_float_denorm_mode_16_64 3
		.amdhsa_fp16_overflow 0
		.amdhsa_memory_ordered 1
		.amdhsa_forward_progress 1
		.amdhsa_inst_pref_size 3
		.amdhsa_round_robin_scheduling 0
		.amdhsa_exception_fp_ieee_invalid_op 0
		.amdhsa_exception_fp_denorm_src 0
		.amdhsa_exception_fp_ieee_div_zero 0
		.amdhsa_exception_fp_ieee_overflow 0
		.amdhsa_exception_fp_ieee_underflow 0
		.amdhsa_exception_fp_ieee_inexact 0
		.amdhsa_exception_int_div_zero 0
	.end_amdhsa_kernel
	.section	.text._ZN9rocsolver6v33100L12restore_diagI19rocblas_complex_numIfEifPS3_EEvPT1_llT2_lT0_lS8_,"axG",@progbits,_ZN9rocsolver6v33100L12restore_diagI19rocblas_complex_numIfEifPS3_EEvPT1_llT2_lT0_lS8_,comdat
.Lfunc_end108:
	.size	_ZN9rocsolver6v33100L12restore_diagI19rocblas_complex_numIfEifPS3_EEvPT1_llT2_lT0_lS8_, .Lfunc_end108-_ZN9rocsolver6v33100L12restore_diagI19rocblas_complex_numIfEifPS3_EEvPT1_llT2_lT0_lS8_
                                        ; -- End function
	.set _ZN9rocsolver6v33100L12restore_diagI19rocblas_complex_numIfEifPS3_EEvPT1_llT2_lT0_lS8_.num_vgpr, 4
	.set _ZN9rocsolver6v33100L12restore_diagI19rocblas_complex_numIfEifPS3_EEvPT1_llT2_lT0_lS8_.num_agpr, 0
	.set _ZN9rocsolver6v33100L12restore_diagI19rocblas_complex_numIfEifPS3_EEvPT1_llT2_lT0_lS8_.numbered_sgpr, 13
	.set _ZN9rocsolver6v33100L12restore_diagI19rocblas_complex_numIfEifPS3_EEvPT1_llT2_lT0_lS8_.num_named_barrier, 0
	.set _ZN9rocsolver6v33100L12restore_diagI19rocblas_complex_numIfEifPS3_EEvPT1_llT2_lT0_lS8_.private_seg_size, 0
	.set _ZN9rocsolver6v33100L12restore_diagI19rocblas_complex_numIfEifPS3_EEvPT1_llT2_lT0_lS8_.uses_vcc, 0
	.set _ZN9rocsolver6v33100L12restore_diagI19rocblas_complex_numIfEifPS3_EEvPT1_llT2_lT0_lS8_.uses_flat_scratch, 0
	.set _ZN9rocsolver6v33100L12restore_diagI19rocblas_complex_numIfEifPS3_EEvPT1_llT2_lT0_lS8_.has_dyn_sized_stack, 0
	.set _ZN9rocsolver6v33100L12restore_diagI19rocblas_complex_numIfEifPS3_EEvPT1_llT2_lT0_lS8_.has_recursion, 0
	.set _ZN9rocsolver6v33100L12restore_diagI19rocblas_complex_numIfEifPS3_EEvPT1_llT2_lT0_lS8_.has_indirect_call, 0
	.section	.AMDGPU.csdata,"",@progbits
; Kernel info:
; codeLenInByte = 276
; TotalNumSgprs: 13
; NumVgprs: 4
; ScratchSize: 0
; MemoryBound: 0
; FloatMode: 240
; IeeeMode: 1
; LDSByteSize: 0 bytes/workgroup (compile time only)
; SGPRBlocks: 0
; VGPRBlocks: 0
; NumSGPRsForWavesPerEU: 13
; NumVGPRsForWavesPerEU: 4
; NamedBarCnt: 0
; Occupancy: 16
; WaveLimiterHint : 0
; COMPUTE_PGM_RSRC2:SCRATCH_EN: 0
; COMPUTE_PGM_RSRC2:USER_SGPR: 2
; COMPUTE_PGM_RSRC2:TRAP_HANDLER: 0
; COMPUTE_PGM_RSRC2:TGID_X_EN: 1
; COMPUTE_PGM_RSRC2:TGID_Y_EN: 1
; COMPUTE_PGM_RSRC2:TGID_Z_EN: 0
; COMPUTE_PGM_RSRC2:TIDIG_COMP_CNT: 1
	.section	.text._ZN9rocsolver6v33100L14set_triangularI19rocblas_complex_numIfEPS3_TnNSt9enable_ifIX18rocblas_is_complexIT_EEiE4typeELi0EEEviiT0_iilPS6_lSA_il15rocblas_direct_15rocblas_storev_b,"axG",@progbits,_ZN9rocsolver6v33100L14set_triangularI19rocblas_complex_numIfEPS3_TnNSt9enable_ifIX18rocblas_is_complexIT_EEiE4typeELi0EEEviiT0_iilPS6_lSA_il15rocblas_direct_15rocblas_storev_b,comdat
	.globl	_ZN9rocsolver6v33100L14set_triangularI19rocblas_complex_numIfEPS3_TnNSt9enable_ifIX18rocblas_is_complexIT_EEiE4typeELi0EEEviiT0_iilPS6_lSA_il15rocblas_direct_15rocblas_storev_b ; -- Begin function _ZN9rocsolver6v33100L14set_triangularI19rocblas_complex_numIfEPS3_TnNSt9enable_ifIX18rocblas_is_complexIT_EEiE4typeELi0EEEviiT0_iilPS6_lSA_il15rocblas_direct_15rocblas_storev_b
	.p2align	8
	.type	_ZN9rocsolver6v33100L14set_triangularI19rocblas_complex_numIfEPS3_TnNSt9enable_ifIX18rocblas_is_complexIT_EEiE4typeELi0EEEviiT0_iilPS6_lSA_il15rocblas_direct_15rocblas_storev_b,@function
_ZN9rocsolver6v33100L14set_triangularI19rocblas_complex_numIfEPS3_TnNSt9enable_ifIX18rocblas_is_complexIT_EEiE4typeELi0EEEviiT0_iilPS6_lSA_il15rocblas_direct_15rocblas_storev_b: ; @_ZN9rocsolver6v33100L14set_triangularI19rocblas_complex_numIfEPS3_TnNSt9enable_ifIX18rocblas_is_complexIT_EEiE4typeELi0EEEviiT0_iilPS6_lSA_il15rocblas_direct_15rocblas_storev_b
; %bb.0:
	s_clause 0x1
	s_load_b32 s2, s[0:1], 0x64
	s_load_b64 s[18:19], s[0:1], 0x0
	s_bfe_u32 s5, ttmp6, 0x40010
	s_bfe_u32 s8, ttmp6, 0x4000c
	s_and_b32 s4, ttmp7, 0xffff
	s_add_co_i32 s5, s5, 1
	s_add_co_i32 s8, s8, 1
	s_bfe_u32 s6, ttmp6, 0x40004
	s_and_b32 s7, ttmp6, 15
	s_mul_i32 s5, s4, s5
	s_mul_i32 s8, ttmp9, s8
	s_getreg_b32 s3, hwreg(HW_REG_IB_STS2, 6, 4)
	v_and_b32_e32 v1, 0x3ff, v0
	v_bfe_u32 v2, v0, 10, 10
	s_add_co_i32 s6, s6, s5
	s_add_co_i32 s7, s7, s8
	s_mov_b32 s21, 0
	s_wait_kmcnt 0x0
	s_lshr_b32 s5, s2, 16
	s_and_b32 s2, s2, 0xffff
	s_cmp_eq_u32 s3, 0
	s_cselect_b32 s7, ttmp9, s7
	s_cselect_b32 s4, s4, s6
	v_mad_u32 v0, s7, s2, v1
	v_mad_u32 v2, s4, s5, v2
	s_mov_b32 s2, exec_lo
	s_delay_alu instid0(VALU_DEP_1) | instskip(NEXT) | instid1(VALU_DEP_1)
	v_max_u32_e32 v1, v0, v2
	v_cmpx_gt_u32_e64 s19, v1
	s_cbranch_execz .LBB109_36
; %bb.1:
	s_clause 0x2
	s_load_b256 s[4:11], s[0:1], 0x18
	s_load_b64 s[12:13], s[0:1], 0x40
	s_load_b32 s2, s[0:1], 0x38
	s_bfe_u32 s14, ttmp6, 0x40014
	s_lshr_b32 s15, ttmp7, 16
	s_add_co_i32 s14, s14, 1
	s_bfe_u32 s16, ttmp6, 0x40008
	s_mul_i32 s14, s15, s14
	s_delay_alu instid0(SALU_CYCLE_1)
	s_add_co_i32 s16, s16, s14
	s_cmp_eq_u32 s3, 0
	s_mov_b32 s3, exec_lo
	s_cselect_b32 s20, s15, s16
	s_wait_kmcnt 0x0
	s_mul_u64 s[8:9], s[8:9], s[20:21]
	s_mul_u64 s[12:13], s[12:13], s[20:21]
	s_lshl_b64 s[8:9], s[8:9], 3
	s_lshl_b64 s[12:13], s[12:13], 3
	s_add_nc_u64 s[16:17], s[6:7], s[8:9]
	s_add_nc_u64 s[6:7], s[10:11], s[12:13]
	v_cmpx_ne_u32_e64 v2, v0
	s_xor_b32 s15, exec_lo, s3
	s_cbranch_execz .LBB109_34
; %bb.2:
	s_clause 0x1
	s_load_b128 s[8:11], s[0:1], 0x8
	s_load_b96 s[12:14], s[0:1], 0x48
	s_wait_xcnt 0x0
	s_mul_u64 s[0:1], s[4:5], s[20:21]
	v_mov_b32_e32 v1, 0
	s_lshl_b64 s[0:1], s[0:1], 3
	s_wait_kmcnt 0x0
	s_ashr_i32 s5, s10, 31
	s_mov_b32 s4, s10
	s_add_nc_u64 s[0:1], s[8:9], s[0:1]
	s_lshl_b64 s[4:5], s[4:5], 3
	s_bitcmp1_b32 s14, 0
	s_add_nc_u64 s[0:1], s[0:1], s[4:5]
	s_cselect_b32 s3, -1, 0
	s_delay_alu instid0(SALU_CYCLE_1)
	s_xor_b32 s4, s3, -1
	s_cmp_lg_u32 s12, 0xab
	s_mov_b32 s3, -1
	s_cbranch_scc0 .LBB109_18
; %bb.3:
	s_mov_b32 s3, exec_lo
	v_cmpx_le_u32_e64 v2, v0
	s_xor_b32 s5, exec_lo, s3
	s_cbranch_execz .LBB109_5
; %bb.4:
	s_ashr_i32 s3, s2, 31
	v_mov_b32_e32 v3, 0
	v_mul_u64_e32 v[4:5], s[2:3], v[0:1]
	v_mov_b64_e32 v[6:7], 0
	s_delay_alu instid0(VALU_DEP_2) | instskip(NEXT) | instid1(VALU_DEP_1)
	v_lshl_add_u64 v[4:5], v[4:5], 3, s[6:7]
	v_lshl_add_u64 v[4:5], v[2:3], 3, v[4:5]
	global_store_b64 v[4:5], v[6:7], off
.LBB109_5:
	s_wait_xcnt 0x0
	s_and_not1_saveexec_b32 s5, s5
	s_cbranch_execz .LBB109_17
; %bb.6:
	v_lshl_add_u64 v[4:5], v[0:1], 3, s[16:17]
	s_cmp_lg_u32 s13, 0xb5
	s_mov_b32 s3, -1
	global_load_b64 v[4:5], v[4:5], off
	s_cbranch_scc0 .LBB109_12
; %bb.7:
	v_mov_b32_e32 v3, 0
	s_and_not1_b32 vcc_lo, exec_lo, s4
	s_delay_alu instid0(VALU_DEP_1)
	v_lshlrev_b64_e32 v[6:7], 3, v[2:3]
	s_cbranch_vccnz .LBB109_9
; %bb.8:
	s_sub_co_i32 s3, s18, s19
	s_ashr_i32 s9, s11, 31
	v_dual_mov_b32 v9, v3 :: v_dual_add_nc_u32 v8, s3, v0
	s_mov_b32 s8, s11
	s_ashr_i32 s3, s2, 31
	s_wait_loadcnt 0x0
	v_mov_b32_e32 v12, v5
	v_mul_u64_e32 v[10:11], s[2:3], v[0:1]
	v_mul_u64_e32 v[8:9], s[8:9], v[8:9]
	s_mov_b32 s3, 0
	s_delay_alu instid0(VALU_DEP_2) | instskip(NEXT) | instid1(VALU_DEP_2)
	v_lshl_add_u64 v[10:11], v[10:11], 3, s[6:7]
	v_lshl_add_u64 v[8:9], v[8:9], 3, s[0:1]
	s_delay_alu instid0(VALU_DEP_2) | instskip(NEXT) | instid1(VALU_DEP_2)
	v_add_nc_u64_e32 v[10:11], v[10:11], v[6:7]
	v_add_nc_u64_e32 v[8:9], v[8:9], v[6:7]
	global_load_b64 v[8:9], v[8:9], off
	s_wait_loadcnt 0x0
	v_pk_mul_f32 v[12:13], v[12:13], v[8:9] op_sel_hi:[0,1] neg_lo:[1,0]
	s_wait_xcnt 0x0
	s_delay_alu instid0(VALU_DEP_1)
	v_pk_fma_f32 v[8:9], v[4:5], v[8:9], v[12:13] op_sel:[0,0,1] op_sel_hi:[0,1,0] neg_lo:[1,0,0] neg_hi:[1,0,0]
	global_store_b64 v[10:11], v[8:9], off
.LBB109_9:
	s_and_not1_b32 vcc_lo, exec_lo, s3
	s_cbranch_vccnz .LBB109_11
; %bb.10:
	s_sub_co_i32 s3, s18, s19
	s_wait_xcnt 0x0
	v_dual_mov_b32 v9, 0 :: v_dual_add_nc_u32 v8, s3, v0
	s_ashr_i32 s3, s2, 31
	s_ashr_i32 s9, s11, 31
	s_mov_b32 s8, s11
	v_mul_u64_e32 v[10:11], s[2:3], v[0:1]
	v_mul_u64_e32 v[8:9], s[8:9], v[8:9]
	s_delay_alu instid0(VALU_DEP_2) | instskip(NEXT) | instid1(VALU_DEP_2)
	v_lshl_add_u64 v[10:11], v[10:11], 3, s[6:7]
	v_lshl_add_u64 v[8:9], v[8:9], 3, s[0:1]
	s_delay_alu instid0(VALU_DEP_2) | instskip(NEXT) | instid1(VALU_DEP_2)
	v_add_nc_u64_e32 v[10:11], v[10:11], v[6:7]
	v_add_nc_u64_e32 v[6:7], v[8:9], v[6:7]
	global_load_b64 v[8:9], v[10:11], off
	global_load_b64 v[12:13], v[6:7], off
	s_wait_loadcnt 0x0
	v_pk_add_f32 v[6:7], v[12:13], v[8:9]
	v_mov_b32_e32 v8, v5
	s_delay_alu instid0(VALU_DEP_2) | instskip(NEXT) | instid1(VALU_DEP_1)
	v_pk_mul_f32 v[12:13], v[4:5], v[6:7] op_sel:[0,1] op_sel_hi:[0,0]
	v_pk_fma_f32 v[6:7], v[8:9], v[6:7], v[12:13] op_sel_hi:[0,1,1] neg_lo:[1,0,1] neg_hi:[0,0,1]
	s_delay_alu instid0(VALU_DEP_1)
	v_dual_mov_b32 v8, v7 :: v_dual_mov_b32 v9, v6
	global_store_b64 v[10:11], v[8:9], off
.LBB109_11:
	s_mov_b32 s3, 0
.LBB109_12:
	s_delay_alu instid0(SALU_CYCLE_1)
	s_and_not1_b32 vcc_lo, exec_lo, s3
	s_cbranch_vccnz .LBB109_17
; %bb.13:
	s_and_not1_b32 vcc_lo, exec_lo, s4
	s_mov_b32 s3, -1
	s_cbranch_vccnz .LBB109_15
; %bb.14:
	s_sub_co_i32 s3, s18, s19
	s_delay_alu instid0(SALU_CYCLE_1) | instskip(SKIP_3) | instid1(VALU_DEP_1)
	v_dual_mov_b32 v7, 0 :: v_dual_add_nc_u32 v6, s3, v0
	s_ashr_i32 s9, s11, 31
	s_mov_b32 s8, s11
	s_wait_loadcnt 0x0
	v_dual_mov_b32 v10, v5 :: v_dual_mov_b32 v3, v7
	s_ashr_i32 s3, s2, 31
	s_delay_alu instid0(VALU_DEP_1) | instskip(NEXT) | instid1(VALU_DEP_1)
	v_mul_u64_e32 v[8:9], s[8:9], v[2:3]
	v_lshl_add_u64 v[8:9], v[8:9], 3, s[0:1]
	s_delay_alu instid0(VALU_DEP_1) | instskip(SKIP_4) | instid1(VALU_DEP_1)
	v_lshl_add_u64 v[6:7], v[6:7], 3, v[8:9]
	v_mul_u64_e32 v[8:9], s[2:3], v[0:1]
	s_mov_b32 s3, 0
	global_load_b64 v[6:7], v[6:7], off
	v_lshl_add_u64 v[8:9], v[8:9], 3, s[6:7]
	v_lshl_add_u64 v[8:9], v[2:3], 3, v[8:9]
	s_wait_loadcnt 0x0
	v_pk_mul_f32 v[10:11], v[10:11], v[6:7] op_sel:[0,1] op_sel_hi:[0,0]
	s_wait_xcnt 0x0
	s_delay_alu instid0(VALU_DEP_1)
	v_pk_fma_f32 v[6:7], v[6:7], v[4:5], v[10:11] op_sel_hi:[1,0,1] neg_lo:[0,1,1] neg_hi:[0,0,1]
	global_store_b64 v[8:9], v[6:7], off
.LBB109_15:
	s_and_not1_b32 vcc_lo, exec_lo, s3
	s_cbranch_vccnz .LBB109_17
; %bb.16:
	s_ashr_i32 s3, s2, 31
	s_ashr_i32 s9, s11, 31
	s_wait_xcnt 0x0
	v_mul_u64_e32 v[6:7], s[2:3], v[0:1]
	s_sub_co_i32 s3, s18, s19
	s_delay_alu instid0(SALU_CYCLE_1)
	v_dual_mov_b32 v3, 0 :: v_dual_add_nc_u32 v10, s3, v0
	s_mov_b32 s8, s11
	s_delay_alu instid0(VALU_DEP_1) | instid1(SALU_CYCLE_1)
	v_mul_u64_e32 v[8:9], s[8:9], v[2:3]
	v_mov_b32_e32 v11, v3
	s_delay_alu instid0(VALU_DEP_4) | instskip(NEXT) | instid1(VALU_DEP_1)
	v_lshl_add_u64 v[6:7], v[6:7], 3, s[6:7]
	v_lshl_add_u64 v[6:7], v[2:3], 3, v[6:7]
	s_delay_alu instid0(VALU_DEP_4) | instskip(NEXT) | instid1(VALU_DEP_1)
	v_lshl_add_u64 v[8:9], v[8:9], 3, s[0:1]
	v_lshl_add_u64 v[8:9], v[10:11], 3, v[8:9]
	global_load_b64 v[10:11], v[6:7], off
	global_load_b64 v[12:13], v[8:9], off
	s_wait_loadcnt 0x0
	v_pk_add_f32 v[8:9], v[12:13], v[10:11] op_sel:[1,1] op_sel_hi:[0,0]
	v_pk_add_f32 v[10:11], v[10:11], v[12:13] op_sel:[1,1] op_sel_hi:[0,0] neg_lo:[0,1] neg_hi:[0,1]
	s_delay_alu instid0(VALU_DEP_2) | instskip(NEXT) | instid1(VALU_DEP_2)
	v_dual_mov_b32 v8, v5 :: v_dual_mov_b32 v12, v9
	v_dual_mov_b32 v13, v10 :: v_dual_mov_b32 v11, v9
	s_delay_alu instid0(VALU_DEP_1) | instskip(NEXT) | instid1(VALU_DEP_1)
	v_pk_mul_f32 v[4:5], v[4:5], v[12:13] op_sel_hi:[0,1]
	v_pk_fma_f32 v[4:5], v[8:9], v[10:11], v[4:5] op_sel_hi:[0,1,1] neg_lo:[0,0,1] neg_hi:[1,0,1]
	global_store_b64 v[6:7], v[4:5], off
.LBB109_17:
	s_wait_xcnt 0x0
	s_or_b32 exec_lo, exec_lo, s5
	s_mov_b32 s3, 0
.LBB109_18:
	s_delay_alu instid0(SALU_CYCLE_1)
	s_and_not1_b32 vcc_lo, exec_lo, s3
	s_cbranch_vccnz .LBB109_34
; %bb.19:
	s_mov_b32 s3, exec_lo
	v_cmpx_ge_u32_e64 v2, v0
	s_xor_b32 s5, exec_lo, s3
	s_cbranch_execz .LBB109_21
; %bb.20:
	s_ashr_i32 s3, s2, 31
	v_mov_b32_e32 v3, 0
	v_mul_u64_e32 v[0:1], s[2:3], v[0:1]
	s_wait_loadcnt 0x0
	v_mov_b64_e32 v[4:5], 0
	s_delay_alu instid0(VALU_DEP_2) | instskip(NEXT) | instid1(VALU_DEP_1)
	v_lshl_add_u64 v[0:1], v[0:1], 3, s[6:7]
	v_lshl_add_u64 v[0:1], v[2:3], 3, v[0:1]
                                        ; implicit-def: $vgpr2
	global_store_b64 v[0:1], v[4:5], off
                                        ; implicit-def: $vgpr0_vgpr1
.LBB109_21:
	s_wait_xcnt 0x0
	s_and_not1_saveexec_b32 s5, s5
	s_cbranch_execz .LBB109_33
; %bb.22:
	s_wait_loadcnt 0x0
	v_lshl_add_u64 v[4:5], v[0:1], 3, s[16:17]
	v_cndmask_b32_e64 v3, 0, 1, s4
	s_cmp_lg_u32 s13, 0xb5
	s_mov_b32 s3, -1
	global_load_b64 v[4:5], v[4:5], off
	v_cmp_ne_u32_e32 vcc_lo, 1, v3
	s_cbranch_scc0 .LBB109_28
; %bb.23:
	v_mov_b32_e32 v3, 0
	s_and_b32 vcc_lo, exec_lo, vcc_lo
	s_delay_alu instid0(VALU_DEP_1)
	v_lshlrev_b64_e32 v[6:7], 3, v[2:3]
	s_cbranch_vccnz .LBB109_25
; %bb.24:
	s_ashr_i32 s9, s11, 31
	s_mov_b32 s8, s11
	s_ashr_i32 s3, s2, 31
	v_mul_u64_e32 v[8:9], s[8:9], v[0:1]
	v_mul_u64_e32 v[10:11], s[2:3], v[0:1]
	s_wait_loadcnt 0x0
	v_mov_b32_e32 v12, v5
	s_mov_b32 s3, 0
	s_delay_alu instid0(VALU_DEP_3) | instskip(NEXT) | instid1(VALU_DEP_3)
	v_lshl_add_u64 v[8:9], v[8:9], 3, s[0:1]
	v_lshl_add_u64 v[10:11], v[10:11], 3, s[6:7]
	s_delay_alu instid0(VALU_DEP_2) | instskip(NEXT) | instid1(VALU_DEP_2)
	v_add_nc_u64_e32 v[8:9], v[8:9], v[6:7]
	v_add_nc_u64_e32 v[10:11], v[10:11], v[6:7]
	global_load_b64 v[8:9], v[8:9], off
	s_wait_loadcnt 0x0
	v_pk_mul_f32 v[12:13], v[12:13], v[8:9] op_sel_hi:[0,1] neg_lo:[1,0]
	s_wait_xcnt 0x0
	s_delay_alu instid0(VALU_DEP_1)
	v_pk_fma_f32 v[8:9], v[4:5], v[8:9], v[12:13] op_sel:[0,0,1] op_sel_hi:[0,1,0] neg_lo:[1,0,0] neg_hi:[1,0,0]
	global_store_b64 v[10:11], v[8:9], off
.LBB109_25:
	s_and_not1_b32 vcc_lo, exec_lo, s3
	s_cbranch_vccnz .LBB109_27
; %bb.26:
	s_ashr_i32 s3, s2, 31
	s_ashr_i32 s9, s11, 31
	s_mov_b32 s8, s11
	s_wait_xcnt 0x0
	v_mul_u64_e32 v[8:9], s[2:3], v[0:1]
	v_mul_u64_e32 v[10:11], s[8:9], v[0:1]
	s_delay_alu instid0(VALU_DEP_2) | instskip(NEXT) | instid1(VALU_DEP_2)
	v_lshl_add_u64 v[8:9], v[8:9], 3, s[6:7]
	v_lshl_add_u64 v[10:11], v[10:11], 3, s[0:1]
	s_delay_alu instid0(VALU_DEP_2) | instskip(NEXT) | instid1(VALU_DEP_2)
	v_add_nc_u64_e32 v[8:9], v[8:9], v[6:7]
	v_add_nc_u64_e32 v[6:7], v[10:11], v[6:7]
	global_load_b64 v[10:11], v[8:9], off
	global_load_b64 v[12:13], v[6:7], off
	s_wait_loadcnt 0x0
	v_pk_add_f32 v[6:7], v[12:13], v[10:11]
	v_mov_b32_e32 v10, v5
	s_delay_alu instid0(VALU_DEP_2) | instskip(NEXT) | instid1(VALU_DEP_1)
	v_pk_mul_f32 v[12:13], v[4:5], v[6:7] op_sel:[0,1] op_sel_hi:[0,0]
	v_pk_fma_f32 v[6:7], v[10:11], v[6:7], v[12:13] op_sel_hi:[0,1,1] neg_lo:[1,0,1] neg_hi:[0,0,1]
	s_delay_alu instid0(VALU_DEP_1)
	v_dual_mov_b32 v10, v7 :: v_dual_mov_b32 v11, v6
	global_store_b64 v[8:9], v[10:11], off
.LBB109_27:
	s_mov_b32 s3, 0
.LBB109_28:
	s_delay_alu instid0(SALU_CYCLE_1)
	s_and_not1_b32 vcc_lo, exec_lo, s3
	s_cbranch_vccnz .LBB109_33
; %bb.29:
	v_mov_b32_e32 v3, 0
	s_and_not1_b32 vcc_lo, exec_lo, s4
	s_mov_b32 s3, -1
	s_cbranch_vccnz .LBB109_31
; %bb.30:
	s_ashr_i32 s9, s11, 31
	s_mov_b32 s8, s11
	s_ashr_i32 s3, s2, 31
	v_mul_u64_e32 v[6:7], s[8:9], v[2:3]
	s_wait_xcnt 0x0
	v_mul_u64_e32 v[8:9], s[2:3], v[0:1]
	s_wait_loadcnt 0x0
	v_mov_b32_e32 v10, v5
	s_mov_b32 s3, 0
	s_delay_alu instid0(VALU_DEP_3) | instskip(NEXT) | instid1(VALU_DEP_3)
	v_lshl_add_u64 v[6:7], v[6:7], 3, s[0:1]
	v_lshl_add_u64 v[8:9], v[8:9], 3, s[6:7]
	s_delay_alu instid0(VALU_DEP_2) | instskip(NEXT) | instid1(VALU_DEP_2)
	v_lshl_add_u64 v[6:7], v[0:1], 3, v[6:7]
	v_lshl_add_u64 v[8:9], v[2:3], 3, v[8:9]
	global_load_b64 v[6:7], v[6:7], off
	s_wait_loadcnt 0x0
	v_pk_mul_f32 v[10:11], v[10:11], v[6:7] op_sel:[0,1] op_sel_hi:[0,0]
	s_wait_xcnt 0x0
	s_delay_alu instid0(VALU_DEP_1)
	v_pk_fma_f32 v[6:7], v[6:7], v[4:5], v[10:11] op_sel_hi:[1,0,1] neg_lo:[0,1,1] neg_hi:[0,0,1]
	global_store_b64 v[8:9], v[6:7], off
.LBB109_31:
	s_and_not1_b32 vcc_lo, exec_lo, s3
	s_cbranch_vccnz .LBB109_33
; %bb.32:
	s_ashr_i32 s3, s2, 31
	s_ashr_i32 s9, s11, 31
	s_mov_b32 s8, s11
	s_wait_xcnt 0x0
	v_mul_u64_e32 v[6:7], s[2:3], v[0:1]
	v_mul_u64_e32 v[8:9], s[8:9], v[2:3]
	s_delay_alu instid0(VALU_DEP_2) | instskip(NEXT) | instid1(VALU_DEP_2)
	v_lshl_add_u64 v[6:7], v[6:7], 3, s[6:7]
	v_lshl_add_u64 v[8:9], v[8:9], 3, s[0:1]
	s_delay_alu instid0(VALU_DEP_2) | instskip(NEXT) | instid1(VALU_DEP_2)
	v_lshl_add_u64 v[2:3], v[2:3], 3, v[6:7]
	v_lshl_add_u64 v[0:1], v[0:1], 3, v[8:9]
	global_load_b64 v[6:7], v[2:3], off
	global_load_b64 v[8:9], v[0:1], off
	s_wait_loadcnt 0x0
	v_pk_add_f32 v[0:1], v[8:9], v[6:7] op_sel:[1,1] op_sel_hi:[0,0]
	v_pk_add_f32 v[6:7], v[6:7], v[8:9] op_sel:[1,1] op_sel_hi:[0,0] neg_lo:[0,1] neg_hi:[0,1]
	s_delay_alu instid0(VALU_DEP_2) | instskip(NEXT) | instid1(VALU_DEP_2)
	v_dual_mov_b32 v0, v5 :: v_dual_mov_b32 v7, v1
	v_dual_mov_b32 v8, v1 :: v_dual_mov_b32 v9, v6
	s_delay_alu instid0(VALU_DEP_1) | instskip(NEXT) | instid1(VALU_DEP_1)
	v_pk_mul_f32 v[4:5], v[4:5], v[8:9] op_sel_hi:[0,1]
	v_pk_fma_f32 v[0:1], v[0:1], v[6:7], v[4:5] op_sel_hi:[0,1,1] neg_lo:[0,0,1] neg_hi:[1,0,1]
	global_store_b64 v[2:3], v[0:1], off
.LBB109_33:
	s_wait_xcnt 0x0
	s_or_b32 exec_lo, exec_lo, s5
                                        ; implicit-def: $vgpr0
.LBB109_34:
	s_and_not1_saveexec_b32 s0, s15
	s_cbranch_execz .LBB109_36
; %bb.35:
	global_load_b64 v[2:3], v0, s[16:17] scale_offset
	v_mov_b32_e32 v1, 0
	s_ashr_i32 s3, s2, 31
	s_wait_loadcnt 0x1
	s_delay_alu instid0(VALU_DEP_1) | instskip(SKIP_2) | instid1(VALU_DEP_2)
	v_mul_u64_e32 v[4:5], s[2:3], v[0:1]
	s_wait_xcnt 0x0
	v_lshlrev_b64_e32 v[0:1], 3, v[0:1]
	v_lshl_add_u64 v[4:5], v[4:5], 3, s[6:7]
	s_delay_alu instid0(VALU_DEP_1)
	v_add_nc_u64_e32 v[0:1], v[4:5], v[0:1]
	s_wait_loadcnt 0x0
	global_store_b64 v[0:1], v[2:3], off
.LBB109_36:
	s_endpgm
	.section	.rodata,"a",@progbits
	.p2align	6, 0x0
	.amdhsa_kernel _ZN9rocsolver6v33100L14set_triangularI19rocblas_complex_numIfEPS3_TnNSt9enable_ifIX18rocblas_is_complexIT_EEiE4typeELi0EEEviiT0_iilPS6_lSA_il15rocblas_direct_15rocblas_storev_b
		.amdhsa_group_segment_fixed_size 0
		.amdhsa_private_segment_fixed_size 0
		.amdhsa_kernarg_size 344
		.amdhsa_user_sgpr_count 2
		.amdhsa_user_sgpr_dispatch_ptr 0
		.amdhsa_user_sgpr_queue_ptr 0
		.amdhsa_user_sgpr_kernarg_segment_ptr 1
		.amdhsa_user_sgpr_dispatch_id 0
		.amdhsa_user_sgpr_kernarg_preload_length 0
		.amdhsa_user_sgpr_kernarg_preload_offset 0
		.amdhsa_user_sgpr_private_segment_size 0
		.amdhsa_wavefront_size32 1
		.amdhsa_uses_dynamic_stack 0
		.amdhsa_enable_private_segment 0
		.amdhsa_system_sgpr_workgroup_id_x 1
		.amdhsa_system_sgpr_workgroup_id_y 1
		.amdhsa_system_sgpr_workgroup_id_z 1
		.amdhsa_system_sgpr_workgroup_info 0
		.amdhsa_system_vgpr_workitem_id 1
		.amdhsa_next_free_vgpr 14
		.amdhsa_next_free_sgpr 22
		.amdhsa_named_barrier_count 0
		.amdhsa_reserve_vcc 1
		.amdhsa_float_round_mode_32 0
		.amdhsa_float_round_mode_16_64 0
		.amdhsa_float_denorm_mode_32 3
		.amdhsa_float_denorm_mode_16_64 3
		.amdhsa_fp16_overflow 0
		.amdhsa_memory_ordered 1
		.amdhsa_forward_progress 1
		.amdhsa_inst_pref_size 16
		.amdhsa_round_robin_scheduling 0
		.amdhsa_exception_fp_ieee_invalid_op 0
		.amdhsa_exception_fp_denorm_src 0
		.amdhsa_exception_fp_ieee_div_zero 0
		.amdhsa_exception_fp_ieee_overflow 0
		.amdhsa_exception_fp_ieee_underflow 0
		.amdhsa_exception_fp_ieee_inexact 0
		.amdhsa_exception_int_div_zero 0
	.end_amdhsa_kernel
	.section	.text._ZN9rocsolver6v33100L14set_triangularI19rocblas_complex_numIfEPS3_TnNSt9enable_ifIX18rocblas_is_complexIT_EEiE4typeELi0EEEviiT0_iilPS6_lSA_il15rocblas_direct_15rocblas_storev_b,"axG",@progbits,_ZN9rocsolver6v33100L14set_triangularI19rocblas_complex_numIfEPS3_TnNSt9enable_ifIX18rocblas_is_complexIT_EEiE4typeELi0EEEviiT0_iilPS6_lSA_il15rocblas_direct_15rocblas_storev_b,comdat
.Lfunc_end109:
	.size	_ZN9rocsolver6v33100L14set_triangularI19rocblas_complex_numIfEPS3_TnNSt9enable_ifIX18rocblas_is_complexIT_EEiE4typeELi0EEEviiT0_iilPS6_lSA_il15rocblas_direct_15rocblas_storev_b, .Lfunc_end109-_ZN9rocsolver6v33100L14set_triangularI19rocblas_complex_numIfEPS3_TnNSt9enable_ifIX18rocblas_is_complexIT_EEiE4typeELi0EEEviiT0_iilPS6_lSA_il15rocblas_direct_15rocblas_storev_b
                                        ; -- End function
	.set _ZN9rocsolver6v33100L14set_triangularI19rocblas_complex_numIfEPS3_TnNSt9enable_ifIX18rocblas_is_complexIT_EEiE4typeELi0EEEviiT0_iilPS6_lSA_il15rocblas_direct_15rocblas_storev_b.num_vgpr, 14
	.set _ZN9rocsolver6v33100L14set_triangularI19rocblas_complex_numIfEPS3_TnNSt9enable_ifIX18rocblas_is_complexIT_EEiE4typeELi0EEEviiT0_iilPS6_lSA_il15rocblas_direct_15rocblas_storev_b.num_agpr, 0
	.set _ZN9rocsolver6v33100L14set_triangularI19rocblas_complex_numIfEPS3_TnNSt9enable_ifIX18rocblas_is_complexIT_EEiE4typeELi0EEEviiT0_iilPS6_lSA_il15rocblas_direct_15rocblas_storev_b.numbered_sgpr, 22
	.set _ZN9rocsolver6v33100L14set_triangularI19rocblas_complex_numIfEPS3_TnNSt9enable_ifIX18rocblas_is_complexIT_EEiE4typeELi0EEEviiT0_iilPS6_lSA_il15rocblas_direct_15rocblas_storev_b.num_named_barrier, 0
	.set _ZN9rocsolver6v33100L14set_triangularI19rocblas_complex_numIfEPS3_TnNSt9enable_ifIX18rocblas_is_complexIT_EEiE4typeELi0EEEviiT0_iilPS6_lSA_il15rocblas_direct_15rocblas_storev_b.private_seg_size, 0
	.set _ZN9rocsolver6v33100L14set_triangularI19rocblas_complex_numIfEPS3_TnNSt9enable_ifIX18rocblas_is_complexIT_EEiE4typeELi0EEEviiT0_iilPS6_lSA_il15rocblas_direct_15rocblas_storev_b.uses_vcc, 1
	.set _ZN9rocsolver6v33100L14set_triangularI19rocblas_complex_numIfEPS3_TnNSt9enable_ifIX18rocblas_is_complexIT_EEiE4typeELi0EEEviiT0_iilPS6_lSA_il15rocblas_direct_15rocblas_storev_b.uses_flat_scratch, 0
	.set _ZN9rocsolver6v33100L14set_triangularI19rocblas_complex_numIfEPS3_TnNSt9enable_ifIX18rocblas_is_complexIT_EEiE4typeELi0EEEviiT0_iilPS6_lSA_il15rocblas_direct_15rocblas_storev_b.has_dyn_sized_stack, 0
	.set _ZN9rocsolver6v33100L14set_triangularI19rocblas_complex_numIfEPS3_TnNSt9enable_ifIX18rocblas_is_complexIT_EEiE4typeELi0EEEviiT0_iilPS6_lSA_il15rocblas_direct_15rocblas_storev_b.has_recursion, 0
	.set _ZN9rocsolver6v33100L14set_triangularI19rocblas_complex_numIfEPS3_TnNSt9enable_ifIX18rocblas_is_complexIT_EEiE4typeELi0EEEviiT0_iilPS6_lSA_il15rocblas_direct_15rocblas_storev_b.has_indirect_call, 0
	.section	.AMDGPU.csdata,"",@progbits
; Kernel info:
; codeLenInByte = 2044
; TotalNumSgprs: 24
; NumVgprs: 14
; ScratchSize: 0
; MemoryBound: 0
; FloatMode: 240
; IeeeMode: 1
; LDSByteSize: 0 bytes/workgroup (compile time only)
; SGPRBlocks: 0
; VGPRBlocks: 0
; NumSGPRsForWavesPerEU: 24
; NumVGPRsForWavesPerEU: 14
; NamedBarCnt: 0
; Occupancy: 16
; WaveLimiterHint : 0
; COMPUTE_PGM_RSRC2:SCRATCH_EN: 0
; COMPUTE_PGM_RSRC2:USER_SGPR: 2
; COMPUTE_PGM_RSRC2:TRAP_HANDLER: 0
; COMPUTE_PGM_RSRC2:TGID_X_EN: 1
; COMPUTE_PGM_RSRC2:TGID_Y_EN: 1
; COMPUTE_PGM_RSRC2:TGID_Z_EN: 1
; COMPUTE_PGM_RSRC2:TIDIG_COMP_CNT: 1
	.section	.text._ZN9rocsolver6v33100L7set_tauI19rocblas_complex_numIfEEEviPT_l,"axG",@progbits,_ZN9rocsolver6v33100L7set_tauI19rocblas_complex_numIfEEEviPT_l,comdat
	.globl	_ZN9rocsolver6v33100L7set_tauI19rocblas_complex_numIfEEEviPT_l ; -- Begin function _ZN9rocsolver6v33100L7set_tauI19rocblas_complex_numIfEEEviPT_l
	.p2align	8
	.type	_ZN9rocsolver6v33100L7set_tauI19rocblas_complex_numIfEEEviPT_l,@function
_ZN9rocsolver6v33100L7set_tauI19rocblas_complex_numIfEEEviPT_l: ; @_ZN9rocsolver6v33100L7set_tauI19rocblas_complex_numIfEEEviPT_l
; %bb.0:
	s_clause 0x1
	s_load_b32 s3, s[0:1], 0x24
	s_load_b32 s4, s[0:1], 0x0
	s_bfe_u32 s2, ttmp6, 0x4000c
	s_and_b32 s5, ttmp6, 15
	s_add_co_i32 s6, s2, 1
	s_getreg_b32 s2, hwreg(HW_REG_IB_STS2, 6, 4)
	s_mul_i32 s6, ttmp9, s6
	s_delay_alu instid0(SALU_CYCLE_1) | instskip(SKIP_4) | instid1(SALU_CYCLE_1)
	s_add_co_i32 s5, s5, s6
	s_wait_kmcnt 0x0
	s_and_b32 s3, s3, 0xffff
	s_cmp_eq_u32 s2, 0
	s_cselect_b32 s5, ttmp9, s5
	v_mad_u32 v0, s5, s3, v0
	s_mov_b32 s3, 0
	s_delay_alu instid0(VALU_DEP_1)
	v_cmp_gt_u32_e32 vcc_lo, s4, v0
	s_and_saveexec_b32 s4, vcc_lo
	s_cbranch_execz .LBB110_2
; %bb.1:
	s_load_b128 s[4:7], s[0:1], 0x8
	s_wait_xcnt 0x0
	s_bfe_u32 s0, ttmp6, 0x40010
	s_bfe_u32 s1, ttmp6, 0x40004
	s_add_co_i32 s0, s0, 1
	s_delay_alu instid0(SALU_CYCLE_1) | instskip(NEXT) | instid1(SALU_CYCLE_1)
	s_mul_i32 s0, ttmp7, s0
	s_add_co_i32 s1, s1, s0
	s_cmp_eq_u32 s2, 0
	s_cselect_b32 s2, ttmp7, s1
	s_wait_kmcnt 0x0
	s_mul_u64 s[0:1], s[6:7], s[2:3]
	s_delay_alu instid0(SALU_CYCLE_1) | instskip(NEXT) | instid1(SALU_CYCLE_1)
	s_lshl_b64 s[0:1], s[0:1], 3
	s_add_nc_u64 s[0:1], s[4:5], s[0:1]
	global_load_b64 v[2:3], v0, s[0:1] scale_offset
	s_wait_loadcnt 0x0
	v_pk_add_f32 v[2:3], v[2:3], 0 neg_lo:[1,1] neg_hi:[1,1]
	global_store_b64 v0, v[2:3], s[0:1] scale_offset
.LBB110_2:
	s_endpgm
	.section	.rodata,"a",@progbits
	.p2align	6, 0x0
	.amdhsa_kernel _ZN9rocsolver6v33100L7set_tauI19rocblas_complex_numIfEEEviPT_l
		.amdhsa_group_segment_fixed_size 0
		.amdhsa_private_segment_fixed_size 0
		.amdhsa_kernarg_size 280
		.amdhsa_user_sgpr_count 2
		.amdhsa_user_sgpr_dispatch_ptr 0
		.amdhsa_user_sgpr_queue_ptr 0
		.amdhsa_user_sgpr_kernarg_segment_ptr 1
		.amdhsa_user_sgpr_dispatch_id 0
		.amdhsa_user_sgpr_kernarg_preload_length 0
		.amdhsa_user_sgpr_kernarg_preload_offset 0
		.amdhsa_user_sgpr_private_segment_size 0
		.amdhsa_wavefront_size32 1
		.amdhsa_uses_dynamic_stack 0
		.amdhsa_enable_private_segment 0
		.amdhsa_system_sgpr_workgroup_id_x 1
		.amdhsa_system_sgpr_workgroup_id_y 1
		.amdhsa_system_sgpr_workgroup_id_z 0
		.amdhsa_system_sgpr_workgroup_info 0
		.amdhsa_system_vgpr_workitem_id 0
		.amdhsa_next_free_vgpr 4
		.amdhsa_next_free_sgpr 8
		.amdhsa_named_barrier_count 0
		.amdhsa_reserve_vcc 1
		.amdhsa_float_round_mode_32 0
		.amdhsa_float_round_mode_16_64 0
		.amdhsa_float_denorm_mode_32 3
		.amdhsa_float_denorm_mode_16_64 3
		.amdhsa_fp16_overflow 0
		.amdhsa_memory_ordered 1
		.amdhsa_forward_progress 1
		.amdhsa_inst_pref_size 2
		.amdhsa_round_robin_scheduling 0
		.amdhsa_exception_fp_ieee_invalid_op 0
		.amdhsa_exception_fp_denorm_src 0
		.amdhsa_exception_fp_ieee_div_zero 0
		.amdhsa_exception_fp_ieee_overflow 0
		.amdhsa_exception_fp_ieee_underflow 0
		.amdhsa_exception_fp_ieee_inexact 0
		.amdhsa_exception_int_div_zero 0
	.end_amdhsa_kernel
	.section	.text._ZN9rocsolver6v33100L7set_tauI19rocblas_complex_numIfEEEviPT_l,"axG",@progbits,_ZN9rocsolver6v33100L7set_tauI19rocblas_complex_numIfEEEviPT_l,comdat
.Lfunc_end110:
	.size	_ZN9rocsolver6v33100L7set_tauI19rocblas_complex_numIfEEEviPT_l, .Lfunc_end110-_ZN9rocsolver6v33100L7set_tauI19rocblas_complex_numIfEEEviPT_l
                                        ; -- End function
	.set _ZN9rocsolver6v33100L7set_tauI19rocblas_complex_numIfEEEviPT_l.num_vgpr, 4
	.set _ZN9rocsolver6v33100L7set_tauI19rocblas_complex_numIfEEEviPT_l.num_agpr, 0
	.set _ZN9rocsolver6v33100L7set_tauI19rocblas_complex_numIfEEEviPT_l.numbered_sgpr, 8
	.set _ZN9rocsolver6v33100L7set_tauI19rocblas_complex_numIfEEEviPT_l.num_named_barrier, 0
	.set _ZN9rocsolver6v33100L7set_tauI19rocblas_complex_numIfEEEviPT_l.private_seg_size, 0
	.set _ZN9rocsolver6v33100L7set_tauI19rocblas_complex_numIfEEEviPT_l.uses_vcc, 1
	.set _ZN9rocsolver6v33100L7set_tauI19rocblas_complex_numIfEEEviPT_l.uses_flat_scratch, 0
	.set _ZN9rocsolver6v33100L7set_tauI19rocblas_complex_numIfEEEviPT_l.has_dyn_sized_stack, 0
	.set _ZN9rocsolver6v33100L7set_tauI19rocblas_complex_numIfEEEviPT_l.has_recursion, 0
	.set _ZN9rocsolver6v33100L7set_tauI19rocblas_complex_numIfEEEviPT_l.has_indirect_call, 0
	.section	.AMDGPU.csdata,"",@progbits
; Kernel info:
; codeLenInByte = 212
; TotalNumSgprs: 10
; NumVgprs: 4
; ScratchSize: 0
; MemoryBound: 0
; FloatMode: 240
; IeeeMode: 1
; LDSByteSize: 0 bytes/workgroup (compile time only)
; SGPRBlocks: 0
; VGPRBlocks: 0
; NumSGPRsForWavesPerEU: 10
; NumVGPRsForWavesPerEU: 4
; NamedBarCnt: 0
; Occupancy: 16
; WaveLimiterHint : 0
; COMPUTE_PGM_RSRC2:SCRATCH_EN: 0
; COMPUTE_PGM_RSRC2:USER_SGPR: 2
; COMPUTE_PGM_RSRC2:TRAP_HANDLER: 0
; COMPUTE_PGM_RSRC2:TGID_X_EN: 1
; COMPUTE_PGM_RSRC2:TGID_Y_EN: 1
; COMPUTE_PGM_RSRC2:TGID_Z_EN: 0
; COMPUTE_PGM_RSRC2:TIDIG_COMP_CNT: 0
	.section	.text._ZN9rocsolver6v33100L20larft_kernel_forwardI19rocblas_complex_numIfEPS3_EEv15rocblas_storev_iiT0_iilPT_lS8_il,"axG",@progbits,_ZN9rocsolver6v33100L20larft_kernel_forwardI19rocblas_complex_numIfEPS3_EEv15rocblas_storev_iiT0_iilPT_lS8_il,comdat
	.globl	_ZN9rocsolver6v33100L20larft_kernel_forwardI19rocblas_complex_numIfEPS3_EEv15rocblas_storev_iiT0_iilPT_lS8_il ; -- Begin function _ZN9rocsolver6v33100L20larft_kernel_forwardI19rocblas_complex_numIfEPS3_EEv15rocblas_storev_iiT0_iilPT_lS8_il
	.p2align	8
	.type	_ZN9rocsolver6v33100L20larft_kernel_forwardI19rocblas_complex_numIfEPS3_EEv15rocblas_storev_iiT0_iilPT_lS8_il,@function
_ZN9rocsolver6v33100L20larft_kernel_forwardI19rocblas_complex_numIfEPS3_EEv15rocblas_storev_iiT0_iilPT_lS8_il: ; @_ZN9rocsolver6v33100L20larft_kernel_forwardI19rocblas_complex_numIfEPS3_EEv15rocblas_storev_iiT0_iilPT_lS8_il
; %bb.0:
	s_clause 0x4
	s_load_b32 s2, s[0:1], 0x5c
	s_load_b32 s3, s[0:1], 0x40
	s_load_b64 s[12:13], s[0:1], 0x48
	s_load_b96 s[16:18], s[0:1], 0x0
	s_load_b256 s[4:11], s[0:1], 0x20
	s_bfe_u32 s14, ttmp6, 0x40010
	s_bfe_u32 s15, ttmp6, 0x40004
	s_add_co_i32 s14, s14, 1
	s_getreg_b32 s20, hwreg(HW_REG_IB_STS2, 6, 4)
	s_mul_i32 s14, ttmp7, s14
	v_lshlrev_b32_e32 v2, 3, v0
	s_add_co_i32 s15, s15, s14
	s_wait_kmcnt 0x0
	s_and_b32 s19, s2, 0xffff
	s_cmp_eq_u32 s20, 0
	v_mad_u32 v1, v0, s3, v0
	s_cselect_b32 s20, ttmp7, s15
	v_cmp_gt_i32_e64 s2, s18, v0
	s_ashr_i32 s21, s20, 31
	s_delay_alu instid0(SALU_CYCLE_1) | instskip(NEXT) | instid1(SALU_CYCLE_1)
	s_mul_u64 s[12:13], s[12:13], s[20:21]
	s_lshl_b64 s[14:15], s[12:13], 3
	s_mov_b32 s12, 0
	s_add_nc_u64 s[10:11], s[10:11], s[14:15]
	s_and_saveexec_b32 s13, s2
	s_cbranch_execz .LBB111_5
; %bb.1:
	v_dual_add_nc_u32 v3, 8, v2 :: v_dual_mov_b32 v5, v0
	s_lshl_b32 s14, s18, 3
	s_add_co_i32 s22, s3, 1
	s_add_co_i32 s15, s14, 8
	s_delay_alu instid0(VALU_DEP_1) | instskip(SKIP_3) | instid1(VALU_DEP_2)
	v_mul_lo_u32 v4, s18, v3
	v_mad_u32 v3, v0, s3, v0
	s_mul_i32 s15, s15, s19
	s_mul_i32 s22, s22, s19
	v_add3_u32 v4, v4, v2, 0
.LBB111_2:                              ; =>This Loop Header: Depth=1
                                        ;     Child Loop BB111_3 Depth 2
	s_delay_alu instid0(VALU_DEP_1)
	v_dual_mov_b32 v6, v3 :: v_dual_mov_b32 v7, v4
	v_mov_b32_e32 v8, v5
	s_mov_b32 s23, 0
.LBB111_3:                              ;   Parent Loop BB111_2 Depth=1
                                        ; =>  This Inner Loop Header: Depth=2
	global_load_b64 v[10:11], v6, s[10:11] scale_offset
	s_wait_xcnt 0x0
	v_dual_add_nc_u32 v8, 1, v8 :: v_dual_add_nc_u32 v6, s3, v6
	s_delay_alu instid0(VALU_DEP_1)
	v_cmp_le_i32_e32 vcc_lo, s18, v8
	s_or_b32 s23, vcc_lo, s23
	s_wait_loadcnt 0x0
	ds_store_b64 v7, v[10:11]
	v_add_nc_u32_e32 v7, s14, v7
	s_and_not1_b32 exec_lo, exec_lo, s23
	s_cbranch_execnz .LBB111_3
; %bb.4:                                ;   in Loop: Header=BB111_2 Depth=1
	s_or_b32 exec_lo, exec_lo, s23
	v_dual_add_nc_u32 v5, s19, v5 :: v_dual_add_nc_u32 v4, s15, v4
	v_add_nc_u32_e32 v3, s22, v3
	s_delay_alu instid0(VALU_DEP_2) | instskip(SKIP_1) | instid1(SALU_CYCLE_1)
	v_cmp_le_i32_e32 vcc_lo, s18, v5
	s_or_b32 s12, vcc_lo, s12
	s_and_not1_b32 exec_lo, exec_lo, s12
	s_cbranch_execnz .LBB111_2
.LBB111_5:
	s_or_b32 exec_lo, exec_lo, s13
	s_cmp_lt_i32 s18, 2
	s_wait_dscnt 0x0
	s_barrier_signal -1
	s_barrier_wait -1
	s_cbranch_scc1 .LBB111_31
; %bb.6:
	s_load_b128 s[12:15], s[0:1], 0x10
	v_dual_mov_b32 v3, 0 :: v_dual_add_nc_u32 v4, 8, v2
	s_wait_xcnt 0x0
	s_mul_u64 s[0:1], s[8:9], s[20:21]
	s_lshl_b32 s33, s18, 3
	s_lshl_b64 s[0:1], s[0:1], 3
	s_mul_u64 s[20:21], s[4:5], s[20:21]
	s_add_co_i32 s39, s33, 0
	s_add_nc_u64 s[4:5], s[6:7], s[0:1]
	v_mul_lo_u32 v6, s18, v4
	v_add_nc_u32_e32 v13, 0, v2
	s_mov_b32 s9, 0
	s_mov_b32 s38, 1
	s_delay_alu instid0(VALU_DEP_2)
	v_add3_u32 v12, v6, v2, 0
	s_wait_kmcnt 0x0
	s_ashr_i32 s1, s14, 31
	s_cmp_lg_u32 s16, 0xb5
	s_mov_b32 s0, s14
	s_cselect_b32 s14, -1, 0
	s_lshl_b64 s[26:27], s[20:21], 3
	s_lshl_b64 s[0:1], s[0:1], 3
	v_add_nc_u64_e32 v[4:5], s[26:27], v[2:3]
	v_mul_lo_u32 v3, v0, s15
	s_add_nc_u64 s[22:23], s[12:13], s[0:1]
	s_add_nc_u64 s[0:1], s[26:27], s[0:1]
	s_mov_b32 s24, s15
	s_ashr_i32 s25, s15, 31
	s_add_nc_u64 s[0:1], s[12:13], s[0:1]
	s_add_co_i32 s41, s33, 8
	s_add_co_i32 s16, s17, -2
	s_lshl_b32 s6, s15, 1
	s_add_nc_u64 s[20:21], s[26:27], 8
	s_lshl_b64 s[24:25], s[24:25], 3
	s_lshl_b32 s8, s19, 3
	s_mul_i32 s40, s15, s19
	s_mov_b64 s[12:13], 0xffffffffffffffec
	s_add_nc_u64 s[26:27], s[0:1], 20
	s_mul_i32 s41, s41, s19
	s_mov_b32 s28, s15
	s_branch .LBB111_8
.LBB111_7:                              ;   in Loop: Header=BB111_8 Depth=1
	s_or_b32 exec_lo, exec_lo, s0
	s_add_co_i32 s38, s38, 1
	s_add_co_i32 s16, s16, -1
	s_add_co_i32 s6, s6, s15
	s_add_co_i32 s28, s28, s15
	s_add_nc_u64 s[20:21], s[20:21], 8
	s_cmp_eq_u32 s38, s18
	s_add_nc_u64 s[26:27], s[26:27], 8
	s_wait_dscnt 0x0
	s_barrier_signal -1
	s_barrier_wait -1
	s_cbranch_scc1 .LBB111_31
.LBB111_8:                              ; =>This Loop Header: Depth=1
                                        ;     Child Loop BB111_13 Depth 2
                                        ;       Child Loop BB111_15 Depth 3
                                        ;     Child Loop BB111_22 Depth 2
                                        ;       Child Loop BB111_24 Depth 3
                                        ;     Child Loop BB111_28 Depth 2
                                        ;       Child Loop BB111_29 Depth 3
	s_mul_i32 s0, s38, s18
	s_not_b32 s1, s38
	s_lshl_b32 s0, s0, 3
	s_add_co_i32 s43, s17, s1
	s_add_co_i32 s42, s39, s0
	v_cmp_gt_u32_e64 s0, s38, v0
	s_and_b32 vcc_lo, exec_lo, s14
	s_mov_b32 s1, -1
	s_cbranch_vccz .LBB111_17
; %bb.9:                                ;   in Loop: Header=BB111_8 Depth=1
	s_and_saveexec_b32 s29, s0
	s_cbranch_execz .LBB111_16
; %bb.10:                               ;   in Loop: Header=BB111_8 Depth=1
	s_load_b64 s[0:1], s[4:5], s38 offset:0x0 scale_offset
	s_ashr_i32 s7, s6, 31
	v_mov_b64_e32 v[6:7], v[4:5]
	v_mov_b32_e32 v10, v0
	s_lshl_b64 s[30:31], s[6:7], 3
	s_cmp_gt_i32 s43, 0
	s_mov_b32 s44, 0
	s_add_nc_u64 s[30:31], s[22:23], s[30:31]
	s_cselect_b32 s7, -1, 0
	s_wait_kmcnt 0x0
	s_mov_b32 s34, s0
	s_mov_b32 s35, s0
	;; [unrolled: 1-line block ×3, first 2 shown]
	s_branch .LBB111_13
.LBB111_11:                             ;   in Loop: Header=BB111_13 Depth=2
	v_mov_b32_e32 v9, 0
	s_delay_alu instid0(VALU_DEP_1)
	v_mov_b32_e32 v8, v9
.LBB111_12:                             ;   in Loop: Header=BB111_13 Depth=2
	s_delay_alu instid0(VALU_DEP_1) | instskip(SKIP_2) | instid1(VALU_DEP_3)
	v_dual_mov_b32 v14, v9 :: v_dual_lshlrev_b32 v11, 3, v10
	v_mov_b64_e32 v[16:17], s[0:1]
	v_add_nc_u64_e32 v[6:7], s[8:9], v[6:7]
	v_dual_mov_b32 v15, v8 :: v_dual_add_nc_u32 v18, s42, v11
	v_add_nc_u32_e32 v11, 0, v11
	s_delay_alu instid0(VALU_DEP_2) | instskip(SKIP_2) | instid1(VALU_DEP_1)
	v_pk_mul_f32 v[14:15], v[14:15], v[16:17]
	ds_load_b64 v[18:19], v18
	v_mov_b64_e32 v[16:17], s[34:35]
	v_pk_fma_f32 v[20:21], v[8:9], v[16:17], v[14:15]
	v_add_nc_u32_e32 v10, s19, v10
	v_pk_fma_f32 v[8:9], v[8:9], v[16:17], v[14:15] neg_lo:[0,0,1] neg_hi:[0,0,1]
	s_delay_alu instid0(VALU_DEP_3) | instskip(NEXT) | instid1(VALU_DEP_3)
	v_mov_b32_e32 v9, v21
	v_cmp_le_u32_e32 vcc_lo, s38, v10
	s_or_b32 s44, vcc_lo, s44
	s_wait_dscnt 0x0
	s_delay_alu instid0(VALU_DEP_2)
	v_pk_add_f32 v[8:9], v[18:19], v[8:9]
	ds_store_b64 v11, v[8:9]
	s_and_not1_b32 exec_lo, exec_lo, s44
	s_cbranch_execz .LBB111_16
.LBB111_13:                             ;   Parent Loop BB111_8 Depth=1
                                        ; =>  This Loop Header: Depth=2
                                        ;       Child Loop BB111_15 Depth 3
	s_and_not1_b32 vcc_lo, exec_lo, s7
	s_cbranch_vccnz .LBB111_11
; %bb.14:                               ;   in Loop: Header=BB111_13 Depth=2
	v_mov_b32_e32 v8, 0
	s_mov_b32 s45, 0
	s_mov_b64 s[36:37], s[30:31]
	s_delay_alu instid0(VALU_DEP_1)
	v_mov_b32_e32 v9, v8
.LBB111_15:                             ;   Parent Loop BB111_8 Depth=1
                                        ;     Parent Loop BB111_13 Depth=2
                                        ; =>    This Inner Loop Header: Depth=3
	v_add_nc_u64_e32 v[14:15], s[36:37], v[6:7]
	s_add_nc_u64 s[46:47], s[36:37], s[20:21]
	s_add_co_i32 s45, s45, 1
	s_add_nc_u64 s[36:37], s[36:37], s[24:25]
	s_cmp_eq_u32 s16, s45
	s_load_b64 s[48:49], s[46:47], 0x0
	global_load_b64 v[14:15], v[14:15], off
	s_wait_kmcnt 0x0
	v_mov_b64_e32 v[16:17], s[48:49]
	s_wait_loadcnt 0x0
	s_delay_alu instid0(VALU_DEP_1) | instskip(SKIP_2) | instid1(VALU_DEP_2)
	v_pk_mul_f32 v[18:19], v[16:17], v[14:15] op_sel_hi:[1,0]
	v_mov_b32_e32 v20, v15
	s_wait_xcnt 0x0
	v_pk_fma_f32 v[14:15], v[16:17], v[14:15], v[18:19] op_sel:[1,1,0] op_sel_hi:[0,1,1] neg_lo:[0,0,1] neg_hi:[0,0,1]
	s_delay_alu instid0(VALU_DEP_2) | instskip(NEXT) | instid1(VALU_DEP_2)
	v_pk_fma_f32 v[16:17], v[16:17], v[20:21], v[18:19] op_sel:[1,0,0] op_sel_hi:[0,1,1]
	v_mov_b32_e32 v17, v15
	s_delay_alu instid0(VALU_DEP_1)
	v_pk_add_f32 v[8:9], v[8:9], v[16:17]
	s_cbranch_scc0 .LBB111_15
	s_branch .LBB111_12
.LBB111_16:                             ;   in Loop: Header=BB111_8 Depth=1
	s_or_b32 exec_lo, exec_lo, s29
	s_mov_b32 s1, 0
.LBB111_17:                             ;   in Loop: Header=BB111_8 Depth=1
	s_delay_alu instid0(SALU_CYCLE_1)
	s_and_not1_b32 vcc_lo, exec_lo, s1
	s_cbranch_vccnz .LBB111_26
; %bb.18:                               ;   in Loop: Header=BB111_8 Depth=1
	s_mov_b32 s7, exec_lo
	v_cmpx_gt_u32_e64 s38, v0
	s_cbranch_execz .LBB111_25
; %bb.19:                               ;   in Loop: Header=BB111_8 Depth=1
	s_load_b64 s[0:1], s[4:5], s38 offset:0x0 scale_offset
	s_ashr_i32 s29, s28, 31
	v_dual_mov_b32 v6, v3 :: v_dual_mov_b32 v14, v0
	s_lshl_b64 s[30:31], s[28:29], 3
	s_cmp_gt_i32 s43, 0
	s_mov_b32 s44, 0
	s_add_nc_u64 s[30:31], s[30:31], 16
	s_cselect_b32 s29, -1, 0
	s_wait_kmcnt 0x0
	s_mov_b32 s34, s0
	s_mov_b32 s35, s0
	;; [unrolled: 1-line block ×3, first 2 shown]
	s_branch .LBB111_22
.LBB111_20:                             ;   in Loop: Header=BB111_22 Depth=2
	v_mov_b32_e32 v9, 0
	s_delay_alu instid0(VALU_DEP_1)
	v_mov_b32_e32 v8, v9
.LBB111_21:                             ;   in Loop: Header=BB111_22 Depth=2
	s_delay_alu instid0(VALU_DEP_1) | instskip(SKIP_1) | instid1(VALU_DEP_3)
	v_dual_mov_b32 v10, v9 :: v_dual_lshlrev_b32 v7, 3, v14
	v_mov_b64_e32 v[16:17], s[0:1]
	v_dual_mov_b32 v11, v8 :: v_dual_add_nc_u32 v6, s40, v6
	s_delay_alu instid0(VALU_DEP_3) | instskip(NEXT) | instid1(VALU_DEP_2)
	v_dual_add_nc_u32 v15, s42, v7 :: v_dual_add_nc_u32 v7, 0, v7
	v_pk_mul_f32 v[10:11], v[10:11], v[16:17]
	ds_load_b64 v[18:19], v15
	v_mov_b64_e32 v[16:17], s[34:35]
	s_delay_alu instid0(VALU_DEP_1) | instskip(SKIP_2) | instid1(VALU_DEP_3)
	v_pk_fma_f32 v[20:21], v[8:9], v[16:17], v[10:11]
	v_add_nc_u32_e32 v14, s19, v14
	v_pk_fma_f32 v[8:9], v[8:9], v[16:17], v[10:11] neg_lo:[0,0,1] neg_hi:[0,0,1]
	v_mov_b32_e32 v9, v21
	s_delay_alu instid0(VALU_DEP_3) | instskip(SKIP_2) | instid1(VALU_DEP_2)
	v_cmp_le_u32_e32 vcc_lo, s38, v14
	s_or_b32 s44, vcc_lo, s44
	s_wait_dscnt 0x0
	v_pk_add_f32 v[8:9], v[18:19], v[8:9]
	ds_store_b64 v7, v[8:9]
	s_and_not1_b32 exec_lo, exec_lo, s44
	s_cbranch_execz .LBB111_25
.LBB111_22:                             ;   Parent Loop BB111_8 Depth=1
                                        ; =>  This Loop Header: Depth=2
                                        ;       Child Loop BB111_24 Depth 3
	s_and_not1_b32 vcc_lo, exec_lo, s29
	s_cbranch_vccnz .LBB111_20
; %bb.23:                               ;   in Loop: Header=BB111_22 Depth=2
	v_dual_mov_b32 v8, 0 :: v_dual_ashrrev_i32 v7, 31, v6
	s_mov_b32 s43, 0
	s_mov_b64 s[36:37], s[26:27]
	s_delay_alu instid0(VALU_DEP_1) | instskip(NEXT) | instid1(VALU_DEP_2)
	v_lshlrev_b64_e32 v[10:11], 3, v[6:7]
	v_mov_b32_e32 v9, v8
.LBB111_24:                             ;   Parent Loop BB111_8 Depth=1
                                        ;     Parent Loop BB111_22 Depth=2
                                        ; =>    This Inner Loop Header: Depth=3
	s_delay_alu instid0(VALU_DEP_2)
	v_add_nc_u64_e32 v[16:17], s[36:37], v[10:11]
	s_add_nc_u64 s[46:47], s[36:37], s[30:31]
	s_add_co_i32 s43, s43, 1
	s_add_nc_u64 s[46:47], s[46:47], s[12:13]
	s_cmp_eq_u32 s16, s43
	s_add_nc_u64 s[36:37], s[36:37], 8
	s_load_b64 s[48:49], s[46:47], 0x0
	global_load_b64 v[16:17], v[16:17], off offset:-4
	s_wait_kmcnt 0x0
	v_mov_b64_e32 v[18:19], s[48:49]
	s_wait_loadcnt 0x0
	s_delay_alu instid0(VALU_DEP_1) | instskip(NEXT) | instid1(VALU_DEP_1)
	v_pk_mul_f32 v[20:21], v[16:17], v[18:19] op_sel:[1,1] op_sel_hi:[1,0]
	v_pk_fma_f32 v[22:23], v[16:17], v[18:19], v[20:21] op_sel_hi:[0,1,1] neg_lo:[0,0,1] neg_hi:[0,0,1]
	v_pk_fma_f32 v[16:17], v[16:17], v[18:19], v[20:21]
	s_delay_alu instid0(VALU_DEP_2) | instskip(NEXT) | instid1(VALU_DEP_1)
	v_mov_b32_e32 v17, v23
	v_pk_add_f32 v[8:9], v[8:9], v[16:17]
	s_cbranch_scc0 .LBB111_24
	s_branch .LBB111_21
.LBB111_25:                             ;   in Loop: Header=BB111_8 Depth=1
	s_or_b32 exec_lo, exec_lo, s7
.LBB111_26:                             ;   in Loop: Header=BB111_8 Depth=1
	s_delay_alu instid0(SALU_CYCLE_1)
	s_mov_b32 s0, exec_lo
	s_wait_dscnt 0x0
	s_barrier_signal -1
	s_barrier_wait -1
	v_cmpx_gt_u32_e64 s38, v0
	s_cbranch_execz .LBB111_7
; %bb.27:                               ;   in Loop: Header=BB111_8 Depth=1
	v_dual_mov_b32 v8, v13 :: v_dual_mov_b32 v9, v12
	v_mov_b32_e32 v10, v0
	s_mov_b32 s1, 0
.LBB111_28:                             ;   Parent Loop BB111_8 Depth=1
                                        ; =>  This Loop Header: Depth=2
                                        ;       Child Loop BB111_29 Depth 3
	s_delay_alu instid0(VALU_DEP_2) | instskip(NEXT) | instid1(VALU_DEP_2)
	v_dual_mov_b32 v6, 0 :: v_dual_mov_b32 v11, v8
	v_dual_mov_b32 v14, v9 :: v_dual_mov_b32 v15, v10
	s_mov_b32 s7, 0
	s_delay_alu instid0(VALU_DEP_2)
	v_mov_b32_e32 v7, v6
.LBB111_29:                             ;   Parent Loop BB111_8 Depth=1
                                        ;     Parent Loop BB111_28 Depth=2
                                        ; =>    This Inner Loop Header: Depth=3
	ds_load_b64 v[16:17], v14
	ds_load_b64 v[18:19], v11
	v_dual_add_nc_u32 v14, s33, v14 :: v_dual_add_nc_u32 v11, 8, v11
	s_wait_dscnt 0x0
	v_pk_mul_f32 v[20:21], v[18:19], v[16:17] op_sel:[1,1] op_sel_hi:[0,1]
	s_delay_alu instid0(VALU_DEP_1) | instskip(SKIP_2) | instid1(VALU_DEP_3)
	v_pk_fma_f32 v[22:23], v[18:19], v[16:17], v[20:21] op_sel_hi:[1,0,1]
	v_add_nc_u32_e32 v15, 1, v15
	v_pk_fma_f32 v[16:17], v[18:19], v[16:17], v[20:21] neg_lo:[0,0,1] neg_hi:[0,0,1]
	v_mov_b32_e32 v17, v23
	s_delay_alu instid0(VALU_DEP_3) | instskip(NEXT) | instid1(VALU_DEP_2)
	v_cmp_le_u32_e32 vcc_lo, s38, v15
	v_pk_add_f32 v[6:7], v[6:7], v[16:17]
	s_or_b32 s7, vcc_lo, s7
	s_delay_alu instid0(SALU_CYCLE_1)
	s_and_not1_b32 exec_lo, exec_lo, s7
	s_cbranch_execnz .LBB111_29
; %bb.30:                               ;   in Loop: Header=BB111_28 Depth=2
	s_or_b32 exec_lo, exec_lo, s7
	v_lshl_add_u32 v11, v10, 3, s42
	v_dual_add_nc_u32 v10, s19, v10 :: v_dual_add_nc_u32 v9, s41, v9
	v_add_nc_u32_e32 v8, s8, v8
	ds_store_b64 v11, v[6:7]
	v_cmp_le_u32_e32 vcc_lo, s38, v10
	s_or_b32 s1, vcc_lo, s1
	s_delay_alu instid0(SALU_CYCLE_1)
	s_and_not1_b32 exec_lo, exec_lo, s1
	s_cbranch_execnz .LBB111_28
	s_branch .LBB111_7
.LBB111_31:
	s_and_saveexec_b32 s0, s2
	s_cbranch_execz .LBB111_36
; %bb.32:
	v_add_nc_u32_e32 v3, 8, v2
	s_lshl_b32 s1, s18, 3
	s_add_co_i32 s0, s3, 1
	s_add_co_i32 s4, s1, 8
	s_mul_i32 s0, s0, s19
	v_mul_lo_u32 v3, s18, v3
	s_mov_b32 s2, 0
	s_mul_i32 s4, s4, s19
	s_delay_alu instid0(VALU_DEP_1)
	v_add3_u32 v2, v3, v2, 0
.LBB111_33:                             ; =>This Loop Header: Depth=1
                                        ;     Child Loop BB111_34 Depth 2
	s_delay_alu instid0(VALU_DEP_1)
	v_dual_mov_b32 v3, v2 :: v_dual_mov_b32 v4, v1
	v_mov_b32_e32 v5, v0
	s_mov_b32 s5, 0
.LBB111_34:                             ;   Parent Loop BB111_33 Depth=1
                                        ; =>  This Inner Loop Header: Depth=2
	ds_load_b64 v[6:7], v3
	v_dual_add_nc_u32 v5, 1, v5 :: v_dual_add_nc_u32 v3, s1, v3
	s_delay_alu instid0(VALU_DEP_1)
	v_cmp_le_i32_e32 vcc_lo, s18, v5
	s_or_b32 s5, vcc_lo, s5
	s_wait_dscnt 0x0
	global_store_b64 v4, v[6:7], s[10:11] scale_offset
	s_wait_xcnt 0x0
	v_add_nc_u32_e32 v4, s3, v4
	s_and_not1_b32 exec_lo, exec_lo, s5
	s_cbranch_execnz .LBB111_34
; %bb.35:                               ;   in Loop: Header=BB111_33 Depth=1
	s_or_b32 exec_lo, exec_lo, s5
	v_dual_add_nc_u32 v0, s19, v0 :: v_dual_add_nc_u32 v1, s0, v1
	v_add_nc_u32_e32 v2, s4, v2
	s_delay_alu instid0(VALU_DEP_2) | instskip(SKIP_1) | instid1(SALU_CYCLE_1)
	v_cmp_le_i32_e32 vcc_lo, s18, v0
	s_or_b32 s2, vcc_lo, s2
	s_and_not1_b32 exec_lo, exec_lo, s2
	s_cbranch_execnz .LBB111_33
.LBB111_36:
	s_endpgm
	.section	.rodata,"a",@progbits
	.p2align	6, 0x0
	.amdhsa_kernel _ZN9rocsolver6v33100L20larft_kernel_forwardI19rocblas_complex_numIfEPS3_EEv15rocblas_storev_iiT0_iilPT_lS8_il
		.amdhsa_group_segment_fixed_size 0
		.amdhsa_private_segment_fixed_size 0
		.amdhsa_kernarg_size 336
		.amdhsa_user_sgpr_count 2
		.amdhsa_user_sgpr_dispatch_ptr 0
		.amdhsa_user_sgpr_queue_ptr 0
		.amdhsa_user_sgpr_kernarg_segment_ptr 1
		.amdhsa_user_sgpr_dispatch_id 0
		.amdhsa_user_sgpr_kernarg_preload_length 0
		.amdhsa_user_sgpr_kernarg_preload_offset 0
		.amdhsa_user_sgpr_private_segment_size 0
		.amdhsa_wavefront_size32 1
		.amdhsa_uses_dynamic_stack 0
		.amdhsa_enable_private_segment 0
		.amdhsa_system_sgpr_workgroup_id_x 1
		.amdhsa_system_sgpr_workgroup_id_y 1
		.amdhsa_system_sgpr_workgroup_id_z 0
		.amdhsa_system_sgpr_workgroup_info 0
		.amdhsa_system_vgpr_workitem_id 0
		.amdhsa_next_free_vgpr 24
		.amdhsa_next_free_sgpr 50
		.amdhsa_named_barrier_count 0
		.amdhsa_reserve_vcc 1
		.amdhsa_float_round_mode_32 0
		.amdhsa_float_round_mode_16_64 0
		.amdhsa_float_denorm_mode_32 3
		.amdhsa_float_denorm_mode_16_64 3
		.amdhsa_fp16_overflow 0
		.amdhsa_memory_ordered 1
		.amdhsa_forward_progress 1
		.amdhsa_inst_pref_size 15
		.amdhsa_round_robin_scheduling 0
		.amdhsa_exception_fp_ieee_invalid_op 0
		.amdhsa_exception_fp_denorm_src 0
		.amdhsa_exception_fp_ieee_div_zero 0
		.amdhsa_exception_fp_ieee_overflow 0
		.amdhsa_exception_fp_ieee_underflow 0
		.amdhsa_exception_fp_ieee_inexact 0
		.amdhsa_exception_int_div_zero 0
	.end_amdhsa_kernel
	.section	.text._ZN9rocsolver6v33100L20larft_kernel_forwardI19rocblas_complex_numIfEPS3_EEv15rocblas_storev_iiT0_iilPT_lS8_il,"axG",@progbits,_ZN9rocsolver6v33100L20larft_kernel_forwardI19rocblas_complex_numIfEPS3_EEv15rocblas_storev_iiT0_iilPT_lS8_il,comdat
.Lfunc_end111:
	.size	_ZN9rocsolver6v33100L20larft_kernel_forwardI19rocblas_complex_numIfEPS3_EEv15rocblas_storev_iiT0_iilPT_lS8_il, .Lfunc_end111-_ZN9rocsolver6v33100L20larft_kernel_forwardI19rocblas_complex_numIfEPS3_EEv15rocblas_storev_iiT0_iilPT_lS8_il
                                        ; -- End function
	.set _ZN9rocsolver6v33100L20larft_kernel_forwardI19rocblas_complex_numIfEPS3_EEv15rocblas_storev_iiT0_iilPT_lS8_il.num_vgpr, 24
	.set _ZN9rocsolver6v33100L20larft_kernel_forwardI19rocblas_complex_numIfEPS3_EEv15rocblas_storev_iiT0_iilPT_lS8_il.num_agpr, 0
	.set _ZN9rocsolver6v33100L20larft_kernel_forwardI19rocblas_complex_numIfEPS3_EEv15rocblas_storev_iiT0_iilPT_lS8_il.numbered_sgpr, 50
	.set _ZN9rocsolver6v33100L20larft_kernel_forwardI19rocblas_complex_numIfEPS3_EEv15rocblas_storev_iiT0_iilPT_lS8_il.num_named_barrier, 0
	.set _ZN9rocsolver6v33100L20larft_kernel_forwardI19rocblas_complex_numIfEPS3_EEv15rocblas_storev_iiT0_iilPT_lS8_il.private_seg_size, 0
	.set _ZN9rocsolver6v33100L20larft_kernel_forwardI19rocblas_complex_numIfEPS3_EEv15rocblas_storev_iiT0_iilPT_lS8_il.uses_vcc, 1
	.set _ZN9rocsolver6v33100L20larft_kernel_forwardI19rocblas_complex_numIfEPS3_EEv15rocblas_storev_iiT0_iilPT_lS8_il.uses_flat_scratch, 0
	.set _ZN9rocsolver6v33100L20larft_kernel_forwardI19rocblas_complex_numIfEPS3_EEv15rocblas_storev_iiT0_iilPT_lS8_il.has_dyn_sized_stack, 0
	.set _ZN9rocsolver6v33100L20larft_kernel_forwardI19rocblas_complex_numIfEPS3_EEv15rocblas_storev_iiT0_iilPT_lS8_il.has_recursion, 0
	.set _ZN9rocsolver6v33100L20larft_kernel_forwardI19rocblas_complex_numIfEPS3_EEv15rocblas_storev_iiT0_iilPT_lS8_il.has_indirect_call, 0
	.section	.AMDGPU.csdata,"",@progbits
; Kernel info:
; codeLenInByte = 1800
; TotalNumSgprs: 52
; NumVgprs: 24
; ScratchSize: 0
; MemoryBound: 0
; FloatMode: 240
; IeeeMode: 1
; LDSByteSize: 0 bytes/workgroup (compile time only)
; SGPRBlocks: 0
; VGPRBlocks: 1
; NumSGPRsForWavesPerEU: 52
; NumVGPRsForWavesPerEU: 24
; NamedBarCnt: 0
; Occupancy: 16
; WaveLimiterHint : 0
; COMPUTE_PGM_RSRC2:SCRATCH_EN: 0
; COMPUTE_PGM_RSRC2:USER_SGPR: 2
; COMPUTE_PGM_RSRC2:TRAP_HANDLER: 0
; COMPUTE_PGM_RSRC2:TGID_X_EN: 1
; COMPUTE_PGM_RSRC2:TGID_Y_EN: 1
; COMPUTE_PGM_RSRC2:TGID_Z_EN: 0
; COMPUTE_PGM_RSRC2:TIDIG_COMP_CNT: 0
	.section	.text._ZN9rocsolver6v33100L21larft_kernel_backwardI19rocblas_complex_numIfEPS3_EEv15rocblas_storev_iiT0_iilPT_lS8_il,"axG",@progbits,_ZN9rocsolver6v33100L21larft_kernel_backwardI19rocblas_complex_numIfEPS3_EEv15rocblas_storev_iiT0_iilPT_lS8_il,comdat
	.globl	_ZN9rocsolver6v33100L21larft_kernel_backwardI19rocblas_complex_numIfEPS3_EEv15rocblas_storev_iiT0_iilPT_lS8_il ; -- Begin function _ZN9rocsolver6v33100L21larft_kernel_backwardI19rocblas_complex_numIfEPS3_EEv15rocblas_storev_iiT0_iilPT_lS8_il
	.p2align	8
	.type	_ZN9rocsolver6v33100L21larft_kernel_backwardI19rocblas_complex_numIfEPS3_EEv15rocblas_storev_iiT0_iilPT_lS8_il,@function
_ZN9rocsolver6v33100L21larft_kernel_backwardI19rocblas_complex_numIfEPS3_EEv15rocblas_storev_iiT0_iilPT_lS8_il: ; @_ZN9rocsolver6v33100L21larft_kernel_backwardI19rocblas_complex_numIfEPS3_EEv15rocblas_storev_iiT0_iilPT_lS8_il
; %bb.0:
	s_clause 0x4
	s_load_b32 s2, s[0:1], 0x5c
	s_load_b96 s[16:18], s[0:1], 0x0
	s_load_b64 s[12:13], s[0:1], 0x48
	s_load_b256 s[4:11], s[0:1], 0x20
	s_load_b32 s3, s[0:1], 0x40
	s_bfe_u32 s14, ttmp6, 0x40010
	s_bfe_u32 s15, ttmp6, 0x40004
	s_add_co_i32 s14, s14, 1
	s_getreg_b32 s20, hwreg(HW_REG_IB_STS2, 6, 4)
	s_mul_i32 s14, ttmp7, s14
	v_dual_add_nc_u32 v1, 1, v0 :: v_dual_lshlrev_b32 v2, 3, v0
	s_add_co_i32 s15, s15, s14
	s_wait_kmcnt 0x0
	s_and_b32 s19, s2, 0xffff
	s_cmp_eq_u32 s20, 0
	v_cmp_gt_i32_e64 s2, s18, v0
	s_cselect_b32 s20, ttmp7, s15
	s_delay_alu instid0(SALU_CYCLE_1) | instskip(NEXT) | instid1(SALU_CYCLE_1)
	s_ashr_i32 s21, s20, 31
	s_mul_u64 s[12:13], s[12:13], s[20:21]
	s_delay_alu instid0(SALU_CYCLE_1)
	s_lshl_b64 s[14:15], s[12:13], 3
	s_mov_b32 s12, 0
	s_add_nc_u64 s[10:11], s[10:11], s[14:15]
	s_and_saveexec_b32 s13, s2
	s_cbranch_execz .LBB112_5
; %bb.1:
	s_lshl_b32 s14, s18, 3
	v_dual_add_nc_u32 v3, 1, v0 :: v_dual_mov_b32 v5, v0
	v_add3_u32 v4, 0, s14, v2
	s_lshl_b32 s15, s19, 3
.LBB112_2:                              ; =>This Loop Header: Depth=1
                                        ;     Child Loop BB112_3 Depth 2
	s_delay_alu instid0(VALU_DEP_1)
	v_dual_mov_b32 v6, v5 :: v_dual_mov_b32 v7, v4
	s_mov_b32 s22, 0
	s_mov_b32 s23, 0
.LBB112_3:                              ;   Parent Loop BB112_2 Depth=1
                                        ; =>  This Inner Loop Header: Depth=2
	global_load_b64 v[8:9], v6, s[10:11] scale_offset
	s_add_co_i32 s23, s23, 1
	s_wait_xcnt 0x0
	v_add_nc_u32_e32 v6, s3, v6
	v_cmp_eq_u32_e32 vcc_lo, s23, v3
	s_or_b32 s22, vcc_lo, s22
	s_wait_loadcnt 0x0
	ds_store_b64 v7, v[8:9]
	v_add_nc_u32_e32 v7, s14, v7
	s_and_not1_b32 exec_lo, exec_lo, s22
	s_cbranch_execnz .LBB112_3
; %bb.4:                                ;   in Loop: Header=BB112_2 Depth=1
	s_or_b32 exec_lo, exec_lo, s22
	v_dual_add_nc_u32 v5, s19, v5 :: v_dual_add_nc_u32 v3, s19, v3
	v_add_nc_u32_e32 v4, s15, v4
	s_delay_alu instid0(VALU_DEP_2) | instskip(SKIP_1) | instid1(SALU_CYCLE_1)
	v_cmp_le_i32_e32 vcc_lo, s18, v5
	s_or_b32 s12, vcc_lo, s12
	s_and_not1_b32 exec_lo, exec_lo, s12
	s_cbranch_execnz .LBB112_2
.LBB112_5:
	s_or_b32 exec_lo, exec_lo, s13
	s_cmp_lt_i32 s18, 2
	s_wait_dscnt 0x0
	s_barrier_signal -1
	s_barrier_wait -1
	s_cbranch_scc1 .LBB112_31
; %bb.6:
	s_load_b128 s[12:15], s[0:1], 0x10
	s_wait_xcnt 0x0
	s_mul_u64 s[0:1], s[8:9], s[20:21]
	s_lshl_b32 s33, s18, 3
	s_lshl_b64 s[0:1], s[0:1], 3
	s_add_co_i32 s8, s18, -2
	s_sub_co_i32 s38, s17, s18
	s_add_co_i32 s39, s33, 0
	s_add_nc_u64 s[6:7], s[6:7], s[0:1]
	s_mov_b32 s9, 0
	s_mul_u64 s[22:23], s[4:5], s[20:21]
	v_mov_b32_e32 v3, 0
	s_mov_b32 s5, s9
	s_wait_kmcnt 0x0
	s_ashr_i32 s1, s14, 31
	s_mov_b32 s0, s14
	s_cmp_lg_u32 s16, 0xb5
	v_mul_lo_u32 v12, v0, s15
	s_cselect_b32 s14, -1, 0
	s_add_co_i32 s40, s17, -2
	s_lshl_b64 s[16:17], s[22:23], 3
	s_lshl_b64 s[0:1], s[0:1], 3
	;; [unrolled: 1-line block ×3, first 2 shown]
	s_add_nc_u64 s[0:1], s[16:17], s[0:1]
	s_add_nc_u64 s[16:17], s[12:13], s[22:23]
	s_add_co_i32 s9, s33, 8
	s_add_nc_u64 s[16:17], s[16:17], s[0:1]
	s_mov_b32 s24, s15
	v_add_nc_u64_e32 v[4:5], s[16:17], v[2:3]
	s_ashr_i32 s25, s15, 31
	s_mul_i32 s9, s18, s9
	s_lshl_b64 s[16:17], s[24:25], 3
	s_add_nc_u64 s[24:25], s[0:1], s[22:23]
	s_add_nc_u64 s[22:23], s[12:13], s[0:1]
	s_add_co_i32 s0, s9, 0
	v_add_nc_u64_e32 v[4:5], 8, v[4:5]
	v_add3_u32 v3, s0, v2, -8
	s_add_co_i32 s1, s18, -1
	s_mul_i32 s20, s15, s8
	s_lshl_b32 s4, s19, 3
	s_add_nc_u64 s[12:13], s[12:13], s[24:25]
	s_add_nc_u64 s[24:25], s[22:23], 4
	s_mul_i32 s26, s15, s1
	s_mul_i32 s9, s15, s19
	s_xor_b32 s41, s33, -8
	s_branch .LBB112_8
.LBB112_7:                              ;   in Loop: Header=BB112_8 Depth=1
	s_or_b32 exec_lo, exec_lo, s0
	v_add_nc_u64_e32 v[4:5], -8, v[4:5]
	v_add_nc_u32_e32 v3, s41, v3
	s_add_co_i32 s0, s8, -1
	s_add_co_i32 s40, s40, -1
	s_sub_co_i32 s20, s20, s15
	s_sub_co_i32 s26, s26, s15
	s_add_nc_u64 s[12:13], s[12:13], -8
	s_cmp_lt_i32 s8, 1
	s_mov_b32 s8, s0
	s_wait_dscnt 0x0
	s_barrier_signal -1
	s_barrier_wait -1
	s_cbranch_scc1 .LBB112_31
.LBB112_8:                              ; =>This Loop Header: Depth=1
                                        ;     Child Loop BB112_13 Depth 2
                                        ;       Child Loop BB112_15 Depth 3
                                        ;     Child Loop BB112_22 Depth 2
                                        ;       Child Loop BB112_24 Depth 3
	;; [unrolled: 2-line block ×3, first 2 shown]
	s_not_b32 s0, s8
	s_lshl_b32 s1, s8, 3
	s_add_co_i32 s42, s18, s0
	s_mul_i32 s0, s8, s18
	s_add_co_i32 s43, s39, s1
	s_lshl_b32 s0, s0, 3
	s_add_co_i32 s34, s8, s38
	s_add_co_i32 s43, s43, s0
	v_cmp_gt_i32_e64 s0, s42, v0
	s_and_b32 vcc_lo, exec_lo, s14
	s_mov_b32 s1, -1
	s_cbranch_vccz .LBB112_17
; %bb.9:                                ;   in Loop: Header=BB112_8 Depth=1
	s_and_saveexec_b32 s21, s0
	s_cbranch_execz .LBB112_16
; %bb.10:                               ;   in Loop: Header=BB112_8 Depth=1
	s_load_b64 s[0:1], s[6:7], s8 offset:0x0 scale_offset
	v_mov_b64_e32 v[6:7], v[4:5]
	v_mov_b32_e32 v10, v0
	s_cmp_gt_i32 s34, 0
	s_mov_b32 s27, 0
	s_cselect_b32 s35, -1, 0
	s_wait_kmcnt 0x0
	s_mov_b32 s28, s0
	s_mov_b32 s29, s0
	;; [unrolled: 1-line block ×3, first 2 shown]
	s_branch .LBB112_13
.LBB112_11:                             ;   in Loop: Header=BB112_13 Depth=2
	v_mov_b32_e32 v9, 0
	s_delay_alu instid0(VALU_DEP_1)
	v_mov_b32_e32 v8, v9
.LBB112_12:                             ;   in Loop: Header=BB112_13 Depth=2
	s_delay_alu instid0(VALU_DEP_1) | instskip(SKIP_2) | instid1(VALU_DEP_3)
	v_dual_mov_b32 v14, v9 :: v_dual_lshlrev_b32 v11, 3, v10
	v_mov_b64_e32 v[16:17], s[0:1]
	v_add_nc_u64_e32 v[6:7], s[4:5], v[6:7]
	v_dual_mov_b32 v15, v8 :: v_dual_add_nc_u32 v13, s43, v11
	v_add_nc_u32_e32 v11, 0, v11
	s_delay_alu instid0(VALU_DEP_2) | instskip(SKIP_2) | instid1(VALU_DEP_1)
	v_pk_mul_f32 v[14:15], v[14:15], v[16:17]
	ds_load_b64 v[18:19], v13 offset:8
	v_mov_b64_e32 v[16:17], s[28:29]
	v_pk_fma_f32 v[20:21], v[8:9], v[16:17], v[14:15]
	v_add_nc_u32_e32 v10, s19, v10
	v_pk_fma_f32 v[8:9], v[8:9], v[16:17], v[14:15] neg_lo:[0,0,1] neg_hi:[0,0,1]
	s_delay_alu instid0(VALU_DEP_3) | instskip(NEXT) | instid1(VALU_DEP_3)
	v_mov_b32_e32 v9, v21
	v_cmp_le_i32_e32 vcc_lo, s42, v10
	s_or_b32 s27, vcc_lo, s27
	s_wait_dscnt 0x0
	s_delay_alu instid0(VALU_DEP_2)
	v_pk_add_f32 v[8:9], v[18:19], v[8:9]
	ds_store_b64 v11, v[8:9]
	s_and_not1_b32 exec_lo, exec_lo, s27
	s_cbranch_execz .LBB112_16
.LBB112_13:                             ;   Parent Loop BB112_8 Depth=1
                                        ; =>  This Loop Header: Depth=2
                                        ;       Child Loop BB112_15 Depth 3
	s_and_not1_b32 vcc_lo, exec_lo, s35
	s_cbranch_vccnz .LBB112_11
; %bb.14:                               ;   in Loop: Header=BB112_13 Depth=2
	v_mov_b32_e32 v8, 0
	s_mov_b32 s36, 0
	s_mov_b64 s[30:31], 0
	s_delay_alu instid0(VALU_DEP_1)
	v_mov_b32_e32 v9, v8
.LBB112_15:                             ;   Parent Loop BB112_8 Depth=1
                                        ;     Parent Loop BB112_13 Depth=2
                                        ; =>    This Inner Loop Header: Depth=3
	v_add_nc_u64_e32 v[14:15], s[30:31], v[6:7]
	s_add_nc_u64 s[44:45], s[12:13], s[30:31]
	s_add_co_i32 s36, s36, 1
	s_load_b64 s[46:47], s[44:45], 0x0
	s_cmp_eq_u32 s40, s36
	s_add_nc_u64 s[30:31], s[30:31], s[16:17]
	global_load_b64 v[14:15], v[14:15], off
	s_wait_kmcnt 0x0
	v_mov_b64_e32 v[16:17], s[46:47]
	s_wait_loadcnt 0x0
	s_delay_alu instid0(VALU_DEP_1) | instskip(SKIP_2) | instid1(VALU_DEP_2)
	v_pk_mul_f32 v[18:19], v[16:17], v[14:15] op_sel_hi:[1,0]
	v_mov_b32_e32 v20, v15
	s_wait_xcnt 0x0
	v_pk_fma_f32 v[14:15], v[16:17], v[14:15], v[18:19] op_sel:[1,1,0] op_sel_hi:[0,1,1] neg_lo:[0,0,1] neg_hi:[0,0,1]
	s_delay_alu instid0(VALU_DEP_2) | instskip(NEXT) | instid1(VALU_DEP_2)
	v_pk_fma_f32 v[16:17], v[16:17], v[20:21], v[18:19] op_sel:[1,0,0] op_sel_hi:[0,1,1]
	v_mov_b32_e32 v17, v15
	s_delay_alu instid0(VALU_DEP_1)
	v_pk_add_f32 v[8:9], v[8:9], v[16:17]
	s_cbranch_scc0 .LBB112_15
	s_branch .LBB112_12
.LBB112_16:                             ;   in Loop: Header=BB112_8 Depth=1
	s_or_b32 exec_lo, exec_lo, s21
	s_mov_b32 s1, 0
.LBB112_17:                             ;   in Loop: Header=BB112_8 Depth=1
	s_delay_alu instid0(SALU_CYCLE_1)
	s_and_not1_b32 vcc_lo, exec_lo, s1
	s_cbranch_vccnz .LBB112_26
; %bb.18:                               ;   in Loop: Header=BB112_8 Depth=1
	s_mov_b32 s44, exec_lo
	v_cmpx_gt_i32_e64 s42, v0
	s_cbranch_execz .LBB112_25
; %bb.19:                               ;   in Loop: Header=BB112_8 Depth=1
	s_load_b64 s[0:1], s[6:7], s8 offset:0x0 scale_offset
	s_ashr_i32 s21, s20, 31
	s_ashr_i32 s27, s26, 31
	v_dual_mov_b32 v6, v12 :: v_dual_mov_b32 v13, v0
	s_lshl_b64 s[28:29], s[20:21], 3
	s_lshl_b64 s[36:37], s[26:27], 3
	s_cmp_gt_i32 s34, 0
	s_mov_b32 s45, 0
	s_add_nc_u64 s[28:29], s[22:23], s[28:29]
	s_cselect_b32 s21, -1, 0
	s_add_nc_u64 s[34:35], s[24:25], s[36:37]
	s_wait_kmcnt 0x0
	s_mov_b32 s30, s0
	s_mov_b32 s31, s0
	;; [unrolled: 1-line block ×3, first 2 shown]
	s_branch .LBB112_22
.LBB112_20:                             ;   in Loop: Header=BB112_22 Depth=2
	v_mov_b32_e32 v9, 0
	s_delay_alu instid0(VALU_DEP_1)
	v_mov_b32_e32 v8, v9
.LBB112_21:                             ;   in Loop: Header=BB112_22 Depth=2
	s_delay_alu instid0(VALU_DEP_1) | instskip(SKIP_1) | instid1(VALU_DEP_3)
	v_dual_mov_b32 v10, v9 :: v_dual_lshlrev_b32 v7, 3, v13
	v_mov_b64_e32 v[14:15], s[0:1]
	v_dual_mov_b32 v11, v8 :: v_dual_add_nc_u32 v6, s9, v6
	s_delay_alu instid0(VALU_DEP_3) | instskip(NEXT) | instid1(VALU_DEP_2)
	v_dual_add_nc_u32 v16, s43, v7 :: v_dual_add_nc_u32 v7, 0, v7
	v_pk_mul_f32 v[10:11], v[10:11], v[14:15]
	ds_load_b64 v[16:17], v16 offset:8
	v_mov_b64_e32 v[14:15], s[30:31]
	s_delay_alu instid0(VALU_DEP_1) | instskip(SKIP_2) | instid1(VALU_DEP_3)
	v_pk_fma_f32 v[18:19], v[8:9], v[14:15], v[10:11]
	v_add_nc_u32_e32 v13, s19, v13
	v_pk_fma_f32 v[8:9], v[8:9], v[14:15], v[10:11] neg_lo:[0,0,1] neg_hi:[0,0,1]
	v_mov_b32_e32 v9, v19
	s_delay_alu instid0(VALU_DEP_3) | instskip(SKIP_2) | instid1(VALU_DEP_2)
	v_cmp_le_i32_e32 vcc_lo, s42, v13
	s_or_b32 s45, vcc_lo, s45
	s_wait_dscnt 0x0
	v_pk_add_f32 v[8:9], v[16:17], v[8:9]
	ds_store_b64 v7, v[8:9]
	s_and_not1_b32 exec_lo, exec_lo, s45
	s_cbranch_execz .LBB112_25
.LBB112_22:                             ;   Parent Loop BB112_8 Depth=1
                                        ; =>  This Loop Header: Depth=2
                                        ;       Child Loop BB112_24 Depth 3
	s_and_not1_b32 vcc_lo, exec_lo, s21
	s_cbranch_vccnz .LBB112_20
; %bb.23:                               ;   in Loop: Header=BB112_22 Depth=2
	v_dual_mov_b32 v8, 0 :: v_dual_ashrrev_i32 v7, 31, v6
	s_mov_b32 s27, 0
	s_mov_b64 s[36:37], s[28:29]
	s_delay_alu instid0(VALU_DEP_1) | instskip(NEXT) | instid1(VALU_DEP_2)
	v_lshl_add_u64 v[10:11], v[6:7], 3, s[34:35]
	v_mov_b32_e32 v9, v8
.LBB112_24:                             ;   Parent Loop BB112_8 Depth=1
                                        ;     Parent Loop BB112_22 Depth=2
                                        ; =>    This Inner Loop Header: Depth=3
	global_load_b64 v[14:15], v[10:11], off offset:-4
	s_load_b64 s[46:47], s[36:37], 0x0
	v_add_nc_u64_e32 v[10:11], 8, v[10:11]
	s_add_co_i32 s27, s27, 1
	s_wait_xcnt 0x0
	s_add_nc_u64 s[36:37], s[36:37], 8
	s_cmp_eq_u32 s40, s27
	s_wait_kmcnt 0x0
	v_mov_b64_e32 v[16:17], s[46:47]
	s_wait_loadcnt 0x0
	s_delay_alu instid0(VALU_DEP_1) | instskip(NEXT) | instid1(VALU_DEP_1)
	v_pk_mul_f32 v[18:19], v[14:15], v[16:17] op_sel:[1,1] op_sel_hi:[1,0]
	v_pk_fma_f32 v[20:21], v[14:15], v[16:17], v[18:19] op_sel_hi:[0,1,1] neg_lo:[0,0,1] neg_hi:[0,0,1]
	v_pk_fma_f32 v[14:15], v[14:15], v[16:17], v[18:19]
	s_delay_alu instid0(VALU_DEP_2) | instskip(NEXT) | instid1(VALU_DEP_1)
	v_mov_b32_e32 v15, v21
	v_pk_add_f32 v[8:9], v[8:9], v[14:15]
	s_cbranch_scc0 .LBB112_24
	s_branch .LBB112_21
.LBB112_25:                             ;   in Loop: Header=BB112_8 Depth=1
	s_or_b32 exec_lo, exec_lo, s44
.LBB112_26:                             ;   in Loop: Header=BB112_8 Depth=1
	s_delay_alu instid0(SALU_CYCLE_1)
	s_mov_b32 s0, exec_lo
	s_wait_dscnt 0x0
	s_barrier_signal -1
	s_barrier_wait -1
	v_cmpx_gt_i32_e64 s42, v0
	s_cbranch_execz .LBB112_7
; %bb.27:                               ;   in Loop: Header=BB112_8 Depth=1
	v_dual_mov_b32 v8, v3 :: v_dual_mov_b32 v9, v0
	s_mov_b32 s1, 0
.LBB112_28:                             ;   Parent Loop BB112_8 Depth=1
                                        ; =>  This Loop Header: Depth=2
                                        ;       Child Loop BB112_29 Depth 3
	s_delay_alu instid0(VALU_DEP_1) | instskip(SKIP_3) | instid1(VALU_DEP_1)
	v_dual_mov_b32 v6, 0 :: v_dual_mov_b32 v10, v8
	s_mov_b32 s27, -1
	s_mov_b32 s21, 0
	s_mov_b32 s28, 0
	v_mov_b32_e32 v7, v6
.LBB112_29:                             ;   Parent Loop BB112_8 Depth=1
                                        ;     Parent Loop BB112_28 Depth=2
                                        ; =>    This Inner Loop Header: Depth=3
	v_mov_b32_e32 v11, s28
	s_add_co_i32 s27, s27, 1
	s_add_co_i32 s28, s28, 8
	v_cmp_eq_u32_e32 vcc_lo, s27, v9
	ds_load_b64 v[14:15], v10
	ds_load_b64 v[16:17], v11
	v_add_nc_u32_e32 v10, s33, v10
	s_or_b32 s21, vcc_lo, s21
	s_wait_dscnt 0x0
	v_pk_mul_f32 v[18:19], v[16:17], v[14:15] op_sel:[1,1] op_sel_hi:[0,1]
	s_delay_alu instid0(VALU_DEP_1) | instskip(SKIP_1) | instid1(VALU_DEP_2)
	v_pk_fma_f32 v[20:21], v[16:17], v[14:15], v[18:19] op_sel_hi:[1,0,1]
	v_pk_fma_f32 v[14:15], v[16:17], v[14:15], v[18:19] neg_lo:[0,0,1] neg_hi:[0,0,1]
	v_mov_b32_e32 v15, v21
	s_delay_alu instid0(VALU_DEP_1)
	v_pk_add_f32 v[6:7], v[6:7], v[14:15]
	s_and_not1_b32 exec_lo, exec_lo, s21
	s_cbranch_execnz .LBB112_29
; %bb.30:                               ;   in Loop: Header=BB112_28 Depth=2
	s_or_b32 exec_lo, exec_lo, s21
	v_lshl_add_u32 v10, v9, 3, s43
	v_dual_add_nc_u32 v9, s19, v9 :: v_dual_add_nc_u32 v8, s4, v8
	ds_store_b64 v10, v[6:7] offset:8
	v_cmp_le_i32_e32 vcc_lo, s42, v9
	s_or_b32 s1, vcc_lo, s1
	s_delay_alu instid0(SALU_CYCLE_1)
	s_and_not1_b32 exec_lo, exec_lo, s1
	s_cbranch_execnz .LBB112_28
	s_branch .LBB112_7
.LBB112_31:
	s_and_saveexec_b32 s0, s2
	s_cbranch_execz .LBB112_36
; %bb.32:
	s_lshl_b32 s0, s18, 3
	s_mov_b32 s1, 0
	v_add3_u32 v2, 0, s0, v2
	s_lshl_b32 s2, s19, 3
.LBB112_33:                             ; =>This Loop Header: Depth=1
                                        ;     Child Loop BB112_34 Depth 2
	s_delay_alu instid0(VALU_DEP_1)
	v_dual_mov_b32 v3, v2 :: v_dual_mov_b32 v4, v0
	s_mov_b32 s4, 0
	s_mov_b32 s5, 0
.LBB112_34:                             ;   Parent Loop BB112_33 Depth=1
                                        ; =>  This Inner Loop Header: Depth=2
	ds_load_b64 v[6:7], v3
	s_add_co_i32 s5, s5, 1
	v_add_nc_u32_e32 v3, s0, v3
	v_cmp_eq_u32_e32 vcc_lo, s5, v1
	s_or_b32 s4, vcc_lo, s4
	s_wait_dscnt 0x0
	global_store_b64 v4, v[6:7], s[10:11] scale_offset
	s_wait_xcnt 0x0
	v_add_nc_u32_e32 v4, s3, v4
	s_and_not1_b32 exec_lo, exec_lo, s4
	s_cbranch_execnz .LBB112_34
; %bb.35:                               ;   in Loop: Header=BB112_33 Depth=1
	s_or_b32 exec_lo, exec_lo, s4
	v_dual_add_nc_u32 v0, s19, v0 :: v_dual_add_nc_u32 v1, s19, v1
	v_add_nc_u32_e32 v2, s2, v2
	s_delay_alu instid0(VALU_DEP_2) | instskip(SKIP_1) | instid1(SALU_CYCLE_1)
	v_cmp_le_i32_e32 vcc_lo, s18, v0
	s_or_b32 s1, vcc_lo, s1
	s_and_not1_b32 exec_lo, exec_lo, s1
	s_cbranch_execnz .LBB112_33
.LBB112_36:
	s_endpgm
	.section	.rodata,"a",@progbits
	.p2align	6, 0x0
	.amdhsa_kernel _ZN9rocsolver6v33100L21larft_kernel_backwardI19rocblas_complex_numIfEPS3_EEv15rocblas_storev_iiT0_iilPT_lS8_il
		.amdhsa_group_segment_fixed_size 0
		.amdhsa_private_segment_fixed_size 0
		.amdhsa_kernarg_size 336
		.amdhsa_user_sgpr_count 2
		.amdhsa_user_sgpr_dispatch_ptr 0
		.amdhsa_user_sgpr_queue_ptr 0
		.amdhsa_user_sgpr_kernarg_segment_ptr 1
		.amdhsa_user_sgpr_dispatch_id 0
		.amdhsa_user_sgpr_kernarg_preload_length 0
		.amdhsa_user_sgpr_kernarg_preload_offset 0
		.amdhsa_user_sgpr_private_segment_size 0
		.amdhsa_wavefront_size32 1
		.amdhsa_uses_dynamic_stack 0
		.amdhsa_enable_private_segment 0
		.amdhsa_system_sgpr_workgroup_id_x 1
		.amdhsa_system_sgpr_workgroup_id_y 1
		.amdhsa_system_sgpr_workgroup_id_z 0
		.amdhsa_system_sgpr_workgroup_info 0
		.amdhsa_system_vgpr_workitem_id 0
		.amdhsa_next_free_vgpr 22
		.amdhsa_next_free_sgpr 48
		.amdhsa_named_barrier_count 0
		.amdhsa_reserve_vcc 1
		.amdhsa_float_round_mode_32 0
		.amdhsa_float_round_mode_16_64 0
		.amdhsa_float_denorm_mode_32 3
		.amdhsa_float_denorm_mode_16_64 3
		.amdhsa_fp16_overflow 0
		.amdhsa_memory_ordered 1
		.amdhsa_forward_progress 1
		.amdhsa_inst_pref_size 14
		.amdhsa_round_robin_scheduling 0
		.amdhsa_exception_fp_ieee_invalid_op 0
		.amdhsa_exception_fp_denorm_src 0
		.amdhsa_exception_fp_ieee_div_zero 0
		.amdhsa_exception_fp_ieee_overflow 0
		.amdhsa_exception_fp_ieee_underflow 0
		.amdhsa_exception_fp_ieee_inexact 0
		.amdhsa_exception_int_div_zero 0
	.end_amdhsa_kernel
	.section	.text._ZN9rocsolver6v33100L21larft_kernel_backwardI19rocblas_complex_numIfEPS3_EEv15rocblas_storev_iiT0_iilPT_lS8_il,"axG",@progbits,_ZN9rocsolver6v33100L21larft_kernel_backwardI19rocblas_complex_numIfEPS3_EEv15rocblas_storev_iiT0_iilPT_lS8_il,comdat
.Lfunc_end112:
	.size	_ZN9rocsolver6v33100L21larft_kernel_backwardI19rocblas_complex_numIfEPS3_EEv15rocblas_storev_iiT0_iilPT_lS8_il, .Lfunc_end112-_ZN9rocsolver6v33100L21larft_kernel_backwardI19rocblas_complex_numIfEPS3_EEv15rocblas_storev_iiT0_iilPT_lS8_il
                                        ; -- End function
	.set _ZN9rocsolver6v33100L21larft_kernel_backwardI19rocblas_complex_numIfEPS3_EEv15rocblas_storev_iiT0_iilPT_lS8_il.num_vgpr, 22
	.set _ZN9rocsolver6v33100L21larft_kernel_backwardI19rocblas_complex_numIfEPS3_EEv15rocblas_storev_iiT0_iilPT_lS8_il.num_agpr, 0
	.set _ZN9rocsolver6v33100L21larft_kernel_backwardI19rocblas_complex_numIfEPS3_EEv15rocblas_storev_iiT0_iilPT_lS8_il.numbered_sgpr, 48
	.set _ZN9rocsolver6v33100L21larft_kernel_backwardI19rocblas_complex_numIfEPS3_EEv15rocblas_storev_iiT0_iilPT_lS8_il.num_named_barrier, 0
	.set _ZN9rocsolver6v33100L21larft_kernel_backwardI19rocblas_complex_numIfEPS3_EEv15rocblas_storev_iiT0_iilPT_lS8_il.private_seg_size, 0
	.set _ZN9rocsolver6v33100L21larft_kernel_backwardI19rocblas_complex_numIfEPS3_EEv15rocblas_storev_iiT0_iilPT_lS8_il.uses_vcc, 1
	.set _ZN9rocsolver6v33100L21larft_kernel_backwardI19rocblas_complex_numIfEPS3_EEv15rocblas_storev_iiT0_iilPT_lS8_il.uses_flat_scratch, 0
	.set _ZN9rocsolver6v33100L21larft_kernel_backwardI19rocblas_complex_numIfEPS3_EEv15rocblas_storev_iiT0_iilPT_lS8_il.has_dyn_sized_stack, 0
	.set _ZN9rocsolver6v33100L21larft_kernel_backwardI19rocblas_complex_numIfEPS3_EEv15rocblas_storev_iiT0_iilPT_lS8_il.has_recursion, 0
	.set _ZN9rocsolver6v33100L21larft_kernel_backwardI19rocblas_complex_numIfEPS3_EEv15rocblas_storev_iiT0_iilPT_lS8_il.has_indirect_call, 0
	.section	.AMDGPU.csdata,"",@progbits
; Kernel info:
; codeLenInByte = 1740
; TotalNumSgprs: 50
; NumVgprs: 22
; ScratchSize: 0
; MemoryBound: 0
; FloatMode: 240
; IeeeMode: 1
; LDSByteSize: 0 bytes/workgroup (compile time only)
; SGPRBlocks: 0
; VGPRBlocks: 1
; NumSGPRsForWavesPerEU: 50
; NumVGPRsForWavesPerEU: 22
; NamedBarCnt: 0
; Occupancy: 16
; WaveLimiterHint : 0
; COMPUTE_PGM_RSRC2:SCRATCH_EN: 0
; COMPUTE_PGM_RSRC2:USER_SGPR: 2
; COMPUTE_PGM_RSRC2:TRAP_HANDLER: 0
; COMPUTE_PGM_RSRC2:TGID_X_EN: 1
; COMPUTE_PGM_RSRC2:TGID_Y_EN: 1
; COMPUTE_PGM_RSRC2:TGID_Z_EN: 0
; COMPUTE_PGM_RSRC2:TIDIG_COMP_CNT: 0
	.section	.text._ZN9rocsolver6v33100L9copymatA1I19rocblas_complex_numIfEPS3_EEviiT0_iilPT_,"axG",@progbits,_ZN9rocsolver6v33100L9copymatA1I19rocblas_complex_numIfEPS3_EEviiT0_iilPT_,comdat
	.globl	_ZN9rocsolver6v33100L9copymatA1I19rocblas_complex_numIfEPS3_EEviiT0_iilPT_ ; -- Begin function _ZN9rocsolver6v33100L9copymatA1I19rocblas_complex_numIfEPS3_EEviiT0_iilPT_
	.p2align	8
	.type	_ZN9rocsolver6v33100L9copymatA1I19rocblas_complex_numIfEPS3_EEviiT0_iilPT_,@function
_ZN9rocsolver6v33100L9copymatA1I19rocblas_complex_numIfEPS3_EEviiT0_iilPT_: ; @_ZN9rocsolver6v33100L9copymatA1I19rocblas_complex_numIfEPS3_EEviiT0_iilPT_
; %bb.0:
	s_clause 0x1
	s_load_b32 s2, s[0:1], 0x34
	s_load_b64 s[12:13], s[0:1], 0x0
	s_bfe_u32 s4, ttmp6, 0x40010
	s_bfe_u32 s7, ttmp6, 0x4000c
	s_and_b32 s3, ttmp7, 0xffff
	s_add_co_i32 s4, s4, 1
	s_add_co_i32 s7, s7, 1
	s_bfe_u32 s5, ttmp6, 0x40004
	s_and_b32 s6, ttmp6, 15
	s_mul_i32 s4, s3, s4
	s_mul_i32 s7, ttmp9, s7
	s_getreg_b32 s14, hwreg(HW_REG_IB_STS2, 6, 4)
	v_and_b32_e32 v1, 0x3ff, v0
	v_bfe_u32 v0, v0, 10, 10
	s_add_co_i32 s5, s5, s4
	s_add_co_i32 s6, s6, s7
	s_wait_kmcnt 0x0
	s_lshr_b32 s4, s2, 16
	s_and_b32 s2, s2, 0xffff
	s_cmp_eq_u32 s14, 0
	s_cselect_b32 s3, s3, s5
	s_cselect_b32 s5, ttmp9, s6
	v_mad_u32 v0, s3, s4, v0
	v_mad_u32 v1, s5, s2, v1
	s_mov_b32 s3, 0
	s_delay_alu instid0(VALU_DEP_2) | instskip(NEXT) | instid1(VALU_DEP_2)
	v_cmp_gt_u32_e32 vcc_lo, s12, v0
	v_cmp_gt_u32_e64 s2, s13, v1
	s_and_b32 s2, s2, vcc_lo
	s_delay_alu instid0(SALU_CYCLE_1)
	s_and_saveexec_b32 s4, s2
	s_cbranch_execz .LBB113_2
; %bb.1:
	s_load_b256 s[4:11], s[0:1], 0x8
	s_wait_xcnt 0x0
	s_bfe_u32 s0, ttmp6, 0x40014
	s_lshr_b32 s2, ttmp7, 16
	s_add_co_i32 s0, s0, 1
	s_bfe_u32 s16, ttmp6, 0x40008
	s_mul_i32 s0, s2, s0
	s_ashr_i32 s1, s12, 31
	s_ashr_i32 s15, s13, 31
	s_add_co_i32 s16, s16, s0
	s_cmp_eq_u32 s14, 0
	s_mov_b32 s0, s12
	s_cselect_b32 s2, s2, s16
	s_mov_b32 s14, s13
	s_mul_u64 s[0:1], s[0:1], s[2:3]
	s_delay_alu instid0(SALU_CYCLE_1) | instskip(NEXT) | instid1(SALU_CYCLE_1)
	s_mul_u64 s[0:1], s[0:1], s[14:15]
	s_lshl_b64 s[0:1], s[0:1], 3
	s_wait_kmcnt 0x0
	v_mad_u32 v2, v1, s7, v0
	s_mul_u64 s[8:9], s[8:9], s[2:3]
	s_ashr_i32 s7, s6, 31
	s_lshl_b64 s[8:9], s[8:9], 3
	s_lshl_b64 s[6:7], s[6:7], 3
	s_add_nc_u64 s[4:5], s[4:5], s[8:9]
	v_mad_u32 v0, v1, s12, v0
	s_add_nc_u64 s[4:5], s[4:5], s[6:7]
	s_add_nc_u64 s[0:1], s[10:11], s[0:1]
	global_load_b64 v[2:3], v2, s[4:5] scale_offset
	s_wait_loadcnt 0x0
	global_store_b64 v0, v[2:3], s[0:1] scale_offset
.LBB113_2:
	s_endpgm
	.section	.rodata,"a",@progbits
	.p2align	6, 0x0
	.amdhsa_kernel _ZN9rocsolver6v33100L9copymatA1I19rocblas_complex_numIfEPS3_EEviiT0_iilPT_
		.amdhsa_group_segment_fixed_size 0
		.amdhsa_private_segment_fixed_size 0
		.amdhsa_kernarg_size 296
		.amdhsa_user_sgpr_count 2
		.amdhsa_user_sgpr_dispatch_ptr 0
		.amdhsa_user_sgpr_queue_ptr 0
		.amdhsa_user_sgpr_kernarg_segment_ptr 1
		.amdhsa_user_sgpr_dispatch_id 0
		.amdhsa_user_sgpr_kernarg_preload_length 0
		.amdhsa_user_sgpr_kernarg_preload_offset 0
		.amdhsa_user_sgpr_private_segment_size 0
		.amdhsa_wavefront_size32 1
		.amdhsa_uses_dynamic_stack 0
		.amdhsa_enable_private_segment 0
		.amdhsa_system_sgpr_workgroup_id_x 1
		.amdhsa_system_sgpr_workgroup_id_y 1
		.amdhsa_system_sgpr_workgroup_id_z 1
		.amdhsa_system_sgpr_workgroup_info 0
		.amdhsa_system_vgpr_workitem_id 1
		.amdhsa_next_free_vgpr 4
		.amdhsa_next_free_sgpr 17
		.amdhsa_named_barrier_count 0
		.amdhsa_reserve_vcc 1
		.amdhsa_float_round_mode_32 0
		.amdhsa_float_round_mode_16_64 0
		.amdhsa_float_denorm_mode_32 3
		.amdhsa_float_denorm_mode_16_64 3
		.amdhsa_fp16_overflow 0
		.amdhsa_memory_ordered 1
		.amdhsa_forward_progress 1
		.amdhsa_inst_pref_size 3
		.amdhsa_round_robin_scheduling 0
		.amdhsa_exception_fp_ieee_invalid_op 0
		.amdhsa_exception_fp_denorm_src 0
		.amdhsa_exception_fp_ieee_div_zero 0
		.amdhsa_exception_fp_ieee_overflow 0
		.amdhsa_exception_fp_ieee_underflow 0
		.amdhsa_exception_fp_ieee_inexact 0
		.amdhsa_exception_int_div_zero 0
	.end_amdhsa_kernel
	.section	.text._ZN9rocsolver6v33100L9copymatA1I19rocblas_complex_numIfEPS3_EEviiT0_iilPT_,"axG",@progbits,_ZN9rocsolver6v33100L9copymatA1I19rocblas_complex_numIfEPS3_EEviiT0_iilPT_,comdat
.Lfunc_end113:
	.size	_ZN9rocsolver6v33100L9copymatA1I19rocblas_complex_numIfEPS3_EEviiT0_iilPT_, .Lfunc_end113-_ZN9rocsolver6v33100L9copymatA1I19rocblas_complex_numIfEPS3_EEviiT0_iilPT_
                                        ; -- End function
	.set _ZN9rocsolver6v33100L9copymatA1I19rocblas_complex_numIfEPS3_EEviiT0_iilPT_.num_vgpr, 4
	.set _ZN9rocsolver6v33100L9copymatA1I19rocblas_complex_numIfEPS3_EEviiT0_iilPT_.num_agpr, 0
	.set _ZN9rocsolver6v33100L9copymatA1I19rocblas_complex_numIfEPS3_EEviiT0_iilPT_.numbered_sgpr, 17
	.set _ZN9rocsolver6v33100L9copymatA1I19rocblas_complex_numIfEPS3_EEviiT0_iilPT_.num_named_barrier, 0
	.set _ZN9rocsolver6v33100L9copymatA1I19rocblas_complex_numIfEPS3_EEviiT0_iilPT_.private_seg_size, 0
	.set _ZN9rocsolver6v33100L9copymatA1I19rocblas_complex_numIfEPS3_EEviiT0_iilPT_.uses_vcc, 1
	.set _ZN9rocsolver6v33100L9copymatA1I19rocblas_complex_numIfEPS3_EEviiT0_iilPT_.uses_flat_scratch, 0
	.set _ZN9rocsolver6v33100L9copymatA1I19rocblas_complex_numIfEPS3_EEviiT0_iilPT_.has_dyn_sized_stack, 0
	.set _ZN9rocsolver6v33100L9copymatA1I19rocblas_complex_numIfEPS3_EEviiT0_iilPT_.has_recursion, 0
	.set _ZN9rocsolver6v33100L9copymatA1I19rocblas_complex_numIfEPS3_EEviiT0_iilPT_.has_indirect_call, 0
	.section	.AMDGPU.csdata,"",@progbits
; Kernel info:
; codeLenInByte = 344
; TotalNumSgprs: 19
; NumVgprs: 4
; ScratchSize: 0
; MemoryBound: 0
; FloatMode: 240
; IeeeMode: 1
; LDSByteSize: 0 bytes/workgroup (compile time only)
; SGPRBlocks: 0
; VGPRBlocks: 0
; NumSGPRsForWavesPerEU: 19
; NumVGPRsForWavesPerEU: 4
; NamedBarCnt: 0
; Occupancy: 16
; WaveLimiterHint : 0
; COMPUTE_PGM_RSRC2:SCRATCH_EN: 0
; COMPUTE_PGM_RSRC2:USER_SGPR: 2
; COMPUTE_PGM_RSRC2:TRAP_HANDLER: 0
; COMPUTE_PGM_RSRC2:TGID_X_EN: 1
; COMPUTE_PGM_RSRC2:TGID_Y_EN: 1
; COMPUTE_PGM_RSRC2:TGID_Z_EN: 1
; COMPUTE_PGM_RSRC2:TIDIG_COMP_CNT: 1
	.section	.text._ZN9rocsolver6v33100L8addmatA1I19rocblas_complex_numIfEPS3_EEviiT0_iilPT_,"axG",@progbits,_ZN9rocsolver6v33100L8addmatA1I19rocblas_complex_numIfEPS3_EEviiT0_iilPT_,comdat
	.globl	_ZN9rocsolver6v33100L8addmatA1I19rocblas_complex_numIfEPS3_EEviiT0_iilPT_ ; -- Begin function _ZN9rocsolver6v33100L8addmatA1I19rocblas_complex_numIfEPS3_EEviiT0_iilPT_
	.p2align	8
	.type	_ZN9rocsolver6v33100L8addmatA1I19rocblas_complex_numIfEPS3_EEviiT0_iilPT_,@function
_ZN9rocsolver6v33100L8addmatA1I19rocblas_complex_numIfEPS3_EEviiT0_iilPT_: ; @_ZN9rocsolver6v33100L8addmatA1I19rocblas_complex_numIfEPS3_EEviiT0_iilPT_
; %bb.0:
	s_clause 0x1
	s_load_b32 s2, s[0:1], 0x34
	s_load_b64 s[12:13], s[0:1], 0x0
	s_bfe_u32 s4, ttmp6, 0x40010
	s_bfe_u32 s7, ttmp6, 0x4000c
	s_and_b32 s3, ttmp7, 0xffff
	s_add_co_i32 s4, s4, 1
	s_add_co_i32 s7, s7, 1
	s_bfe_u32 s5, ttmp6, 0x40004
	s_and_b32 s6, ttmp6, 15
	s_mul_i32 s4, s3, s4
	s_mul_i32 s7, ttmp9, s7
	s_getreg_b32 s14, hwreg(HW_REG_IB_STS2, 6, 4)
	v_and_b32_e32 v1, 0x3ff, v0
	v_bfe_u32 v0, v0, 10, 10
	s_add_co_i32 s5, s5, s4
	s_add_co_i32 s6, s6, s7
	s_wait_kmcnt 0x0
	s_lshr_b32 s4, s2, 16
	s_and_b32 s2, s2, 0xffff
	s_cmp_eq_u32 s14, 0
	s_cselect_b32 s3, s3, s5
	s_cselect_b32 s5, ttmp9, s6
	v_mad_u32 v0, s3, s4, v0
	v_mad_u32 v1, s5, s2, v1
	s_mov_b32 s3, 0
	s_delay_alu instid0(VALU_DEP_2) | instskip(NEXT) | instid1(VALU_DEP_2)
	v_cmp_gt_u32_e32 vcc_lo, s12, v0
	v_cmp_gt_u32_e64 s2, s13, v1
	s_and_b32 s2, s2, vcc_lo
	s_delay_alu instid0(SALU_CYCLE_1)
	s_and_saveexec_b32 s4, s2
	s_cbranch_execz .LBB114_2
; %bb.1:
	s_load_b256 s[4:11], s[0:1], 0x8
	s_wait_xcnt 0x0
	s_bfe_u32 s0, ttmp6, 0x40014
	s_lshr_b32 s2, ttmp7, 16
	s_add_co_i32 s0, s0, 1
	s_bfe_u32 s16, ttmp6, 0x40008
	s_mul_i32 s0, s2, s0
	s_ashr_i32 s1, s12, 31
	s_ashr_i32 s15, s13, 31
	s_add_co_i32 s16, s16, s0
	s_cmp_eq_u32 s14, 0
	v_mad_u32 v4, v1, s12, v0
	s_mov_b32 s0, s12
	s_cselect_b32 s2, s2, s16
	s_mov_b32 s14, s13
	s_mul_u64 s[0:1], s[0:1], s[2:3]
	s_delay_alu instid0(SALU_CYCLE_1) | instskip(NEXT) | instid1(SALU_CYCLE_1)
	s_mul_u64 s[0:1], s[0:1], s[14:15]
	s_lshl_b64 s[0:1], s[0:1], 3
	s_wait_kmcnt 0x0
	v_mad_u32 v5, v1, s7, v0
	s_mul_u64 s[2:3], s[8:9], s[2:3]
	s_ashr_i32 s7, s6, 31
	s_lshl_b64 s[2:3], s[2:3], 3
	s_add_nc_u64 s[0:1], s[10:11], s[0:1]
	s_add_nc_u64 s[2:3], s[4:5], s[2:3]
	s_lshl_b64 s[4:5], s[6:7], 3
	s_delay_alu instid0(SALU_CYCLE_1)
	s_add_nc_u64 s[2:3], s[2:3], s[4:5]
	global_load_b64 v[0:1], v4, s[0:1] scale_offset
	global_load_b64 v[2:3], v5, s[2:3] scale_offset
	s_wait_loadcnt 0x0
	v_pk_add_f32 v[0:1], v[2:3], v[0:1] neg_lo:[0,1] neg_hi:[0,1]
	global_store_b64 v5, v[0:1], s[2:3] scale_offset
.LBB114_2:
	s_endpgm
	.section	.rodata,"a",@progbits
	.p2align	6, 0x0
	.amdhsa_kernel _ZN9rocsolver6v33100L8addmatA1I19rocblas_complex_numIfEPS3_EEviiT0_iilPT_
		.amdhsa_group_segment_fixed_size 0
		.amdhsa_private_segment_fixed_size 0
		.amdhsa_kernarg_size 296
		.amdhsa_user_sgpr_count 2
		.amdhsa_user_sgpr_dispatch_ptr 0
		.amdhsa_user_sgpr_queue_ptr 0
		.amdhsa_user_sgpr_kernarg_segment_ptr 1
		.amdhsa_user_sgpr_dispatch_id 0
		.amdhsa_user_sgpr_kernarg_preload_length 0
		.amdhsa_user_sgpr_kernarg_preload_offset 0
		.amdhsa_user_sgpr_private_segment_size 0
		.amdhsa_wavefront_size32 1
		.amdhsa_uses_dynamic_stack 0
		.amdhsa_enable_private_segment 0
		.amdhsa_system_sgpr_workgroup_id_x 1
		.amdhsa_system_sgpr_workgroup_id_y 1
		.amdhsa_system_sgpr_workgroup_id_z 1
		.amdhsa_system_sgpr_workgroup_info 0
		.amdhsa_system_vgpr_workitem_id 1
		.amdhsa_next_free_vgpr 6
		.amdhsa_next_free_sgpr 17
		.amdhsa_named_barrier_count 0
		.amdhsa_reserve_vcc 1
		.amdhsa_float_round_mode_32 0
		.amdhsa_float_round_mode_16_64 0
		.amdhsa_float_denorm_mode_32 3
		.amdhsa_float_denorm_mode_16_64 3
		.amdhsa_fp16_overflow 0
		.amdhsa_memory_ordered 1
		.amdhsa_forward_progress 1
		.amdhsa_inst_pref_size 3
		.amdhsa_round_robin_scheduling 0
		.amdhsa_exception_fp_ieee_invalid_op 0
		.amdhsa_exception_fp_denorm_src 0
		.amdhsa_exception_fp_ieee_div_zero 0
		.amdhsa_exception_fp_ieee_overflow 0
		.amdhsa_exception_fp_ieee_underflow 0
		.amdhsa_exception_fp_ieee_inexact 0
		.amdhsa_exception_int_div_zero 0
	.end_amdhsa_kernel
	.section	.text._ZN9rocsolver6v33100L8addmatA1I19rocblas_complex_numIfEPS3_EEviiT0_iilPT_,"axG",@progbits,_ZN9rocsolver6v33100L8addmatA1I19rocblas_complex_numIfEPS3_EEviiT0_iilPT_,comdat
.Lfunc_end114:
	.size	_ZN9rocsolver6v33100L8addmatA1I19rocblas_complex_numIfEPS3_EEviiT0_iilPT_, .Lfunc_end114-_ZN9rocsolver6v33100L8addmatA1I19rocblas_complex_numIfEPS3_EEviiT0_iilPT_
                                        ; -- End function
	.set _ZN9rocsolver6v33100L8addmatA1I19rocblas_complex_numIfEPS3_EEviiT0_iilPT_.num_vgpr, 6
	.set _ZN9rocsolver6v33100L8addmatA1I19rocblas_complex_numIfEPS3_EEviiT0_iilPT_.num_agpr, 0
	.set _ZN9rocsolver6v33100L8addmatA1I19rocblas_complex_numIfEPS3_EEviiT0_iilPT_.numbered_sgpr, 17
	.set _ZN9rocsolver6v33100L8addmatA1I19rocblas_complex_numIfEPS3_EEviiT0_iilPT_.num_named_barrier, 0
	.set _ZN9rocsolver6v33100L8addmatA1I19rocblas_complex_numIfEPS3_EEviiT0_iilPT_.private_seg_size, 0
	.set _ZN9rocsolver6v33100L8addmatA1I19rocblas_complex_numIfEPS3_EEviiT0_iilPT_.uses_vcc, 1
	.set _ZN9rocsolver6v33100L8addmatA1I19rocblas_complex_numIfEPS3_EEviiT0_iilPT_.uses_flat_scratch, 0
	.set _ZN9rocsolver6v33100L8addmatA1I19rocblas_complex_numIfEPS3_EEviiT0_iilPT_.has_dyn_sized_stack, 0
	.set _ZN9rocsolver6v33100L8addmatA1I19rocblas_complex_numIfEPS3_EEviiT0_iilPT_.has_recursion, 0
	.set _ZN9rocsolver6v33100L8addmatA1I19rocblas_complex_numIfEPS3_EEviiT0_iilPT_.has_indirect_call, 0
	.section	.AMDGPU.csdata,"",@progbits
; Kernel info:
; codeLenInByte = 368
; TotalNumSgprs: 19
; NumVgprs: 6
; ScratchSize: 0
; MemoryBound: 0
; FloatMode: 240
; IeeeMode: 1
; LDSByteSize: 0 bytes/workgroup (compile time only)
; SGPRBlocks: 0
; VGPRBlocks: 0
; NumSGPRsForWavesPerEU: 19
; NumVGPRsForWavesPerEU: 6
; NamedBarCnt: 0
; Occupancy: 16
; WaveLimiterHint : 0
; COMPUTE_PGM_RSRC2:SCRATCH_EN: 0
; COMPUTE_PGM_RSRC2:USER_SGPR: 2
; COMPUTE_PGM_RSRC2:TRAP_HANDLER: 0
; COMPUTE_PGM_RSRC2:TGID_X_EN: 1
; COMPUTE_PGM_RSRC2:TGID_Y_EN: 1
; COMPUTE_PGM_RSRC2:TGID_Z_EN: 1
; COMPUTE_PGM_RSRC2:TIDIG_COMP_CNT: 1
	.section	.text._ZN9rocsolver6v33100L15gesvdj_finalizeI19rocblas_complex_numIfEfEEviPT0_lPT_ilS7_il,"axG",@progbits,_ZN9rocsolver6v33100L15gesvdj_finalizeI19rocblas_complex_numIfEfEEviPT0_lPT_ilS7_il,comdat
	.globl	_ZN9rocsolver6v33100L15gesvdj_finalizeI19rocblas_complex_numIfEfEEviPT0_lPT_ilS7_il ; -- Begin function _ZN9rocsolver6v33100L15gesvdj_finalizeI19rocblas_complex_numIfEfEEviPT0_lPT_ilS7_il
	.p2align	8
	.type	_ZN9rocsolver6v33100L15gesvdj_finalizeI19rocblas_complex_numIfEfEEviPT0_lPT_ilS7_il,@function
_ZN9rocsolver6v33100L15gesvdj_finalizeI19rocblas_complex_numIfEfEEviPT0_lPT_ilS7_il: ; @_ZN9rocsolver6v33100L15gesvdj_finalizeI19rocblas_complex_numIfEfEEviPT0_lPT_ilS7_il
; %bb.0:
	s_clause 0x1
	s_load_b32 s2, s[0:1], 0x54
	s_load_b32 s10, s[0:1], 0x0
	s_bfe_u32 s3, ttmp6, 0x4000c
	s_and_b32 s4, ttmp6, 15
	s_add_co_i32 s5, s3, 1
	s_getreg_b32 s3, hwreg(HW_REG_IB_STS2, 6, 4)
	s_mul_i32 s5, ttmp9, s5
	s_delay_alu instid0(SALU_CYCLE_1) | instskip(SKIP_4) | instid1(SALU_CYCLE_1)
	s_add_co_i32 s4, s4, s5
	s_wait_kmcnt 0x0
	s_and_b32 s2, s2, 0xffff
	s_cmp_eq_u32 s3, 0
	s_cselect_b32 s4, ttmp9, s4
	v_mad_u32 v0, s4, s2, v0
	s_mov_b32 s2, 0
	s_mov_b32 s4, exec_lo
	s_delay_alu instid0(VALU_DEP_1) | instskip(NEXT) | instid1(VALU_DEP_1)
	v_max_i32_e32 v1, 0, v0
	v_cmpx_gt_i32_e64 s10, v1
	s_cbranch_execz .LBB115_7
; %bb.1:
	s_clause 0x3
	s_load_b128 s[4:7], s[0:1], 0x8
	s_load_b128 s[12:15], s[0:1], 0x28
	s_load_b64 s[8:9], s[0:1], 0x40
	s_load_b96 s[16:18], s[0:1], 0x18
	s_bfe_u32 s11, ttmp6, 0x40010
	s_wait_xcnt 0x0
	s_load_b32 s1, s[0:1], 0x38
	s_add_co_i32 s11, s11, 1
	s_wait_xcnt 0x0
	s_bfe_u32 s0, ttmp6, 0x40004
	s_mul_i32 s11, ttmp7, s11
	v_mov_b32_e32 v1, 0
	s_add_co_i32 s0, s0, s11
	s_cmp_eq_u32 s3, 0
	s_cselect_b32 s20, ttmp7, s0
	v_cmp_eq_u32_e64 s0, 0, v0
	s_ashr_i32 s21, s20, 31
	s_wait_kmcnt 0x0
	s_mul_u64 s[6:7], s[6:7], s[20:21]
	s_mul_u64 s[12:13], s[12:13], s[20:21]
	;; [unrolled: 1-line block ×3, first 2 shown]
	s_lshl_b64 s[6:7], s[6:7], 2
	s_lshl_b64 s[12:13], s[12:13], 3
	;; [unrolled: 1-line block ×3, first 2 shown]
	s_add_nc_u64 s[4:5], s[4:5], s[6:7]
	s_add_nc_u64 s[6:7], s[16:17], s[12:13]
	;; [unrolled: 1-line block ×3, first 2 shown]
	s_add_co_i32 s11, s18, 1
	s_branch .LBB115_3
.LBB115_2:                              ;   in Loop: Header=BB115_3 Depth=1
	s_wait_xcnt 0x0
	v_add_nc_u32_e32 v0, s1, v0
	s_add_co_i32 s10, s10, -1
	s_add_co_i32 s2, s2, s11
	s_cmp_lg_u32 s10, 0
	s_add_nc_u64 s[4:5], s[4:5], 4
	s_cbranch_scc0 .LBB115_7
.LBB115_3:                              ; =>This Inner Loop Header: Depth=1
	s_ashr_i32 s3, s2, 31
	s_delay_alu instid0(SALU_CYCLE_1) | instskip(NEXT) | instid1(SALU_CYCLE_1)
	s_lshl_b64 s[12:13], s[2:3], 3
	s_add_nc_u64 s[12:13], s[6:7], s[12:13]
	global_load_b32 v2, v1, s[12:13]
	s_wait_xcnt 0x0
	s_and_saveexec_b32 s3, s0
	s_cbranch_execz .LBB115_5
; %bb.4:                                ;   in Loop: Header=BB115_3 Depth=1
	s_wait_loadcnt 0x0
	v_and_b32_e32 v3, 0x7fffffff, v2
	global_store_b32 v1, v3, s[4:5]
.LBB115_5:                              ;   in Loop: Header=BB115_3 Depth=1
	s_wait_xcnt 0x0
	s_or_b32 exec_lo, exec_lo, s3
	s_wait_loadcnt 0x0
	v_cmp_ngt_f32_e32 vcc_lo, 0, v2
	s_cbranch_vccnz .LBB115_2
; %bb.6:                                ;   in Loop: Header=BB115_3 Depth=1
	global_load_b64 v[2:3], v0, s[8:9] scale_offset
	s_wait_loadcnt 0x0
	v_pk_add_f32 v[2:3], v[2:3], 0 neg_lo:[1,1] neg_hi:[1,1]
	global_store_b64 v0, v[2:3], s[8:9] scale_offset
	s_branch .LBB115_2
.LBB115_7:
	s_endpgm
	.section	.rodata,"a",@progbits
	.p2align	6, 0x0
	.amdhsa_kernel _ZN9rocsolver6v33100L15gesvdj_finalizeI19rocblas_complex_numIfEfEEviPT0_lPT_ilS7_il
		.amdhsa_group_segment_fixed_size 0
		.amdhsa_private_segment_fixed_size 0
		.amdhsa_kernarg_size 328
		.amdhsa_user_sgpr_count 2
		.amdhsa_user_sgpr_dispatch_ptr 0
		.amdhsa_user_sgpr_queue_ptr 0
		.amdhsa_user_sgpr_kernarg_segment_ptr 1
		.amdhsa_user_sgpr_dispatch_id 0
		.amdhsa_user_sgpr_kernarg_preload_length 0
		.amdhsa_user_sgpr_kernarg_preload_offset 0
		.amdhsa_user_sgpr_private_segment_size 0
		.amdhsa_wavefront_size32 1
		.amdhsa_uses_dynamic_stack 0
		.amdhsa_enable_private_segment 0
		.amdhsa_system_sgpr_workgroup_id_x 1
		.amdhsa_system_sgpr_workgroup_id_y 1
		.amdhsa_system_sgpr_workgroup_id_z 0
		.amdhsa_system_sgpr_workgroup_info 0
		.amdhsa_system_vgpr_workitem_id 0
		.amdhsa_next_free_vgpr 4
		.amdhsa_next_free_sgpr 22
		.amdhsa_named_barrier_count 0
		.amdhsa_reserve_vcc 1
		.amdhsa_float_round_mode_32 0
		.amdhsa_float_round_mode_16_64 0
		.amdhsa_float_denorm_mode_32 3
		.amdhsa_float_denorm_mode_16_64 3
		.amdhsa_fp16_overflow 0
		.amdhsa_memory_ordered 1
		.amdhsa_forward_progress 1
		.amdhsa_inst_pref_size 4
		.amdhsa_round_robin_scheduling 0
		.amdhsa_exception_fp_ieee_invalid_op 0
		.amdhsa_exception_fp_denorm_src 0
		.amdhsa_exception_fp_ieee_div_zero 0
		.amdhsa_exception_fp_ieee_overflow 0
		.amdhsa_exception_fp_ieee_underflow 0
		.amdhsa_exception_fp_ieee_inexact 0
		.amdhsa_exception_int_div_zero 0
	.end_amdhsa_kernel
	.section	.text._ZN9rocsolver6v33100L15gesvdj_finalizeI19rocblas_complex_numIfEfEEviPT0_lPT_ilS7_il,"axG",@progbits,_ZN9rocsolver6v33100L15gesvdj_finalizeI19rocblas_complex_numIfEfEEviPT0_lPT_ilS7_il,comdat
.Lfunc_end115:
	.size	_ZN9rocsolver6v33100L15gesvdj_finalizeI19rocblas_complex_numIfEfEEviPT0_lPT_ilS7_il, .Lfunc_end115-_ZN9rocsolver6v33100L15gesvdj_finalizeI19rocblas_complex_numIfEfEEviPT0_lPT_ilS7_il
                                        ; -- End function
	.set _ZN9rocsolver6v33100L15gesvdj_finalizeI19rocblas_complex_numIfEfEEviPT0_lPT_ilS7_il.num_vgpr, 4
	.set _ZN9rocsolver6v33100L15gesvdj_finalizeI19rocblas_complex_numIfEfEEviPT0_lPT_ilS7_il.num_agpr, 0
	.set _ZN9rocsolver6v33100L15gesvdj_finalizeI19rocblas_complex_numIfEfEEviPT0_lPT_ilS7_il.numbered_sgpr, 22
	.set _ZN9rocsolver6v33100L15gesvdj_finalizeI19rocblas_complex_numIfEfEEviPT0_lPT_ilS7_il.num_named_barrier, 0
	.set _ZN9rocsolver6v33100L15gesvdj_finalizeI19rocblas_complex_numIfEfEEviPT0_lPT_ilS7_il.private_seg_size, 0
	.set _ZN9rocsolver6v33100L15gesvdj_finalizeI19rocblas_complex_numIfEfEEviPT0_lPT_ilS7_il.uses_vcc, 1
	.set _ZN9rocsolver6v33100L15gesvdj_finalizeI19rocblas_complex_numIfEfEEviPT0_lPT_ilS7_il.uses_flat_scratch, 0
	.set _ZN9rocsolver6v33100L15gesvdj_finalizeI19rocblas_complex_numIfEfEEviPT0_lPT_ilS7_il.has_dyn_sized_stack, 0
	.set _ZN9rocsolver6v33100L15gesvdj_finalizeI19rocblas_complex_numIfEfEEviPT0_lPT_ilS7_il.has_recursion, 0
	.set _ZN9rocsolver6v33100L15gesvdj_finalizeI19rocblas_complex_numIfEfEEviPT0_lPT_ilS7_il.has_indirect_call, 0
	.section	.AMDGPU.csdata,"",@progbits
; Kernel info:
; codeLenInByte = 416
; TotalNumSgprs: 24
; NumVgprs: 4
; ScratchSize: 0
; MemoryBound: 0
; FloatMode: 240
; IeeeMode: 1
; LDSByteSize: 0 bytes/workgroup (compile time only)
; SGPRBlocks: 0
; VGPRBlocks: 0
; NumSGPRsForWavesPerEU: 24
; NumVGPRsForWavesPerEU: 4
; NamedBarCnt: 0
; Occupancy: 16
; WaveLimiterHint : 0
; COMPUTE_PGM_RSRC2:SCRATCH_EN: 0
; COMPUTE_PGM_RSRC2:USER_SGPR: 2
; COMPUTE_PGM_RSRC2:TRAP_HANDLER: 0
; COMPUTE_PGM_RSRC2:TGID_X_EN: 1
; COMPUTE_PGM_RSRC2:TGID_Y_EN: 1
; COMPUTE_PGM_RSRC2:TGID_Z_EN: 0
; COMPUTE_PGM_RSRC2:TIDIG_COMP_CNT: 0
	.section	.text._ZN9rocsolver6v33100L16org2r_init_identI19rocblas_complex_numIfEPS3_EEviiiT0_iil,"axG",@progbits,_ZN9rocsolver6v33100L16org2r_init_identI19rocblas_complex_numIfEPS3_EEviiiT0_iil,comdat
	.globl	_ZN9rocsolver6v33100L16org2r_init_identI19rocblas_complex_numIfEPS3_EEviiiT0_iil ; -- Begin function _ZN9rocsolver6v33100L16org2r_init_identI19rocblas_complex_numIfEPS3_EEviiiT0_iil
	.p2align	8
	.type	_ZN9rocsolver6v33100L16org2r_init_identI19rocblas_complex_numIfEPS3_EEviiiT0_iil,@function
_ZN9rocsolver6v33100L16org2r_init_identI19rocblas_complex_numIfEPS3_EEviiiT0_iil: ; @_ZN9rocsolver6v33100L16org2r_init_identI19rocblas_complex_numIfEPS3_EEviiiT0_iil
; %bb.0:
	s_clause 0x1
	s_load_b32 s2, s[0:1], 0x34
	s_load_b96 s[8:10], s[0:1], 0x0
	s_bfe_u32 s4, ttmp6, 0x4000c
	s_bfe_u32 s6, ttmp6, 0x40010
	s_and_b32 s5, ttmp7, 0xffff
	s_add_co_i32 s4, s4, 1
	s_add_co_i32 s6, s6, 1
	s_and_b32 s3, ttmp6, 15
	s_bfe_u32 s7, ttmp6, 0x40004
	s_mul_i32 s4, ttmp9, s4
	s_mul_i32 s6, s5, s6
	s_getreg_b32 s11, hwreg(HW_REG_IB_STS2, 6, 4)
	v_bfe_u32 v2, v0, 10, 10
	v_and_b32_e32 v0, 0x3ff, v0
	s_add_co_i32 s3, s3, s4
	s_add_co_i32 s7, s7, s6
	s_wait_kmcnt 0x0
	s_lshr_b32 s4, s2, 16
	s_and_b32 s2, s2, 0xffff
	s_cmp_eq_u32 s11, 0
	s_cselect_b32 s3, ttmp9, s3
	s_cselect_b32 s5, s5, s7
	v_mad_u32 v1, s3, s2, v0
	v_mad_u32 v0, s5, s4, v2
	s_mov_b32 s3, 0
	s_delay_alu instid0(VALU_DEP_2) | instskip(NEXT) | instid1(VALU_DEP_2)
	v_cmp_gt_u32_e32 vcc_lo, s8, v1
	v_cmp_gt_u32_e64 s2, s9, v0
	s_and_b32 s2, vcc_lo, s2
	s_delay_alu instid0(SALU_CYCLE_1)
	s_and_saveexec_b32 s4, s2
	s_cbranch_execz .LBB116_11
; %bb.1:
	s_clause 0x1
	s_load_b128 s[4:7], s[0:1], 0x10
	s_load_b64 s[8:9], s[0:1], 0x20
	s_wait_xcnt 0x0
	s_bfe_u32 s0, ttmp6, 0x40014
	s_lshr_b32 s2, ttmp7, 16
	s_add_co_i32 s0, s0, 1
	s_bfe_u32 s1, ttmp6, 0x40008
	s_mul_i32 s0, s2, s0
	s_delay_alu instid0(SALU_CYCLE_1)
	s_add_co_i32 s0, s1, s0
	s_wait_kmcnt 0x0
	s_ashr_i32 s1, s6, 31
	s_cmp_eq_u32 s11, 0
	s_cselect_b32 s2, s2, s0
	s_mov_b32 s0, s6
	s_mul_u64 s[2:3], s[8:9], s[2:3]
	s_lshl_b64 s[0:1], s[0:1], 3
	s_lshl_b64 s[2:3], s[2:3], 3
	s_delay_alu instid0(SALU_CYCLE_1) | instskip(NEXT) | instid1(SALU_CYCLE_1)
	s_add_nc_u64 s[2:3], s[4:5], s[2:3]
	s_add_nc_u64 s[0:1], s[2:3], s[0:1]
	s_mov_b32 s2, exec_lo
	v_cmpx_ne_u32_e64 v1, v0
	s_xor_b32 s2, exec_lo, s2
	s_cbranch_execz .LBB116_9
; %bb.2:
	s_mov_b32 s3, exec_lo
	v_cmpx_le_u32_e64 v0, v1
	s_xor_b32 s3, exec_lo, s3
	s_cbranch_execz .LBB116_6
; %bb.3:
	s_mov_b32 s4, exec_lo
	v_cmpx_le_u32_e64 s10, v0
	s_cbranch_execz .LBB116_5
; %bb.4:
	v_mad_u32 v2, v0, s7, v1
	v_mov_b64_e32 v[0:1], 0
	global_store_b64 v2, v[0:1], s[0:1] scale_offset
.LBB116_5:
	s_wait_xcnt 0x0
	s_or_b32 exec_lo, exec_lo, s4
                                        ; implicit-def: $vgpr0
                                        ; implicit-def: $vgpr1
.LBB116_6:
	s_and_not1_saveexec_b32 s3, s3
	s_cbranch_execz .LBB116_8
; %bb.7:
	v_mad_u32 v2, v0, s7, v1
	v_mov_b64_e32 v[0:1], 0
	global_store_b64 v2, v[0:1], s[0:1] scale_offset
.LBB116_8:
	s_wait_xcnt 0x0
	s_or_b32 exec_lo, exec_lo, s3
                                        ; implicit-def: $vgpr0
.LBB116_9:
	s_and_not1_saveexec_b32 s2, s2
	s_cbranch_execz .LBB116_11
; %bb.10:
	v_mad_u32 v2, v0, s7, v0
	v_mov_b64_e32 v[0:1], 0x3f800000
	global_store_b64 v2, v[0:1], s[0:1] scale_offset
.LBB116_11:
	s_endpgm
	.section	.rodata,"a",@progbits
	.p2align	6, 0x0
	.amdhsa_kernel _ZN9rocsolver6v33100L16org2r_init_identI19rocblas_complex_numIfEPS3_EEviiiT0_iil
		.amdhsa_group_segment_fixed_size 0
		.amdhsa_private_segment_fixed_size 0
		.amdhsa_kernarg_size 296
		.amdhsa_user_sgpr_count 2
		.amdhsa_user_sgpr_dispatch_ptr 0
		.amdhsa_user_sgpr_queue_ptr 0
		.amdhsa_user_sgpr_kernarg_segment_ptr 1
		.amdhsa_user_sgpr_dispatch_id 0
		.amdhsa_user_sgpr_kernarg_preload_length 0
		.amdhsa_user_sgpr_kernarg_preload_offset 0
		.amdhsa_user_sgpr_private_segment_size 0
		.amdhsa_wavefront_size32 1
		.amdhsa_uses_dynamic_stack 0
		.amdhsa_enable_private_segment 0
		.amdhsa_system_sgpr_workgroup_id_x 1
		.amdhsa_system_sgpr_workgroup_id_y 1
		.amdhsa_system_sgpr_workgroup_id_z 1
		.amdhsa_system_sgpr_workgroup_info 0
		.amdhsa_system_vgpr_workitem_id 1
		.amdhsa_next_free_vgpr 3
		.amdhsa_next_free_sgpr 12
		.amdhsa_named_barrier_count 0
		.amdhsa_reserve_vcc 1
		.amdhsa_float_round_mode_32 0
		.amdhsa_float_round_mode_16_64 0
		.amdhsa_float_denorm_mode_32 3
		.amdhsa_float_denorm_mode_16_64 3
		.amdhsa_fp16_overflow 0
		.amdhsa_memory_ordered 1
		.amdhsa_forward_progress 1
		.amdhsa_inst_pref_size 4
		.amdhsa_round_robin_scheduling 0
		.amdhsa_exception_fp_ieee_invalid_op 0
		.amdhsa_exception_fp_denorm_src 0
		.amdhsa_exception_fp_ieee_div_zero 0
		.amdhsa_exception_fp_ieee_overflow 0
		.amdhsa_exception_fp_ieee_underflow 0
		.amdhsa_exception_fp_ieee_inexact 0
		.amdhsa_exception_int_div_zero 0
	.end_amdhsa_kernel
	.section	.text._ZN9rocsolver6v33100L16org2r_init_identI19rocblas_complex_numIfEPS3_EEviiiT0_iil,"axG",@progbits,_ZN9rocsolver6v33100L16org2r_init_identI19rocblas_complex_numIfEPS3_EEviiiT0_iil,comdat
.Lfunc_end116:
	.size	_ZN9rocsolver6v33100L16org2r_init_identI19rocblas_complex_numIfEPS3_EEviiiT0_iil, .Lfunc_end116-_ZN9rocsolver6v33100L16org2r_init_identI19rocblas_complex_numIfEPS3_EEviiiT0_iil
                                        ; -- End function
	.set _ZN9rocsolver6v33100L16org2r_init_identI19rocblas_complex_numIfEPS3_EEviiiT0_iil.num_vgpr, 3
	.set _ZN9rocsolver6v33100L16org2r_init_identI19rocblas_complex_numIfEPS3_EEviiiT0_iil.num_agpr, 0
	.set _ZN9rocsolver6v33100L16org2r_init_identI19rocblas_complex_numIfEPS3_EEviiiT0_iil.numbered_sgpr, 12
	.set _ZN9rocsolver6v33100L16org2r_init_identI19rocblas_complex_numIfEPS3_EEviiiT0_iil.num_named_barrier, 0
	.set _ZN9rocsolver6v33100L16org2r_init_identI19rocblas_complex_numIfEPS3_EEviiiT0_iil.private_seg_size, 0
	.set _ZN9rocsolver6v33100L16org2r_init_identI19rocblas_complex_numIfEPS3_EEviiiT0_iil.uses_vcc, 1
	.set _ZN9rocsolver6v33100L16org2r_init_identI19rocblas_complex_numIfEPS3_EEviiiT0_iil.uses_flat_scratch, 0
	.set _ZN9rocsolver6v33100L16org2r_init_identI19rocblas_complex_numIfEPS3_EEviiiT0_iil.has_dyn_sized_stack, 0
	.set _ZN9rocsolver6v33100L16org2r_init_identI19rocblas_complex_numIfEPS3_EEviiiT0_iil.has_recursion, 0
	.set _ZN9rocsolver6v33100L16org2r_init_identI19rocblas_complex_numIfEPS3_EEviiiT0_iil.has_indirect_call, 0
	.section	.AMDGPU.csdata,"",@progbits
; Kernel info:
; codeLenInByte = 452
; TotalNumSgprs: 14
; NumVgprs: 3
; ScratchSize: 0
; MemoryBound: 0
; FloatMode: 240
; IeeeMode: 1
; LDSByteSize: 0 bytes/workgroup (compile time only)
; SGPRBlocks: 0
; VGPRBlocks: 0
; NumSGPRsForWavesPerEU: 14
; NumVGPRsForWavesPerEU: 3
; NamedBarCnt: 0
; Occupancy: 16
; WaveLimiterHint : 0
; COMPUTE_PGM_RSRC2:SCRATCH_EN: 0
; COMPUTE_PGM_RSRC2:USER_SGPR: 2
; COMPUTE_PGM_RSRC2:TRAP_HANDLER: 0
; COMPUTE_PGM_RSRC2:TGID_X_EN: 1
; COMPUTE_PGM_RSRC2:TGID_Y_EN: 1
; COMPUTE_PGM_RSRC2:TGID_Z_EN: 1
; COMPUTE_PGM_RSRC2:TIDIG_COMP_CNT: 1
	.section	.text._ZN9rocsolver6v33100L12subtract_tauI19rocblas_complex_numIfEPS3_EEviiT0_iilPT_l,"axG",@progbits,_ZN9rocsolver6v33100L12subtract_tauI19rocblas_complex_numIfEPS3_EEviiT0_iilPT_l,comdat
	.globl	_ZN9rocsolver6v33100L12subtract_tauI19rocblas_complex_numIfEPS3_EEviiT0_iilPT_l ; -- Begin function _ZN9rocsolver6v33100L12subtract_tauI19rocblas_complex_numIfEPS3_EEviiT0_iilPT_l
	.p2align	8
	.type	_ZN9rocsolver6v33100L12subtract_tauI19rocblas_complex_numIfEPS3_EEviiT0_iilPT_l,@function
_ZN9rocsolver6v33100L12subtract_tauI19rocblas_complex_numIfEPS3_EEviiT0_iilPT_l: ; @_ZN9rocsolver6v33100L12subtract_tauI19rocblas_complex_numIfEPS3_EEviiT0_iilPT_l
; %bb.0:
	s_clause 0x2
	s_load_b64 s[8:9], s[0:1], 0x10
	s_load_b64 s[2:3], s[0:1], 0x28
	s_load_b128 s[4:7], s[0:1], 0x18
	s_bfe_u32 s10, ttmp6, 0x4000c
	s_and_b32 s11, ttmp6, 15
	s_add_co_i32 s10, s10, 1
	s_getreg_b32 s12, hwreg(HW_REG_IB_STS2, 6, 4)
	s_mul_i32 s10, ttmp9, s10
	s_mov_b32 s13, 0
	s_add_co_i32 s10, s11, s10
	s_wait_kmcnt 0x0
	s_ashr_i32 s11, s8, 31
	s_cmp_eq_u32 s12, 0
	s_cselect_b32 s12, ttmp9, s10
	s_mov_b32 s10, s8
	s_mul_u64 s[14:15], s[2:3], s[12:13]
	s_load_b128 s[0:3], s[0:1], 0x0
	s_lshl_b64 s[14:15], s[14:15], 3
	s_mul_u64 s[4:5], s[4:5], s[12:13]
	s_add_nc_u64 s[6:7], s[6:7], s[14:15]
	s_lshl_b64 s[4:5], s[4:5], 3
	s_load_b64 s[14:15], s[6:7], 0x0
	s_wait_kmcnt 0x0
	s_mul_i32 s1, s9, s1
	s_delay_alu instid0(SALU_CYCLE_1)
	s_add_co_i32 s8, s1, s0
	s_add_nc_u64 s[0:1], s[2:3], s[4:5]
	v_mov_b32_e32 v5, s8
	s_sub_f32 s4, 1.0, s14
	s_xor_b32 s2, s15, 0x80000000
	s_xor_b32 s3, s14, 0x80000000
	s_delay_alu instid0(SALU_CYCLE_1) | instskip(SKIP_3) | instid1(SALU_CYCLE_1)
	v_dual_mov_b32 v4, 0 :: v_dual_mov_b32 v0, s3
	v_dual_mov_b32 v1, s2 :: v_dual_mov_b32 v3, s2
	v_mov_b32_e32 v2, s4
	s_lshl_b64 s[2:3], s[10:11], 3
	s_add_nc_u64 s[0:1], s[0:1], s[2:3]
	global_store_b64 v4, v[0:1], s[6:7]
	global_store_b64 v5, v[2:3], s[0:1] scale_offset
	s_endpgm
	.section	.rodata,"a",@progbits
	.p2align	6, 0x0
	.amdhsa_kernel _ZN9rocsolver6v33100L12subtract_tauI19rocblas_complex_numIfEPS3_EEviiT0_iilPT_l
		.amdhsa_group_segment_fixed_size 0
		.amdhsa_private_segment_fixed_size 0
		.amdhsa_kernarg_size 48
		.amdhsa_user_sgpr_count 2
		.amdhsa_user_sgpr_dispatch_ptr 0
		.amdhsa_user_sgpr_queue_ptr 0
		.amdhsa_user_sgpr_kernarg_segment_ptr 1
		.amdhsa_user_sgpr_dispatch_id 0
		.amdhsa_user_sgpr_kernarg_preload_length 0
		.amdhsa_user_sgpr_kernarg_preload_offset 0
		.amdhsa_user_sgpr_private_segment_size 0
		.amdhsa_wavefront_size32 1
		.amdhsa_uses_dynamic_stack 0
		.amdhsa_enable_private_segment 0
		.amdhsa_system_sgpr_workgroup_id_x 1
		.amdhsa_system_sgpr_workgroup_id_y 0
		.amdhsa_system_sgpr_workgroup_id_z 0
		.amdhsa_system_sgpr_workgroup_info 0
		.amdhsa_system_vgpr_workitem_id 0
		.amdhsa_next_free_vgpr 6
		.amdhsa_next_free_sgpr 16
		.amdhsa_named_barrier_count 0
		.amdhsa_reserve_vcc 0
		.amdhsa_float_round_mode_32 0
		.amdhsa_float_round_mode_16_64 0
		.amdhsa_float_denorm_mode_32 3
		.amdhsa_float_denorm_mode_16_64 3
		.amdhsa_fp16_overflow 0
		.amdhsa_memory_ordered 1
		.amdhsa_forward_progress 1
		.amdhsa_inst_pref_size 2
		.amdhsa_round_robin_scheduling 0
		.amdhsa_exception_fp_ieee_invalid_op 0
		.amdhsa_exception_fp_denorm_src 0
		.amdhsa_exception_fp_ieee_div_zero 0
		.amdhsa_exception_fp_ieee_overflow 0
		.amdhsa_exception_fp_ieee_underflow 0
		.amdhsa_exception_fp_ieee_inexact 0
		.amdhsa_exception_int_div_zero 0
	.end_amdhsa_kernel
	.section	.text._ZN9rocsolver6v33100L12subtract_tauI19rocblas_complex_numIfEPS3_EEviiT0_iilPT_l,"axG",@progbits,_ZN9rocsolver6v33100L12subtract_tauI19rocblas_complex_numIfEPS3_EEviiT0_iilPT_l,comdat
.Lfunc_end117:
	.size	_ZN9rocsolver6v33100L12subtract_tauI19rocblas_complex_numIfEPS3_EEviiT0_iilPT_l, .Lfunc_end117-_ZN9rocsolver6v33100L12subtract_tauI19rocblas_complex_numIfEPS3_EEviiT0_iilPT_l
                                        ; -- End function
	.set _ZN9rocsolver6v33100L12subtract_tauI19rocblas_complex_numIfEPS3_EEviiT0_iilPT_l.num_vgpr, 6
	.set _ZN9rocsolver6v33100L12subtract_tauI19rocblas_complex_numIfEPS3_EEviiT0_iilPT_l.num_agpr, 0
	.set _ZN9rocsolver6v33100L12subtract_tauI19rocblas_complex_numIfEPS3_EEviiT0_iilPT_l.numbered_sgpr, 16
	.set _ZN9rocsolver6v33100L12subtract_tauI19rocblas_complex_numIfEPS3_EEviiT0_iilPT_l.num_named_barrier, 0
	.set _ZN9rocsolver6v33100L12subtract_tauI19rocblas_complex_numIfEPS3_EEviiT0_iilPT_l.private_seg_size, 0
	.set _ZN9rocsolver6v33100L12subtract_tauI19rocblas_complex_numIfEPS3_EEviiT0_iilPT_l.uses_vcc, 0
	.set _ZN9rocsolver6v33100L12subtract_tauI19rocblas_complex_numIfEPS3_EEviiT0_iilPT_l.uses_flat_scratch, 0
	.set _ZN9rocsolver6v33100L12subtract_tauI19rocblas_complex_numIfEPS3_EEviiT0_iilPT_l.has_dyn_sized_stack, 0
	.set _ZN9rocsolver6v33100L12subtract_tauI19rocblas_complex_numIfEPS3_EEviiT0_iilPT_l.has_recursion, 0
	.set _ZN9rocsolver6v33100L12subtract_tauI19rocblas_complex_numIfEPS3_EEviiT0_iilPT_l.has_indirect_call, 0
	.section	.AMDGPU.csdata,"",@progbits
; Kernel info:
; codeLenInByte = 228
; TotalNumSgprs: 16
; NumVgprs: 6
; ScratchSize: 0
; MemoryBound: 0
; FloatMode: 240
; IeeeMode: 1
; LDSByteSize: 0 bytes/workgroup (compile time only)
; SGPRBlocks: 0
; VGPRBlocks: 0
; NumSGPRsForWavesPerEU: 16
; NumVGPRsForWavesPerEU: 6
; NamedBarCnt: 0
; Occupancy: 16
; WaveLimiterHint : 0
; COMPUTE_PGM_RSRC2:SCRATCH_EN: 0
; COMPUTE_PGM_RSRC2:USER_SGPR: 2
; COMPUTE_PGM_RSRC2:TRAP_HANDLER: 0
; COMPUTE_PGM_RSRC2:TGID_X_EN: 1
; COMPUTE_PGM_RSRC2:TGID_Y_EN: 0
; COMPUTE_PGM_RSRC2:TGID_Z_EN: 0
; COMPUTE_PGM_RSRC2:TIDIG_COMP_CNT: 0
	.section	.text._ZN9rocsolver6v33100L6restauI19rocblas_complex_numIfEEEviPT_l,"axG",@progbits,_ZN9rocsolver6v33100L6restauI19rocblas_complex_numIfEEEviPT_l,comdat
	.globl	_ZN9rocsolver6v33100L6restauI19rocblas_complex_numIfEEEviPT_l ; -- Begin function _ZN9rocsolver6v33100L6restauI19rocblas_complex_numIfEEEviPT_l
	.p2align	8
	.type	_ZN9rocsolver6v33100L6restauI19rocblas_complex_numIfEEEviPT_l,@function
_ZN9rocsolver6v33100L6restauI19rocblas_complex_numIfEEEviPT_l: ; @_ZN9rocsolver6v33100L6restauI19rocblas_complex_numIfEEEviPT_l
; %bb.0:
	s_clause 0x1
	s_load_b32 s3, s[0:1], 0x24
	s_load_b32 s4, s[0:1], 0x0
	s_bfe_u32 s2, ttmp6, 0x4000c
	s_and_b32 s5, ttmp6, 15
	s_add_co_i32 s6, s2, 1
	s_getreg_b32 s2, hwreg(HW_REG_IB_STS2, 6, 4)
	s_mul_i32 s6, ttmp9, s6
	s_delay_alu instid0(SALU_CYCLE_1) | instskip(SKIP_4) | instid1(SALU_CYCLE_1)
	s_add_co_i32 s5, s5, s6
	s_wait_kmcnt 0x0
	s_and_b32 s3, s3, 0xffff
	s_cmp_eq_u32 s2, 0
	s_cselect_b32 s5, ttmp9, s5
	v_mad_u32 v0, s5, s3, v0
	s_mov_b32 s3, 0
	s_delay_alu instid0(VALU_DEP_1)
	v_cmp_gt_u32_e32 vcc_lo, s4, v0
	s_and_saveexec_b32 s4, vcc_lo
	s_cbranch_execz .LBB118_2
; %bb.1:
	s_load_b128 s[4:7], s[0:1], 0x8
	s_wait_xcnt 0x0
	s_bfe_u32 s0, ttmp6, 0x40010
	s_bfe_u32 s1, ttmp6, 0x40004
	s_add_co_i32 s0, s0, 1
	s_delay_alu instid0(SALU_CYCLE_1) | instskip(NEXT) | instid1(SALU_CYCLE_1)
	s_mul_i32 s0, ttmp7, s0
	s_add_co_i32 s1, s1, s0
	s_cmp_eq_u32 s2, 0
	s_cselect_b32 s2, ttmp7, s1
	s_wait_kmcnt 0x0
	s_mul_u64 s[0:1], s[6:7], s[2:3]
	s_delay_alu instid0(SALU_CYCLE_1) | instskip(NEXT) | instid1(SALU_CYCLE_1)
	s_lshl_b64 s[0:1], s[0:1], 3
	s_add_nc_u64 s[0:1], s[4:5], s[0:1]
	global_load_b64 v[2:3], v0, s[0:1] scale_offset
	s_wait_loadcnt 0x0
	v_pk_add_f32 v[2:3], v[2:3], 0 neg_lo:[1,1] neg_hi:[1,1]
	global_store_b64 v0, v[2:3], s[0:1] scale_offset
.LBB118_2:
	s_endpgm
	.section	.rodata,"a",@progbits
	.p2align	6, 0x0
	.amdhsa_kernel _ZN9rocsolver6v33100L6restauI19rocblas_complex_numIfEEEviPT_l
		.amdhsa_group_segment_fixed_size 0
		.amdhsa_private_segment_fixed_size 0
		.amdhsa_kernarg_size 280
		.amdhsa_user_sgpr_count 2
		.amdhsa_user_sgpr_dispatch_ptr 0
		.amdhsa_user_sgpr_queue_ptr 0
		.amdhsa_user_sgpr_kernarg_segment_ptr 1
		.amdhsa_user_sgpr_dispatch_id 0
		.amdhsa_user_sgpr_kernarg_preload_length 0
		.amdhsa_user_sgpr_kernarg_preload_offset 0
		.amdhsa_user_sgpr_private_segment_size 0
		.amdhsa_wavefront_size32 1
		.amdhsa_uses_dynamic_stack 0
		.amdhsa_enable_private_segment 0
		.amdhsa_system_sgpr_workgroup_id_x 1
		.amdhsa_system_sgpr_workgroup_id_y 1
		.amdhsa_system_sgpr_workgroup_id_z 0
		.amdhsa_system_sgpr_workgroup_info 0
		.amdhsa_system_vgpr_workitem_id 0
		.amdhsa_next_free_vgpr 4
		.amdhsa_next_free_sgpr 8
		.amdhsa_named_barrier_count 0
		.amdhsa_reserve_vcc 1
		.amdhsa_float_round_mode_32 0
		.amdhsa_float_round_mode_16_64 0
		.amdhsa_float_denorm_mode_32 3
		.amdhsa_float_denorm_mode_16_64 3
		.amdhsa_fp16_overflow 0
		.amdhsa_memory_ordered 1
		.amdhsa_forward_progress 1
		.amdhsa_inst_pref_size 2
		.amdhsa_round_robin_scheduling 0
		.amdhsa_exception_fp_ieee_invalid_op 0
		.amdhsa_exception_fp_denorm_src 0
		.amdhsa_exception_fp_ieee_div_zero 0
		.amdhsa_exception_fp_ieee_overflow 0
		.amdhsa_exception_fp_ieee_underflow 0
		.amdhsa_exception_fp_ieee_inexact 0
		.amdhsa_exception_int_div_zero 0
	.end_amdhsa_kernel
	.section	.text._ZN9rocsolver6v33100L6restauI19rocblas_complex_numIfEEEviPT_l,"axG",@progbits,_ZN9rocsolver6v33100L6restauI19rocblas_complex_numIfEEEviPT_l,comdat
.Lfunc_end118:
	.size	_ZN9rocsolver6v33100L6restauI19rocblas_complex_numIfEEEviPT_l, .Lfunc_end118-_ZN9rocsolver6v33100L6restauI19rocblas_complex_numIfEEEviPT_l
                                        ; -- End function
	.set _ZN9rocsolver6v33100L6restauI19rocblas_complex_numIfEEEviPT_l.num_vgpr, 4
	.set _ZN9rocsolver6v33100L6restauI19rocblas_complex_numIfEEEviPT_l.num_agpr, 0
	.set _ZN9rocsolver6v33100L6restauI19rocblas_complex_numIfEEEviPT_l.numbered_sgpr, 8
	.set _ZN9rocsolver6v33100L6restauI19rocblas_complex_numIfEEEviPT_l.num_named_barrier, 0
	.set _ZN9rocsolver6v33100L6restauI19rocblas_complex_numIfEEEviPT_l.private_seg_size, 0
	.set _ZN9rocsolver6v33100L6restauI19rocblas_complex_numIfEEEviPT_l.uses_vcc, 1
	.set _ZN9rocsolver6v33100L6restauI19rocblas_complex_numIfEEEviPT_l.uses_flat_scratch, 0
	.set _ZN9rocsolver6v33100L6restauI19rocblas_complex_numIfEEEviPT_l.has_dyn_sized_stack, 0
	.set _ZN9rocsolver6v33100L6restauI19rocblas_complex_numIfEEEviPT_l.has_recursion, 0
	.set _ZN9rocsolver6v33100L6restauI19rocblas_complex_numIfEEEviPT_l.has_indirect_call, 0
	.section	.AMDGPU.csdata,"",@progbits
; Kernel info:
; codeLenInByte = 212
; TotalNumSgprs: 10
; NumVgprs: 4
; ScratchSize: 0
; MemoryBound: 0
; FloatMode: 240
; IeeeMode: 1
; LDSByteSize: 0 bytes/workgroup (compile time only)
; SGPRBlocks: 0
; VGPRBlocks: 0
; NumSGPRsForWavesPerEU: 10
; NumVGPRsForWavesPerEU: 4
; NamedBarCnt: 0
; Occupancy: 16
; WaveLimiterHint : 0
; COMPUTE_PGM_RSRC2:SCRATCH_EN: 0
; COMPUTE_PGM_RSRC2:USER_SGPR: 2
; COMPUTE_PGM_RSRC2:TRAP_HANDLER: 0
; COMPUTE_PGM_RSRC2:TGID_X_EN: 1
; COMPUTE_PGM_RSRC2:TGID_Y_EN: 1
; COMPUTE_PGM_RSRC2:TGID_Z_EN: 0
; COMPUTE_PGM_RSRC2:TIDIG_COMP_CNT: 0
	.section	.text._ZN9rocsolver6v33100L8set_zeroI19rocblas_complex_numIfEPS3_EEviiT0_iil13rocblas_fill_,"axG",@progbits,_ZN9rocsolver6v33100L8set_zeroI19rocblas_complex_numIfEPS3_EEviiT0_iil13rocblas_fill_,comdat
	.globl	_ZN9rocsolver6v33100L8set_zeroI19rocblas_complex_numIfEPS3_EEviiT0_iil13rocblas_fill_ ; -- Begin function _ZN9rocsolver6v33100L8set_zeroI19rocblas_complex_numIfEPS3_EEviiT0_iil13rocblas_fill_
	.p2align	8
	.type	_ZN9rocsolver6v33100L8set_zeroI19rocblas_complex_numIfEPS3_EEviiT0_iil13rocblas_fill_,@function
_ZN9rocsolver6v33100L8set_zeroI19rocblas_complex_numIfEPS3_EEviiT0_iil13rocblas_fill_: ; @_ZN9rocsolver6v33100L8set_zeroI19rocblas_complex_numIfEPS3_EEviiT0_iil13rocblas_fill_
; %bb.0:
	s_clause 0x1
	s_load_b32 s2, s[0:1], 0x34
	s_load_b64 s[4:5], s[0:1], 0x0
	s_bfe_u32 s7, ttmp6, 0x40010
	s_bfe_u32 s10, ttmp6, 0x4000c
	s_and_b32 s6, ttmp7, 0xffff
	s_add_co_i32 s7, s7, 1
	s_add_co_i32 s10, s10, 1
	s_bfe_u32 s8, ttmp6, 0x40004
	s_and_b32 s9, ttmp6, 15
	s_mul_i32 s7, s6, s7
	s_mul_i32 s10, ttmp9, s10
	s_getreg_b32 s3, hwreg(HW_REG_IB_STS2, 6, 4)
	v_and_b32_e32 v1, 0x3ff, v0
	v_bfe_u32 v2, v0, 10, 10
	s_add_co_i32 s8, s8, s7
	s_add_co_i32 s9, s9, s10
	s_wait_kmcnt 0x0
	s_lshr_b32 s7, s2, 16
	s_and_b32 s2, s2, 0xffff
	s_cmp_eq_u32 s3, 0
	s_cselect_b32 s9, ttmp9, s9
	s_cselect_b32 s6, s6, s8
	v_mad_u32 v0, s9, s2, v1
	v_mad_u32 v1, s6, s7, v2
	s_delay_alu instid0(VALU_DEP_2) | instskip(NEXT) | instid1(VALU_DEP_2)
	v_cmp_gt_u32_e32 vcc_lo, s4, v0
	v_cmp_gt_u32_e64 s2, s5, v1
	s_and_b32 s2, vcc_lo, s2
	s_delay_alu instid0(SALU_CYCLE_1)
	s_and_saveexec_b32 s4, s2
	s_cbranch_execz .LBB119_12
; %bb.1:
	s_load_b32 s4, s[0:1], 0x20
	s_wait_kmcnt 0x0
	s_cmp_lt_i32 s4, 0x7a
	s_cbranch_scc1 .LBB119_4
; %bb.2:
	s_cmp_gt_i32 s4, 0x7a
	s_cbranch_scc0 .LBB119_5
; %bb.3:
	s_cmp_eq_u32 s4, 0x7b
	s_cselect_b32 s2, -1, 0
	s_cbranch_execz .LBB119_6
	s_branch .LBB119_7
.LBB119_4:
	s_mov_b32 s2, 0
	s_cbranch_execnz .LBB119_8
	s_branch .LBB119_10
.LBB119_5:
	s_mov_b32 s2, 0
.LBB119_6:
	v_cmp_gt_u32_e32 vcc_lo, v1, v0
	s_and_not1_b32 s2, s2, exec_lo
	s_and_b32 s5, vcc_lo, exec_lo
	s_delay_alu instid0(SALU_CYCLE_1)
	s_or_b32 s2, s2, s5
.LBB119_7:
	s_branch .LBB119_10
.LBB119_8:
	s_cmp_eq_u32 s4, 0x79
	s_cbranch_scc0 .LBB119_10
; %bb.9:
	v_cmp_gt_u32_e32 vcc_lo, v0, v1
	s_and_not1_b32 s2, s2, exec_lo
	s_and_b32 s4, vcc_lo, exec_lo
	s_delay_alu instid0(SALU_CYCLE_1)
	s_or_b32 s2, s2, s4
.LBB119_10:
	s_delay_alu instid0(SALU_CYCLE_1)
	s_and_b32 exec_lo, exec_lo, s2
	s_cbranch_execz .LBB119_12
; %bb.11:
	s_clause 0x1
	s_load_b128 s[4:7], s[0:1], 0x8
	s_load_b64 s[8:9], s[0:1], 0x18
	s_wait_xcnt 0x0
	s_bfe_u32 s0, ttmp6, 0x40014
	s_lshr_b32 s2, ttmp7, 16
	s_add_co_i32 s0, s0, 1
	s_bfe_u32 s10, ttmp6, 0x40008
	s_mul_i32 s0, s2, s0
	s_mov_b32 s1, 0
	s_add_co_i32 s10, s10, s0
	s_wait_kmcnt 0x0
	s_ashr_i32 s11, s6, 31
	s_cmp_eq_u32 s3, 0
	v_mad_u32 v2, v1, s7, v0
	s_cselect_b32 s0, s2, s10
	v_mov_b64_e32 v[0:1], 0
	s_mul_u64 s[0:1], s[8:9], s[0:1]
	s_mov_b32 s10, s6
	s_lshl_b64 s[0:1], s[0:1], 3
	s_lshl_b64 s[2:3], s[10:11], 3
	s_add_nc_u64 s[0:1], s[4:5], s[0:1]
	s_delay_alu instid0(SALU_CYCLE_1)
	s_add_nc_u64 s[0:1], s[0:1], s[2:3]
	global_store_b64 v2, v[0:1], s[0:1] scale_offset
.LBB119_12:
	s_endpgm
	.section	.rodata,"a",@progbits
	.p2align	6, 0x0
	.amdhsa_kernel _ZN9rocsolver6v33100L8set_zeroI19rocblas_complex_numIfEPS3_EEviiT0_iil13rocblas_fill_
		.amdhsa_group_segment_fixed_size 0
		.amdhsa_private_segment_fixed_size 0
		.amdhsa_kernarg_size 296
		.amdhsa_user_sgpr_count 2
		.amdhsa_user_sgpr_dispatch_ptr 0
		.amdhsa_user_sgpr_queue_ptr 0
		.amdhsa_user_sgpr_kernarg_segment_ptr 1
		.amdhsa_user_sgpr_dispatch_id 0
		.amdhsa_user_sgpr_kernarg_preload_length 0
		.amdhsa_user_sgpr_kernarg_preload_offset 0
		.amdhsa_user_sgpr_private_segment_size 0
		.amdhsa_wavefront_size32 1
		.amdhsa_uses_dynamic_stack 0
		.amdhsa_enable_private_segment 0
		.amdhsa_system_sgpr_workgroup_id_x 1
		.amdhsa_system_sgpr_workgroup_id_y 1
		.amdhsa_system_sgpr_workgroup_id_z 1
		.amdhsa_system_sgpr_workgroup_info 0
		.amdhsa_system_vgpr_workitem_id 1
		.amdhsa_next_free_vgpr 3
		.amdhsa_next_free_sgpr 12
		.amdhsa_named_barrier_count 0
		.amdhsa_reserve_vcc 1
		.amdhsa_float_round_mode_32 0
		.amdhsa_float_round_mode_16_64 0
		.amdhsa_float_denorm_mode_32 3
		.amdhsa_float_denorm_mode_16_64 3
		.amdhsa_fp16_overflow 0
		.amdhsa_memory_ordered 1
		.amdhsa_forward_progress 1
		.amdhsa_inst_pref_size 4
		.amdhsa_round_robin_scheduling 0
		.amdhsa_exception_fp_ieee_invalid_op 0
		.amdhsa_exception_fp_denorm_src 0
		.amdhsa_exception_fp_ieee_div_zero 0
		.amdhsa_exception_fp_ieee_overflow 0
		.amdhsa_exception_fp_ieee_underflow 0
		.amdhsa_exception_fp_ieee_inexact 0
		.amdhsa_exception_int_div_zero 0
	.end_amdhsa_kernel
	.section	.text._ZN9rocsolver6v33100L8set_zeroI19rocblas_complex_numIfEPS3_EEviiT0_iil13rocblas_fill_,"axG",@progbits,_ZN9rocsolver6v33100L8set_zeroI19rocblas_complex_numIfEPS3_EEviiT0_iil13rocblas_fill_,comdat
.Lfunc_end119:
	.size	_ZN9rocsolver6v33100L8set_zeroI19rocblas_complex_numIfEPS3_EEviiT0_iil13rocblas_fill_, .Lfunc_end119-_ZN9rocsolver6v33100L8set_zeroI19rocblas_complex_numIfEPS3_EEviiT0_iil13rocblas_fill_
                                        ; -- End function
	.set _ZN9rocsolver6v33100L8set_zeroI19rocblas_complex_numIfEPS3_EEviiT0_iil13rocblas_fill_.num_vgpr, 3
	.set _ZN9rocsolver6v33100L8set_zeroI19rocblas_complex_numIfEPS3_EEviiT0_iil13rocblas_fill_.num_agpr, 0
	.set _ZN9rocsolver6v33100L8set_zeroI19rocblas_complex_numIfEPS3_EEviiT0_iil13rocblas_fill_.numbered_sgpr, 12
	.set _ZN9rocsolver6v33100L8set_zeroI19rocblas_complex_numIfEPS3_EEviiT0_iil13rocblas_fill_.num_named_barrier, 0
	.set _ZN9rocsolver6v33100L8set_zeroI19rocblas_complex_numIfEPS3_EEviiT0_iil13rocblas_fill_.private_seg_size, 0
	.set _ZN9rocsolver6v33100L8set_zeroI19rocblas_complex_numIfEPS3_EEviiT0_iil13rocblas_fill_.uses_vcc, 1
	.set _ZN9rocsolver6v33100L8set_zeroI19rocblas_complex_numIfEPS3_EEviiT0_iil13rocblas_fill_.uses_flat_scratch, 0
	.set _ZN9rocsolver6v33100L8set_zeroI19rocblas_complex_numIfEPS3_EEviiT0_iil13rocblas_fill_.has_dyn_sized_stack, 0
	.set _ZN9rocsolver6v33100L8set_zeroI19rocblas_complex_numIfEPS3_EEviiT0_iil13rocblas_fill_.has_recursion, 0
	.set _ZN9rocsolver6v33100L8set_zeroI19rocblas_complex_numIfEPS3_EEviiT0_iil13rocblas_fill_.has_indirect_call, 0
	.section	.AMDGPU.csdata,"",@progbits
; Kernel info:
; codeLenInByte = 448
; TotalNumSgprs: 14
; NumVgprs: 3
; ScratchSize: 0
; MemoryBound: 0
; FloatMode: 240
; IeeeMode: 1
; LDSByteSize: 0 bytes/workgroup (compile time only)
; SGPRBlocks: 0
; VGPRBlocks: 0
; NumSGPRsForWavesPerEU: 14
; NumVGPRsForWavesPerEU: 3
; NamedBarCnt: 0
; Occupancy: 16
; WaveLimiterHint : 0
; COMPUTE_PGM_RSRC2:SCRATCH_EN: 0
; COMPUTE_PGM_RSRC2:USER_SGPR: 2
; COMPUTE_PGM_RSRC2:TRAP_HANDLER: 0
; COMPUTE_PGM_RSRC2:TGID_X_EN: 1
; COMPUTE_PGM_RSRC2:TGID_Y_EN: 1
; COMPUTE_PGM_RSRC2:TGID_Z_EN: 1
; COMPUTE_PGM_RSRC2:TIDIG_COMP_CNT: 1
	.section	.text._ZN9rocsolver6v33100L14copy_trans_matI19rocblas_complex_numIfES3_PS3_S4_NS0_7no_maskEEEv18rocblas_operation_iiT1_iilT2_iilT3_13rocblas_fill_17rocblas_diagonal_,"axG",@progbits,_ZN9rocsolver6v33100L14copy_trans_matI19rocblas_complex_numIfES3_PS3_S4_NS0_7no_maskEEEv18rocblas_operation_iiT1_iilT2_iilT3_13rocblas_fill_17rocblas_diagonal_,comdat
	.globl	_ZN9rocsolver6v33100L14copy_trans_matI19rocblas_complex_numIfES3_PS3_S4_NS0_7no_maskEEEv18rocblas_operation_iiT1_iilT2_iilT3_13rocblas_fill_17rocblas_diagonal_ ; -- Begin function _ZN9rocsolver6v33100L14copy_trans_matI19rocblas_complex_numIfES3_PS3_S4_NS0_7no_maskEEEv18rocblas_operation_iiT1_iilT2_iilT3_13rocblas_fill_17rocblas_diagonal_
	.p2align	8
	.type	_ZN9rocsolver6v33100L14copy_trans_matI19rocblas_complex_numIfES3_PS3_S4_NS0_7no_maskEEEv18rocblas_operation_iiT1_iilT2_iilT3_13rocblas_fill_17rocblas_diagonal_,@function
_ZN9rocsolver6v33100L14copy_trans_matI19rocblas_complex_numIfES3_PS3_S4_NS0_7no_maskEEEv18rocblas_operation_iiT1_iilT2_iilT3_13rocblas_fill_17rocblas_diagonal_: ; @_ZN9rocsolver6v33100L14copy_trans_matI19rocblas_complex_numIfES3_PS3_S4_NS0_7no_maskEEEv18rocblas_operation_iiT1_iilT2_iilT3_13rocblas_fill_17rocblas_diagonal_
; %bb.0:
	s_clause 0x1
	s_load_b32 s2, s[0:1], 0x5c
	s_load_b96 s[16:18], s[0:1], 0x0
	s_bfe_u32 s5, ttmp6, 0x4000c
	s_bfe_u32 s7, ttmp6, 0x40010
	s_and_b32 s6, ttmp7, 0xffff
	s_add_co_i32 s5, s5, 1
	s_add_co_i32 s7, s7, 1
	s_and_b32 s4, ttmp6, 15
	s_bfe_u32 s8, ttmp6, 0x40004
	s_mul_i32 s5, ttmp9, s5
	s_mul_i32 s7, s6, s7
	s_getreg_b32 s3, hwreg(HW_REG_IB_STS2, 6, 4)
	v_bfe_u32 v1, v0, 10, 10
	v_and_b32_e32 v0, 0x3ff, v0
	s_add_co_i32 s4, s4, s5
	s_add_co_i32 s8, s8, s7
	s_wait_kmcnt 0x0
	s_lshr_b32 s5, s2, 16
	s_and_b32 s2, s2, 0xffff
	s_cmp_eq_u32 s3, 0
	s_cselect_b32 s4, ttmp9, s4
	s_cselect_b32 s6, s6, s8
	v_mad_u32 v2, s4, s2, v0
	v_mad_u32 v3, s6, s5, v1
	s_delay_alu instid0(VALU_DEP_2) | instskip(NEXT) | instid1(VALU_DEP_2)
	v_cmp_gt_u32_e32 vcc_lo, s17, v2
	v_cmp_gt_u32_e64 s2, s18, v3
	s_and_b32 s2, s2, vcc_lo
	s_delay_alu instid0(SALU_CYCLE_1)
	s_and_saveexec_b32 s4, s2
	s_cbranch_execz .LBB120_18
; %bb.1:
	s_load_b64 s[4:5], s[0:1], 0x44
	s_wait_kmcnt 0x0
	s_cmp_lt_i32 s4, 0x7a
	s_cbranch_scc1 .LBB120_4
; %bb.2:
	s_cmp_gt_i32 s4, 0x7a
	s_cbranch_scc0 .LBB120_5
; %bb.3:
	s_cmp_lg_u32 s4, 0x7b
	s_mov_b32 s6, -1
	s_cselect_b32 s7, -1, 0
	s_cbranch_execz .LBB120_6
	s_branch .LBB120_7
.LBB120_4:
	s_mov_b32 s7, 0
	s_mov_b32 s6, 0
	s_cbranch_execnz .LBB120_8
	s_branch .LBB120_10
.LBB120_5:
	s_mov_b32 s6, 0
	s_mov_b32 s7, 0
.LBB120_6:
	v_cmp_gt_u32_e32 vcc_lo, v2, v3
	v_cmp_le_u32_e64 s2, v2, v3
	s_and_not1_b32 s6, s6, exec_lo
	s_and_not1_b32 s7, s7, exec_lo
	s_and_b32 s8, vcc_lo, exec_lo
	s_and_b32 s2, s2, exec_lo
	s_or_b32 s6, s6, s8
	s_or_b32 s7, s7, s2
.LBB120_7:
	s_branch .LBB120_10
.LBB120_8:
	s_cmp_eq_u32 s4, 0x79
	s_mov_b32 s7, -1
	s_cbranch_scc0 .LBB120_10
; %bb.9:
	v_cmp_gt_u32_e32 vcc_lo, v3, v2
	v_cmp_le_u32_e64 s2, v3, v2
	s_and_not1_b32 s4, s6, exec_lo
	s_and_b32 s6, vcc_lo, exec_lo
	s_or_not1_b32 s7, s2, exec_lo
	s_or_b32 s6, s4, s6
.LBB120_10:
	s_and_saveexec_b32 s2, s7
; %bb.11:
	v_cmp_eq_u32_e32 vcc_lo, v2, v3
	s_cmp_eq_u32 s5, 0x83
	s_cselect_b32 s4, -1, 0
	s_and_not1_b32 s5, s6, exec_lo
	s_and_b32 s4, s4, vcc_lo
	s_delay_alu instid0(SALU_CYCLE_1) | instskip(NEXT) | instid1(SALU_CYCLE_1)
	s_and_b32 s4, s4, exec_lo
	s_or_b32 s6, s5, s4
; %bb.12:
	s_or_b32 exec_lo, exec_lo, s2
	s_delay_alu instid0(SALU_CYCLE_1)
	s_and_b32 exec_lo, exec_lo, s6
	s_cbranch_execz .LBB120_18
; %bb.13:
	s_clause 0x1
	s_load_b256 s[4:11], s[0:1], 0x10
	s_load_b128 s[12:15], s[0:1], 0x30
	s_wait_xcnt 0x0
	s_bfe_u32 s0, ttmp6, 0x40014
	s_lshr_b32 s17, ttmp7, 16
	s_add_co_i32 s0, s0, 1
	s_bfe_u32 s2, ttmp6, 0x40008
	s_mul_i32 s0, s17, s0
	s_mov_b32 s1, 0
	s_add_co_i32 s0, s2, s0
	v_mov_b32_e32 v1, 0
	s_wait_kmcnt 0x0
	s_ashr_i32 s19, s6, 31
	s_cmp_eq_u32 s3, 0
	v_mad_u32 v0, v3, s7, v2
	s_cselect_b32 s0, s17, s0
	s_mov_b32 s18, s6
	s_mul_u64 s[8:9], s[8:9], s[0:1]
	s_lshl_b64 s[6:7], s[18:19], 3
	s_lshl_b64 s[8:9], s[8:9], 3
	s_mul_u64 s[14:15], s[14:15], s[0:1]
	s_add_nc_u64 s[4:5], s[4:5], s[8:9]
	s_mov_b32 s2, s12
	s_add_nc_u64 s[4:5], s[4:5], s[6:7]
	s_ashr_i32 s3, s12, 31
	s_lshl_b64 s[14:15], s[14:15], 3
	v_lshl_add_u64 v[0:1], v[0:1], 3, s[4:5]
	s_add_nc_u64 s[8:9], s[10:11], s[14:15]
	s_lshl_b64 s[2:3], s[2:3], 3
	s_mov_b32 s4, -1
	s_add_nc_u64 s[2:3], s[8:9], s[2:3]
	s_cmp_lt_i32 s16, 0x71
	s_mov_b32 s0, 0
	s_cbranch_scc0 .LBB120_19
; %bb.14:
	s_and_b32 vcc_lo, exec_lo, s4
	s_cbranch_vccnz .LBB120_22
.LBB120_15:
	s_and_not1_b32 vcc_lo, exec_lo, s0
	s_cbranch_vccz .LBB120_23
.LBB120_16:
	s_and_not1_b32 vcc_lo, exec_lo, s1
	s_cbranch_vccnz .LBB120_18
.LBB120_17:
	global_load_b64 v[0:1], v[0:1], off
	v_mad_u32 v2, v2, s13, v3
	s_wait_loadcnt 0x0
	global_store_b64 v2, v[0:1], s[2:3] scale_offset
.LBB120_18:
	s_endpgm
.LBB120_19:
	s_cmp_eq_u32 s16, 0x71
	s_mov_b32 s0, -1
	s_cbranch_scc0 .LBB120_21
; %bb.20:
	global_load_b64 v[4:5], v[0:1], off
	v_mad_u32 v6, v2, s13, v3
	s_mov_b32 s0, 0
	s_wait_loadcnt 0x0
	v_xor_b32_e32 v5, 0x80000000, v5
	global_store_b64 v6, v[4:5], s[2:3] scale_offset
.LBB120_21:
	s_branch .LBB120_15
.LBB120_22:
	s_cmp_lg_u32 s16, 0x70
	s_mov_b32 s1, -1
	s_cselect_b32 s0, -1, 0
	s_delay_alu instid0(SALU_CYCLE_1)
	s_and_not1_b32 vcc_lo, exec_lo, s0
	s_cbranch_vccnz .LBB120_16
.LBB120_23:
	global_load_b64 v[4:5], v[0:1], off
	v_mad_u32 v6, v3, s13, v2
	s_wait_loadcnt 0x0
	global_store_b64 v6, v[4:5], s[2:3] scale_offset
	s_cbranch_execz .LBB120_17
	s_branch .LBB120_18
	.section	.rodata,"a",@progbits
	.p2align	6, 0x0
	.amdhsa_kernel _ZN9rocsolver6v33100L14copy_trans_matI19rocblas_complex_numIfES3_PS3_S4_NS0_7no_maskEEEv18rocblas_operation_iiT1_iilT2_iilT3_13rocblas_fill_17rocblas_diagonal_
		.amdhsa_group_segment_fixed_size 0
		.amdhsa_private_segment_fixed_size 0
		.amdhsa_kernarg_size 336
		.amdhsa_user_sgpr_count 2
		.amdhsa_user_sgpr_dispatch_ptr 0
		.amdhsa_user_sgpr_queue_ptr 0
		.amdhsa_user_sgpr_kernarg_segment_ptr 1
		.amdhsa_user_sgpr_dispatch_id 0
		.amdhsa_user_sgpr_kernarg_preload_length 0
		.amdhsa_user_sgpr_kernarg_preload_offset 0
		.amdhsa_user_sgpr_private_segment_size 0
		.amdhsa_wavefront_size32 1
		.amdhsa_uses_dynamic_stack 0
		.amdhsa_enable_private_segment 0
		.amdhsa_system_sgpr_workgroup_id_x 1
		.amdhsa_system_sgpr_workgroup_id_y 1
		.amdhsa_system_sgpr_workgroup_id_z 1
		.amdhsa_system_sgpr_workgroup_info 0
		.amdhsa_system_vgpr_workitem_id 1
		.amdhsa_next_free_vgpr 7
		.amdhsa_next_free_sgpr 20
		.amdhsa_named_barrier_count 0
		.amdhsa_reserve_vcc 1
		.amdhsa_float_round_mode_32 0
		.amdhsa_float_round_mode_16_64 0
		.amdhsa_float_denorm_mode_32 3
		.amdhsa_float_denorm_mode_16_64 3
		.amdhsa_fp16_overflow 0
		.amdhsa_memory_ordered 1
		.amdhsa_forward_progress 1
		.amdhsa_inst_pref_size 7
		.amdhsa_round_robin_scheduling 0
		.amdhsa_exception_fp_ieee_invalid_op 0
		.amdhsa_exception_fp_denorm_src 0
		.amdhsa_exception_fp_ieee_div_zero 0
		.amdhsa_exception_fp_ieee_overflow 0
		.amdhsa_exception_fp_ieee_underflow 0
		.amdhsa_exception_fp_ieee_inexact 0
		.amdhsa_exception_int_div_zero 0
	.end_amdhsa_kernel
	.section	.text._ZN9rocsolver6v33100L14copy_trans_matI19rocblas_complex_numIfES3_PS3_S4_NS0_7no_maskEEEv18rocblas_operation_iiT1_iilT2_iilT3_13rocblas_fill_17rocblas_diagonal_,"axG",@progbits,_ZN9rocsolver6v33100L14copy_trans_matI19rocblas_complex_numIfES3_PS3_S4_NS0_7no_maskEEEv18rocblas_operation_iiT1_iilT2_iilT3_13rocblas_fill_17rocblas_diagonal_,comdat
.Lfunc_end120:
	.size	_ZN9rocsolver6v33100L14copy_trans_matI19rocblas_complex_numIfES3_PS3_S4_NS0_7no_maskEEEv18rocblas_operation_iiT1_iilT2_iilT3_13rocblas_fill_17rocblas_diagonal_, .Lfunc_end120-_ZN9rocsolver6v33100L14copy_trans_matI19rocblas_complex_numIfES3_PS3_S4_NS0_7no_maskEEEv18rocblas_operation_iiT1_iilT2_iilT3_13rocblas_fill_17rocblas_diagonal_
                                        ; -- End function
	.set _ZN9rocsolver6v33100L14copy_trans_matI19rocblas_complex_numIfES3_PS3_S4_NS0_7no_maskEEEv18rocblas_operation_iiT1_iilT2_iilT3_13rocblas_fill_17rocblas_diagonal_.num_vgpr, 7
	.set _ZN9rocsolver6v33100L14copy_trans_matI19rocblas_complex_numIfES3_PS3_S4_NS0_7no_maskEEEv18rocblas_operation_iiT1_iilT2_iilT3_13rocblas_fill_17rocblas_diagonal_.num_agpr, 0
	.set _ZN9rocsolver6v33100L14copy_trans_matI19rocblas_complex_numIfES3_PS3_S4_NS0_7no_maskEEEv18rocblas_operation_iiT1_iilT2_iilT3_13rocblas_fill_17rocblas_diagonal_.numbered_sgpr, 20
	.set _ZN9rocsolver6v33100L14copy_trans_matI19rocblas_complex_numIfES3_PS3_S4_NS0_7no_maskEEEv18rocblas_operation_iiT1_iilT2_iilT3_13rocblas_fill_17rocblas_diagonal_.num_named_barrier, 0
	.set _ZN9rocsolver6v33100L14copy_trans_matI19rocblas_complex_numIfES3_PS3_S4_NS0_7no_maskEEEv18rocblas_operation_iiT1_iilT2_iilT3_13rocblas_fill_17rocblas_diagonal_.private_seg_size, 0
	.set _ZN9rocsolver6v33100L14copy_trans_matI19rocblas_complex_numIfES3_PS3_S4_NS0_7no_maskEEEv18rocblas_operation_iiT1_iilT2_iilT3_13rocblas_fill_17rocblas_diagonal_.uses_vcc, 1
	.set _ZN9rocsolver6v33100L14copy_trans_matI19rocblas_complex_numIfES3_PS3_S4_NS0_7no_maskEEEv18rocblas_operation_iiT1_iilT2_iilT3_13rocblas_fill_17rocblas_diagonal_.uses_flat_scratch, 0
	.set _ZN9rocsolver6v33100L14copy_trans_matI19rocblas_complex_numIfES3_PS3_S4_NS0_7no_maskEEEv18rocblas_operation_iiT1_iilT2_iilT3_13rocblas_fill_17rocblas_diagonal_.has_dyn_sized_stack, 0
	.set _ZN9rocsolver6v33100L14copy_trans_matI19rocblas_complex_numIfES3_PS3_S4_NS0_7no_maskEEEv18rocblas_operation_iiT1_iilT2_iilT3_13rocblas_fill_17rocblas_diagonal_.has_recursion, 0
	.set _ZN9rocsolver6v33100L14copy_trans_matI19rocblas_complex_numIfES3_PS3_S4_NS0_7no_maskEEEv18rocblas_operation_iiT1_iilT2_iilT3_13rocblas_fill_17rocblas_diagonal_.has_indirect_call, 0
	.section	.AMDGPU.csdata,"",@progbits
; Kernel info:
; codeLenInByte = 772
; TotalNumSgprs: 22
; NumVgprs: 7
; ScratchSize: 0
; MemoryBound: 0
; FloatMode: 240
; IeeeMode: 1
; LDSByteSize: 0 bytes/workgroup (compile time only)
; SGPRBlocks: 0
; VGPRBlocks: 0
; NumSGPRsForWavesPerEU: 22
; NumVGPRsForWavesPerEU: 7
; NamedBarCnt: 0
; Occupancy: 16
; WaveLimiterHint : 0
; COMPUTE_PGM_RSRC2:SCRATCH_EN: 0
; COMPUTE_PGM_RSRC2:USER_SGPR: 2
; COMPUTE_PGM_RSRC2:TRAP_HANDLER: 0
; COMPUTE_PGM_RSRC2:TGID_X_EN: 1
; COMPUTE_PGM_RSRC2:TGID_Y_EN: 1
; COMPUTE_PGM_RSRC2:TGID_Z_EN: 1
; COMPUTE_PGM_RSRC2:TIDIG_COMP_CNT: 1
	.section	.text._ZN9rocsolver6v33100L8set_diagI19rocblas_complex_numIfEiS3_PS3_TnNSt9enable_ifIXoont18rocblas_is_complexIT_E18rocblas_is_complexIT1_EEiE4typeELi0EEEvPS7_llT2_lT0_lSC_b,"axG",@progbits,_ZN9rocsolver6v33100L8set_diagI19rocblas_complex_numIfEiS3_PS3_TnNSt9enable_ifIXoont18rocblas_is_complexIT_E18rocblas_is_complexIT1_EEiE4typeELi0EEEvPS7_llT2_lT0_lSC_b,comdat
	.globl	_ZN9rocsolver6v33100L8set_diagI19rocblas_complex_numIfEiS3_PS3_TnNSt9enable_ifIXoont18rocblas_is_complexIT_E18rocblas_is_complexIT1_EEiE4typeELi0EEEvPS7_llT2_lT0_lSC_b ; -- Begin function _ZN9rocsolver6v33100L8set_diagI19rocblas_complex_numIfEiS3_PS3_TnNSt9enable_ifIXoont18rocblas_is_complexIT_E18rocblas_is_complexIT1_EEiE4typeELi0EEEvPS7_llT2_lT0_lSC_b
	.p2align	8
	.type	_ZN9rocsolver6v33100L8set_diagI19rocblas_complex_numIfEiS3_PS3_TnNSt9enable_ifIXoont18rocblas_is_complexIT_E18rocblas_is_complexIT1_EEiE4typeELi0EEEvPS7_llT2_lT0_lSC_b,@function
_ZN9rocsolver6v33100L8set_diagI19rocblas_complex_numIfEiS3_PS3_TnNSt9enable_ifIXoont18rocblas_is_complexIT_E18rocblas_is_complexIT1_EEiE4typeELi0EEEvPS7_llT2_lT0_lSC_b: ; @_ZN9rocsolver6v33100L8set_diagI19rocblas_complex_numIfEiS3_PS3_TnNSt9enable_ifIXoont18rocblas_is_complexIT_E18rocblas_is_complexIT1_EEiE4typeELi0EEEvPS7_llT2_lT0_lSC_b
; %bb.0:
	s_load_u16 s4, s[0:1], 0x4e
	s_bfe_u32 s2, ttmp6, 0x40010
	s_bfe_u32 s6, ttmp6, 0x40004
	s_add_co_i32 s5, s2, 1
	s_load_b64 s[2:3], s[0:1], 0x38
	s_mul_i32 s5, ttmp7, s5
	s_getreg_b32 s12, hwreg(HW_REG_IB_STS2, 6, 4)
	s_add_co_i32 s6, s6, s5
	v_bfe_u32 v0, v0, 10, 10
	s_cmp_eq_u32 s12, 0
	s_cselect_b32 s5, ttmp7, s6
	s_wait_kmcnt 0x0
	s_delay_alu instid0(VALU_DEP_1) | instskip(NEXT) | instid1(VALU_DEP_1)
	v_mad_u32 v2, s5, s4, v0
	v_cmp_gt_i32_e32 vcc_lo, s2, v2
	s_and_saveexec_b32 s2, vcc_lo
	s_cbranch_execz .LBB121_5
; %bb.1:
	s_clause 0x2
	s_load_b96 s[16:18], s[0:1], 0x20
	s_load_b64 s[14:15], s[0:1], 0x30
	s_load_b256 s[4:11], s[0:1], 0x0
	s_bitcmp1_b32 s3, 0
	s_cselect_b32 s19, -1, 0
	s_wait_xcnt 0x0
	s_bfe_u32 s0, ttmp6, 0x4000c
	s_and_b32 s1, ttmp6, 15
	s_add_co_i32 s0, s0, 1
	s_delay_alu instid0(SALU_CYCLE_1) | instskip(NEXT) | instid1(SALU_CYCLE_1)
	s_mul_i32 s0, ttmp9, s0
	s_add_co_i32 s1, s1, s0
	s_cmp_eq_u32 s12, 0
	s_cselect_b32 s0, ttmp9, s1
	s_and_b32 vcc_lo, exec_lo, s19
	s_ashr_i32 s1, s0, 31
	s_wait_kmcnt 0x0
	v_mad_u32 v0, v2, s18, v2
	s_mul_u64 s[2:3], s[14:15], s[0:1]
	s_lshl_b64 s[12:13], s[16:17], 3
	s_lshl_b64 s[2:3], s[2:3], 3
	s_mul_u64 s[0:1], s[8:9], s[0:1]
	s_add_nc_u64 s[2:3], s[10:11], s[2:3]
	s_lshl_b64 s[0:1], s[0:1], 3
	s_add_nc_u64 s[2:3], s[2:3], s[12:13]
	s_lshl_b64 s[6:7], s[6:7], 3
	s_add_nc_u64 s[0:1], s[4:5], s[0:1]
	s_delay_alu instid0(SALU_CYCLE_1) | instskip(SKIP_3) | instid1(VALU_DEP_1)
	s_add_nc_u64 s[0:1], s[0:1], s[6:7]
	global_load_b64 v[4:5], v0, s[2:3] scale_offset
	v_ashrrev_i32_e32 v1, 31, v0
	s_wait_xcnt 0x0
	v_lshl_add_u64 v[0:1], v[0:1], 3, s[2:3]
	s_wait_loadcnt 0x0
	global_store_b64 v2, v[4:5], s[0:1] scale_offset
	s_cbranch_vccnz .LBB121_3
; %bb.2:
	global_load_b64 v[2:3], v[0:1], off
	s_branch .LBB121_4
.LBB121_3:
	s_wait_xcnt 0x0
	v_dual_mov_b32 v3, 0 :: v_dual_mov_b32 v2, 1.0
.LBB121_4:
	s_wait_loadcnt 0x0
	global_store_b64 v[0:1], v[2:3], off
.LBB121_5:
	s_endpgm
	.section	.rodata,"a",@progbits
	.p2align	6, 0x0
	.amdhsa_kernel _ZN9rocsolver6v33100L8set_diagI19rocblas_complex_numIfEiS3_PS3_TnNSt9enable_ifIXoont18rocblas_is_complexIT_E18rocblas_is_complexIT1_EEiE4typeELi0EEEvPS7_llT2_lT0_lSC_b
		.amdhsa_group_segment_fixed_size 0
		.amdhsa_private_segment_fixed_size 0
		.amdhsa_kernarg_size 320
		.amdhsa_user_sgpr_count 2
		.amdhsa_user_sgpr_dispatch_ptr 0
		.amdhsa_user_sgpr_queue_ptr 0
		.amdhsa_user_sgpr_kernarg_segment_ptr 1
		.amdhsa_user_sgpr_dispatch_id 0
		.amdhsa_user_sgpr_kernarg_preload_length 0
		.amdhsa_user_sgpr_kernarg_preload_offset 0
		.amdhsa_user_sgpr_private_segment_size 0
		.amdhsa_wavefront_size32 1
		.amdhsa_uses_dynamic_stack 0
		.amdhsa_enable_private_segment 0
		.amdhsa_system_sgpr_workgroup_id_x 1
		.amdhsa_system_sgpr_workgroup_id_y 1
		.amdhsa_system_sgpr_workgroup_id_z 0
		.amdhsa_system_sgpr_workgroup_info 0
		.amdhsa_system_vgpr_workitem_id 1
		.amdhsa_next_free_vgpr 6
		.amdhsa_next_free_sgpr 20
		.amdhsa_named_barrier_count 0
		.amdhsa_reserve_vcc 1
		.amdhsa_float_round_mode_32 0
		.amdhsa_float_round_mode_16_64 0
		.amdhsa_float_denorm_mode_32 3
		.amdhsa_float_denorm_mode_16_64 3
		.amdhsa_fp16_overflow 0
		.amdhsa_memory_ordered 1
		.amdhsa_forward_progress 1
		.amdhsa_inst_pref_size 3
		.amdhsa_round_robin_scheduling 0
		.amdhsa_exception_fp_ieee_invalid_op 0
		.amdhsa_exception_fp_denorm_src 0
		.amdhsa_exception_fp_ieee_div_zero 0
		.amdhsa_exception_fp_ieee_overflow 0
		.amdhsa_exception_fp_ieee_underflow 0
		.amdhsa_exception_fp_ieee_inexact 0
		.amdhsa_exception_int_div_zero 0
	.end_amdhsa_kernel
	.section	.text._ZN9rocsolver6v33100L8set_diagI19rocblas_complex_numIfEiS3_PS3_TnNSt9enable_ifIXoont18rocblas_is_complexIT_E18rocblas_is_complexIT1_EEiE4typeELi0EEEvPS7_llT2_lT0_lSC_b,"axG",@progbits,_ZN9rocsolver6v33100L8set_diagI19rocblas_complex_numIfEiS3_PS3_TnNSt9enable_ifIXoont18rocblas_is_complexIT_E18rocblas_is_complexIT1_EEiE4typeELi0EEEvPS7_llT2_lT0_lSC_b,comdat
.Lfunc_end121:
	.size	_ZN9rocsolver6v33100L8set_diagI19rocblas_complex_numIfEiS3_PS3_TnNSt9enable_ifIXoont18rocblas_is_complexIT_E18rocblas_is_complexIT1_EEiE4typeELi0EEEvPS7_llT2_lT0_lSC_b, .Lfunc_end121-_ZN9rocsolver6v33100L8set_diagI19rocblas_complex_numIfEiS3_PS3_TnNSt9enable_ifIXoont18rocblas_is_complexIT_E18rocblas_is_complexIT1_EEiE4typeELi0EEEvPS7_llT2_lT0_lSC_b
                                        ; -- End function
	.set _ZN9rocsolver6v33100L8set_diagI19rocblas_complex_numIfEiS3_PS3_TnNSt9enable_ifIXoont18rocblas_is_complexIT_E18rocblas_is_complexIT1_EEiE4typeELi0EEEvPS7_llT2_lT0_lSC_b.num_vgpr, 6
	.set _ZN9rocsolver6v33100L8set_diagI19rocblas_complex_numIfEiS3_PS3_TnNSt9enable_ifIXoont18rocblas_is_complexIT_E18rocblas_is_complexIT1_EEiE4typeELi0EEEvPS7_llT2_lT0_lSC_b.num_agpr, 0
	.set _ZN9rocsolver6v33100L8set_diagI19rocblas_complex_numIfEiS3_PS3_TnNSt9enable_ifIXoont18rocblas_is_complexIT_E18rocblas_is_complexIT1_EEiE4typeELi0EEEvPS7_llT2_lT0_lSC_b.numbered_sgpr, 20
	.set _ZN9rocsolver6v33100L8set_diagI19rocblas_complex_numIfEiS3_PS3_TnNSt9enable_ifIXoont18rocblas_is_complexIT_E18rocblas_is_complexIT1_EEiE4typeELi0EEEvPS7_llT2_lT0_lSC_b.num_named_barrier, 0
	.set _ZN9rocsolver6v33100L8set_diagI19rocblas_complex_numIfEiS3_PS3_TnNSt9enable_ifIXoont18rocblas_is_complexIT_E18rocblas_is_complexIT1_EEiE4typeELi0EEEvPS7_llT2_lT0_lSC_b.private_seg_size, 0
	.set _ZN9rocsolver6v33100L8set_diagI19rocblas_complex_numIfEiS3_PS3_TnNSt9enable_ifIXoont18rocblas_is_complexIT_E18rocblas_is_complexIT1_EEiE4typeELi0EEEvPS7_llT2_lT0_lSC_b.uses_vcc, 1
	.set _ZN9rocsolver6v33100L8set_diagI19rocblas_complex_numIfEiS3_PS3_TnNSt9enable_ifIXoont18rocblas_is_complexIT_E18rocblas_is_complexIT1_EEiE4typeELi0EEEvPS7_llT2_lT0_lSC_b.uses_flat_scratch, 0
	.set _ZN9rocsolver6v33100L8set_diagI19rocblas_complex_numIfEiS3_PS3_TnNSt9enable_ifIXoont18rocblas_is_complexIT_E18rocblas_is_complexIT1_EEiE4typeELi0EEEvPS7_llT2_lT0_lSC_b.has_dyn_sized_stack, 0
	.set _ZN9rocsolver6v33100L8set_diagI19rocblas_complex_numIfEiS3_PS3_TnNSt9enable_ifIXoont18rocblas_is_complexIT_E18rocblas_is_complexIT1_EEiE4typeELi0EEEvPS7_llT2_lT0_lSC_b.has_recursion, 0
	.set _ZN9rocsolver6v33100L8set_diagI19rocblas_complex_numIfEiS3_PS3_TnNSt9enable_ifIXoont18rocblas_is_complexIT_E18rocblas_is_complexIT1_EEiE4typeELi0EEEvPS7_llT2_lT0_lSC_b.has_indirect_call, 0
	.section	.AMDGPU.csdata,"",@progbits
; Kernel info:
; codeLenInByte = 328
; TotalNumSgprs: 22
; NumVgprs: 6
; ScratchSize: 0
; MemoryBound: 0
; FloatMode: 240
; IeeeMode: 1
; LDSByteSize: 0 bytes/workgroup (compile time only)
; SGPRBlocks: 0
; VGPRBlocks: 0
; NumSGPRsForWavesPerEU: 22
; NumVGPRsForWavesPerEU: 6
; NamedBarCnt: 0
; Occupancy: 16
; WaveLimiterHint : 0
; COMPUTE_PGM_RSRC2:SCRATCH_EN: 0
; COMPUTE_PGM_RSRC2:USER_SGPR: 2
; COMPUTE_PGM_RSRC2:TRAP_HANDLER: 0
; COMPUTE_PGM_RSRC2:TGID_X_EN: 1
; COMPUTE_PGM_RSRC2:TGID_Y_EN: 1
; COMPUTE_PGM_RSRC2:TGID_Z_EN: 0
; COMPUTE_PGM_RSRC2:TIDIG_COMP_CNT: 1
	.section	.text._ZN9rocsolver6v33100L12restore_diagI19rocblas_complex_numIfEiS3_PS3_EEvPT1_llT2_lT0_lS8_,"axG",@progbits,_ZN9rocsolver6v33100L12restore_diagI19rocblas_complex_numIfEiS3_PS3_EEvPT1_llT2_lT0_lS8_,comdat
	.globl	_ZN9rocsolver6v33100L12restore_diagI19rocblas_complex_numIfEiS3_PS3_EEvPT1_llT2_lT0_lS8_ ; -- Begin function _ZN9rocsolver6v33100L12restore_diagI19rocblas_complex_numIfEiS3_PS3_EEvPT1_llT2_lT0_lS8_
	.p2align	8
	.type	_ZN9rocsolver6v33100L12restore_diagI19rocblas_complex_numIfEiS3_PS3_EEvPT1_llT2_lT0_lS8_,@function
_ZN9rocsolver6v33100L12restore_diagI19rocblas_complex_numIfEiS3_PS3_EEvPT1_llT2_lT0_lS8_: ; @_ZN9rocsolver6v33100L12restore_diagI19rocblas_complex_numIfEiS3_PS3_EEvPT1_llT2_lT0_lS8_
; %bb.0:
	s_clause 0x1
	s_load_u16 s3, s[0:1], 0x4e
	s_load_b32 s4, s[0:1], 0x38
	s_bfe_u32 s2, ttmp6, 0x40010
	s_bfe_u32 s5, ttmp6, 0x40004
	s_add_co_i32 s2, s2, 1
	v_bfe_u32 v0, v0, 10, 10
	s_mul_i32 s2, ttmp7, s2
	s_delay_alu instid0(SALU_CYCLE_1) | instskip(SKIP_1) | instid1(SALU_CYCLE_1)
	s_add_co_i32 s5, s5, s2
	s_getreg_b32 s2, hwreg(HW_REG_IB_STS2, 6, 4)
	s_cmp_eq_u32 s2, 0
	s_cselect_b32 s5, ttmp7, s5
	s_wait_kmcnt 0x0
	v_mad_u32 v0, s5, s3, v0
	s_mov_b32 s3, exec_lo
	s_delay_alu instid0(VALU_DEP_1)
	v_cmpx_gt_i32_e64 s4, v0
	s_cbranch_execz .LBB122_2
; %bb.1:
	s_load_b256 s[4:11], s[0:1], 0x0
	s_bfe_u32 s3, ttmp6, 0x4000c
	s_and_b32 s12, ttmp6, 15
	s_add_co_i32 s3, s3, 1
	s_delay_alu instid0(SALU_CYCLE_1) | instskip(NEXT) | instid1(SALU_CYCLE_1)
	s_mul_i32 s3, ttmp9, s3
	s_add_co_i32 s12, s12, s3
	s_cmp_eq_u32 s2, 0
	s_cselect_b32 s2, ttmp9, s12
	s_delay_alu instid0(SALU_CYCLE_1) | instskip(SKIP_4) | instid1(SALU_CYCLE_1)
	s_ashr_i32 s3, s2, 31
	s_wait_kmcnt 0x0
	s_mul_u64 s[8:9], s[8:9], s[2:3]
	s_lshl_b64 s[6:7], s[6:7], 3
	s_lshl_b64 s[8:9], s[8:9], 3
	s_add_nc_u64 s[4:5], s[4:5], s[8:9]
	s_delay_alu instid0(SALU_CYCLE_1)
	s_add_nc_u64 s[4:5], s[4:5], s[6:7]
	global_load_b64 v[2:3], v0, s[4:5] scale_offset
	s_wait_xcnt 0x0
	s_clause 0x1
	s_load_b96 s[4:6], s[0:1], 0x20
	s_load_b64 s[8:9], s[0:1], 0x30
	s_wait_kmcnt 0x0
	v_mad_u32 v0, v0, s6, v0
	s_mul_u64 s[0:1], s[8:9], s[2:3]
	s_lshl_b64 s[2:3], s[4:5], 3
	s_lshl_b64 s[0:1], s[0:1], 3
	s_delay_alu instid0(SALU_CYCLE_1) | instskip(NEXT) | instid1(SALU_CYCLE_1)
	s_add_nc_u64 s[0:1], s[10:11], s[0:1]
	s_add_nc_u64 s[0:1], s[0:1], s[2:3]
	s_wait_loadcnt 0x0
	global_store_b64 v0, v[2:3], s[0:1] scale_offset
.LBB122_2:
	s_endpgm
	.section	.rodata,"a",@progbits
	.p2align	6, 0x0
	.amdhsa_kernel _ZN9rocsolver6v33100L12restore_diagI19rocblas_complex_numIfEiS3_PS3_EEvPT1_llT2_lT0_lS8_
		.amdhsa_group_segment_fixed_size 0
		.amdhsa_private_segment_fixed_size 0
		.amdhsa_kernarg_size 320
		.amdhsa_user_sgpr_count 2
		.amdhsa_user_sgpr_dispatch_ptr 0
		.amdhsa_user_sgpr_queue_ptr 0
		.amdhsa_user_sgpr_kernarg_segment_ptr 1
		.amdhsa_user_sgpr_dispatch_id 0
		.amdhsa_user_sgpr_kernarg_preload_length 0
		.amdhsa_user_sgpr_kernarg_preload_offset 0
		.amdhsa_user_sgpr_private_segment_size 0
		.amdhsa_wavefront_size32 1
		.amdhsa_uses_dynamic_stack 0
		.amdhsa_enable_private_segment 0
		.amdhsa_system_sgpr_workgroup_id_x 1
		.amdhsa_system_sgpr_workgroup_id_y 1
		.amdhsa_system_sgpr_workgroup_id_z 0
		.amdhsa_system_sgpr_workgroup_info 0
		.amdhsa_system_vgpr_workitem_id 1
		.amdhsa_next_free_vgpr 4
		.amdhsa_next_free_sgpr 13
		.amdhsa_named_barrier_count 0
		.amdhsa_reserve_vcc 0
		.amdhsa_float_round_mode_32 0
		.amdhsa_float_round_mode_16_64 0
		.amdhsa_float_denorm_mode_32 3
		.amdhsa_float_denorm_mode_16_64 3
		.amdhsa_fp16_overflow 0
		.amdhsa_memory_ordered 1
		.amdhsa_forward_progress 1
		.amdhsa_inst_pref_size 3
		.amdhsa_round_robin_scheduling 0
		.amdhsa_exception_fp_ieee_invalid_op 0
		.amdhsa_exception_fp_denorm_src 0
		.amdhsa_exception_fp_ieee_div_zero 0
		.amdhsa_exception_fp_ieee_overflow 0
		.amdhsa_exception_fp_ieee_underflow 0
		.amdhsa_exception_fp_ieee_inexact 0
		.amdhsa_exception_int_div_zero 0
	.end_amdhsa_kernel
	.section	.text._ZN9rocsolver6v33100L12restore_diagI19rocblas_complex_numIfEiS3_PS3_EEvPT1_llT2_lT0_lS8_,"axG",@progbits,_ZN9rocsolver6v33100L12restore_diagI19rocblas_complex_numIfEiS3_PS3_EEvPT1_llT2_lT0_lS8_,comdat
.Lfunc_end122:
	.size	_ZN9rocsolver6v33100L12restore_diagI19rocblas_complex_numIfEiS3_PS3_EEvPT1_llT2_lT0_lS8_, .Lfunc_end122-_ZN9rocsolver6v33100L12restore_diagI19rocblas_complex_numIfEiS3_PS3_EEvPT1_llT2_lT0_lS8_
                                        ; -- End function
	.set _ZN9rocsolver6v33100L12restore_diagI19rocblas_complex_numIfEiS3_PS3_EEvPT1_llT2_lT0_lS8_.num_vgpr, 4
	.set _ZN9rocsolver6v33100L12restore_diagI19rocblas_complex_numIfEiS3_PS3_EEvPT1_llT2_lT0_lS8_.num_agpr, 0
	.set _ZN9rocsolver6v33100L12restore_diagI19rocblas_complex_numIfEiS3_PS3_EEvPT1_llT2_lT0_lS8_.numbered_sgpr, 13
	.set _ZN9rocsolver6v33100L12restore_diagI19rocblas_complex_numIfEiS3_PS3_EEvPT1_llT2_lT0_lS8_.num_named_barrier, 0
	.set _ZN9rocsolver6v33100L12restore_diagI19rocblas_complex_numIfEiS3_PS3_EEvPT1_llT2_lT0_lS8_.private_seg_size, 0
	.set _ZN9rocsolver6v33100L12restore_diagI19rocblas_complex_numIfEiS3_PS3_EEvPT1_llT2_lT0_lS8_.uses_vcc, 0
	.set _ZN9rocsolver6v33100L12restore_diagI19rocblas_complex_numIfEiS3_PS3_EEvPT1_llT2_lT0_lS8_.uses_flat_scratch, 0
	.set _ZN9rocsolver6v33100L12restore_diagI19rocblas_complex_numIfEiS3_PS3_EEvPT1_llT2_lT0_lS8_.has_dyn_sized_stack, 0
	.set _ZN9rocsolver6v33100L12restore_diagI19rocblas_complex_numIfEiS3_PS3_EEvPT1_llT2_lT0_lS8_.has_recursion, 0
	.set _ZN9rocsolver6v33100L12restore_diagI19rocblas_complex_numIfEiS3_PS3_EEvPT1_llT2_lT0_lS8_.has_indirect_call, 0
	.section	.AMDGPU.csdata,"",@progbits
; Kernel info:
; codeLenInByte = 276
; TotalNumSgprs: 13
; NumVgprs: 4
; ScratchSize: 0
; MemoryBound: 0
; FloatMode: 240
; IeeeMode: 1
; LDSByteSize: 0 bytes/workgroup (compile time only)
; SGPRBlocks: 0
; VGPRBlocks: 0
; NumSGPRsForWavesPerEU: 13
; NumVGPRsForWavesPerEU: 4
; NamedBarCnt: 0
; Occupancy: 16
; WaveLimiterHint : 0
; COMPUTE_PGM_RSRC2:SCRATCH_EN: 0
; COMPUTE_PGM_RSRC2:USER_SGPR: 2
; COMPUTE_PGM_RSRC2:TRAP_HANDLER: 0
; COMPUTE_PGM_RSRC2:TGID_X_EN: 1
; COMPUTE_PGM_RSRC2:TGID_Y_EN: 1
; COMPUTE_PGM_RSRC2:TGID_Z_EN: 0
; COMPUTE_PGM_RSRC2:TIDIG_COMP_CNT: 1
	.section	.text._ZN9rocsolver6v33100L16orgl2_init_identI19rocblas_complex_numIfEPS3_EEviiiT0_iil,"axG",@progbits,_ZN9rocsolver6v33100L16orgl2_init_identI19rocblas_complex_numIfEPS3_EEviiiT0_iil,comdat
	.globl	_ZN9rocsolver6v33100L16orgl2_init_identI19rocblas_complex_numIfEPS3_EEviiiT0_iil ; -- Begin function _ZN9rocsolver6v33100L16orgl2_init_identI19rocblas_complex_numIfEPS3_EEviiiT0_iil
	.p2align	8
	.type	_ZN9rocsolver6v33100L16orgl2_init_identI19rocblas_complex_numIfEPS3_EEviiiT0_iil,@function
_ZN9rocsolver6v33100L16orgl2_init_identI19rocblas_complex_numIfEPS3_EEviiiT0_iil: ; @_ZN9rocsolver6v33100L16orgl2_init_identI19rocblas_complex_numIfEPS3_EEviiiT0_iil
; %bb.0:
	s_clause 0x1
	s_load_b32 s2, s[0:1], 0x34
	s_load_b96 s[8:10], s[0:1], 0x0
	s_bfe_u32 s4, ttmp6, 0x4000c
	s_bfe_u32 s6, ttmp6, 0x40010
	s_and_b32 s5, ttmp7, 0xffff
	s_add_co_i32 s4, s4, 1
	s_add_co_i32 s6, s6, 1
	s_and_b32 s3, ttmp6, 15
	s_bfe_u32 s7, ttmp6, 0x40004
	s_mul_i32 s4, ttmp9, s4
	s_mul_i32 s6, s5, s6
	s_getreg_b32 s11, hwreg(HW_REG_IB_STS2, 6, 4)
	v_bfe_u32 v2, v0, 10, 10
	v_and_b32_e32 v0, 0x3ff, v0
	s_add_co_i32 s3, s3, s4
	s_add_co_i32 s7, s7, s6
	s_wait_kmcnt 0x0
	s_lshr_b32 s4, s2, 16
	s_and_b32 s2, s2, 0xffff
	s_cmp_eq_u32 s11, 0
	s_cselect_b32 s3, ttmp9, s3
	s_cselect_b32 s5, s5, s7
	v_mad_u32 v1, s3, s2, v0
	v_mad_u32 v0, s5, s4, v2
	s_mov_b32 s3, 0
	s_delay_alu instid0(VALU_DEP_2) | instskip(NEXT) | instid1(VALU_DEP_2)
	v_cmp_gt_u32_e32 vcc_lo, s8, v1
	v_cmp_gt_u32_e64 s2, s9, v0
	s_and_b32 s2, vcc_lo, s2
	s_delay_alu instid0(SALU_CYCLE_1)
	s_and_saveexec_b32 s4, s2
	s_cbranch_execz .LBB123_11
; %bb.1:
	s_clause 0x1
	s_load_b128 s[4:7], s[0:1], 0x10
	s_load_b64 s[8:9], s[0:1], 0x20
	s_wait_xcnt 0x0
	s_bfe_u32 s0, ttmp6, 0x40014
	s_lshr_b32 s2, ttmp7, 16
	s_add_co_i32 s0, s0, 1
	s_bfe_u32 s1, ttmp6, 0x40008
	s_mul_i32 s0, s2, s0
	s_delay_alu instid0(SALU_CYCLE_1)
	s_add_co_i32 s0, s1, s0
	s_wait_kmcnt 0x0
	s_ashr_i32 s1, s6, 31
	s_cmp_eq_u32 s11, 0
	s_cselect_b32 s2, s2, s0
	s_mov_b32 s0, s6
	s_mul_u64 s[2:3], s[8:9], s[2:3]
	s_lshl_b64 s[0:1], s[0:1], 3
	s_lshl_b64 s[2:3], s[2:3], 3
	s_delay_alu instid0(SALU_CYCLE_1) | instskip(NEXT) | instid1(SALU_CYCLE_1)
	s_add_nc_u64 s[2:3], s[4:5], s[2:3]
	s_add_nc_u64 s[0:1], s[2:3], s[0:1]
	s_mov_b32 s2, exec_lo
	v_cmpx_ne_u32_e64 v1, v0
	s_xor_b32 s2, exec_lo, s2
	s_cbranch_execz .LBB123_9
; %bb.2:
	s_mov_b32 s3, exec_lo
	v_cmpx_ge_u32_e64 v0, v1
	s_xor_b32 s3, exec_lo, s3
	s_cbranch_execz .LBB123_6
; %bb.3:
	s_mov_b32 s4, exec_lo
	v_cmpx_le_u32_e64 s10, v1
	s_cbranch_execz .LBB123_5
; %bb.4:
	v_mad_u32 v2, v0, s7, v1
	v_mov_b64_e32 v[0:1], 0
	global_store_b64 v2, v[0:1], s[0:1] scale_offset
.LBB123_5:
	s_wait_xcnt 0x0
	s_or_b32 exec_lo, exec_lo, s4
                                        ; implicit-def: $vgpr0
                                        ; implicit-def: $vgpr1
.LBB123_6:
	s_and_not1_saveexec_b32 s3, s3
	s_cbranch_execz .LBB123_8
; %bb.7:
	v_mad_u32 v2, v0, s7, v1
	v_mov_b64_e32 v[0:1], 0
	global_store_b64 v2, v[0:1], s[0:1] scale_offset
.LBB123_8:
	s_wait_xcnt 0x0
	s_or_b32 exec_lo, exec_lo, s3
                                        ; implicit-def: $vgpr0
.LBB123_9:
	s_and_not1_saveexec_b32 s2, s2
	s_cbranch_execz .LBB123_11
; %bb.10:
	v_mad_u32 v2, v0, s7, v0
	v_mov_b64_e32 v[0:1], 0x3f800000
	global_store_b64 v2, v[0:1], s[0:1] scale_offset
.LBB123_11:
	s_endpgm
	.section	.rodata,"a",@progbits
	.p2align	6, 0x0
	.amdhsa_kernel _ZN9rocsolver6v33100L16orgl2_init_identI19rocblas_complex_numIfEPS3_EEviiiT0_iil
		.amdhsa_group_segment_fixed_size 0
		.amdhsa_private_segment_fixed_size 0
		.amdhsa_kernarg_size 296
		.amdhsa_user_sgpr_count 2
		.amdhsa_user_sgpr_dispatch_ptr 0
		.amdhsa_user_sgpr_queue_ptr 0
		.amdhsa_user_sgpr_kernarg_segment_ptr 1
		.amdhsa_user_sgpr_dispatch_id 0
		.amdhsa_user_sgpr_kernarg_preload_length 0
		.amdhsa_user_sgpr_kernarg_preload_offset 0
		.amdhsa_user_sgpr_private_segment_size 0
		.amdhsa_wavefront_size32 1
		.amdhsa_uses_dynamic_stack 0
		.amdhsa_enable_private_segment 0
		.amdhsa_system_sgpr_workgroup_id_x 1
		.amdhsa_system_sgpr_workgroup_id_y 1
		.amdhsa_system_sgpr_workgroup_id_z 1
		.amdhsa_system_sgpr_workgroup_info 0
		.amdhsa_system_vgpr_workitem_id 1
		.amdhsa_next_free_vgpr 3
		.amdhsa_next_free_sgpr 12
		.amdhsa_named_barrier_count 0
		.amdhsa_reserve_vcc 1
		.amdhsa_float_round_mode_32 0
		.amdhsa_float_round_mode_16_64 0
		.amdhsa_float_denorm_mode_32 3
		.amdhsa_float_denorm_mode_16_64 3
		.amdhsa_fp16_overflow 0
		.amdhsa_memory_ordered 1
		.amdhsa_forward_progress 1
		.amdhsa_inst_pref_size 4
		.amdhsa_round_robin_scheduling 0
		.amdhsa_exception_fp_ieee_invalid_op 0
		.amdhsa_exception_fp_denorm_src 0
		.amdhsa_exception_fp_ieee_div_zero 0
		.amdhsa_exception_fp_ieee_overflow 0
		.amdhsa_exception_fp_ieee_underflow 0
		.amdhsa_exception_fp_ieee_inexact 0
		.amdhsa_exception_int_div_zero 0
	.end_amdhsa_kernel
	.section	.text._ZN9rocsolver6v33100L16orgl2_init_identI19rocblas_complex_numIfEPS3_EEviiiT0_iil,"axG",@progbits,_ZN9rocsolver6v33100L16orgl2_init_identI19rocblas_complex_numIfEPS3_EEviiiT0_iil,comdat
.Lfunc_end123:
	.size	_ZN9rocsolver6v33100L16orgl2_init_identI19rocblas_complex_numIfEPS3_EEviiiT0_iil, .Lfunc_end123-_ZN9rocsolver6v33100L16orgl2_init_identI19rocblas_complex_numIfEPS3_EEviiiT0_iil
                                        ; -- End function
	.set _ZN9rocsolver6v33100L16orgl2_init_identI19rocblas_complex_numIfEPS3_EEviiiT0_iil.num_vgpr, 3
	.set _ZN9rocsolver6v33100L16orgl2_init_identI19rocblas_complex_numIfEPS3_EEviiiT0_iil.num_agpr, 0
	.set _ZN9rocsolver6v33100L16orgl2_init_identI19rocblas_complex_numIfEPS3_EEviiiT0_iil.numbered_sgpr, 12
	.set _ZN9rocsolver6v33100L16orgl2_init_identI19rocblas_complex_numIfEPS3_EEviiiT0_iil.num_named_barrier, 0
	.set _ZN9rocsolver6v33100L16orgl2_init_identI19rocblas_complex_numIfEPS3_EEviiiT0_iil.private_seg_size, 0
	.set _ZN9rocsolver6v33100L16orgl2_init_identI19rocblas_complex_numIfEPS3_EEviiiT0_iil.uses_vcc, 1
	.set _ZN9rocsolver6v33100L16orgl2_init_identI19rocblas_complex_numIfEPS3_EEviiiT0_iil.uses_flat_scratch, 0
	.set _ZN9rocsolver6v33100L16orgl2_init_identI19rocblas_complex_numIfEPS3_EEviiiT0_iil.has_dyn_sized_stack, 0
	.set _ZN9rocsolver6v33100L16orgl2_init_identI19rocblas_complex_numIfEPS3_EEviiiT0_iil.has_recursion, 0
	.set _ZN9rocsolver6v33100L16orgl2_init_identI19rocblas_complex_numIfEPS3_EEviiiT0_iil.has_indirect_call, 0
	.section	.AMDGPU.csdata,"",@progbits
; Kernel info:
; codeLenInByte = 452
; TotalNumSgprs: 14
; NumVgprs: 3
; ScratchSize: 0
; MemoryBound: 0
; FloatMode: 240
; IeeeMode: 1
; LDSByteSize: 0 bytes/workgroup (compile time only)
; SGPRBlocks: 0
; VGPRBlocks: 0
; NumSGPRsForWavesPerEU: 14
; NumVGPRsForWavesPerEU: 3
; NamedBarCnt: 0
; Occupancy: 16
; WaveLimiterHint : 0
; COMPUTE_PGM_RSRC2:SCRATCH_EN: 0
; COMPUTE_PGM_RSRC2:USER_SGPR: 2
; COMPUTE_PGM_RSRC2:TRAP_HANDLER: 0
; COMPUTE_PGM_RSRC2:TGID_X_EN: 1
; COMPUTE_PGM_RSRC2:TGID_Y_EN: 1
; COMPUTE_PGM_RSRC2:TGID_Z_EN: 1
; COMPUTE_PGM_RSRC2:TIDIG_COMP_CNT: 1
	.section	.text._ZN9rocsolver6v33100L6iota_nI19rocblas_complex_numIdEEEvPT_jS4_,"axG",@progbits,_ZN9rocsolver6v33100L6iota_nI19rocblas_complex_numIdEEEvPT_jS4_,comdat
	.globl	_ZN9rocsolver6v33100L6iota_nI19rocblas_complex_numIdEEEvPT_jS4_ ; -- Begin function _ZN9rocsolver6v33100L6iota_nI19rocblas_complex_numIdEEEvPT_jS4_
	.p2align	8
	.type	_ZN9rocsolver6v33100L6iota_nI19rocblas_complex_numIdEEEvPT_jS4_,@function
_ZN9rocsolver6v33100L6iota_nI19rocblas_complex_numIdEEEvPT_jS4_: ; @_ZN9rocsolver6v33100L6iota_nI19rocblas_complex_numIdEEEvPT_jS4_
; %bb.0:
	s_load_b32 s2, s[0:1], 0x8
	s_wait_kmcnt 0x0
	v_cmp_gt_u32_e32 vcc_lo, s2, v0
	s_and_saveexec_b32 s2, vcc_lo
	s_cbranch_execz .LBB124_2
; %bb.1:
	v_cvt_f64_u32_e32 v[2:3], v0
	s_load_b128 s[4:7], s[0:1], 0x10
	s_wait_kmcnt 0x0
	v_add_f64_e64 v[4:5], s[6:7], 0
	s_load_b64 s[0:1], s[0:1], 0x0
	s_delay_alu instid0(VALU_DEP_2)
	v_add_f64_e32 v[2:3], s[4:5], v[2:3]
	s_wait_kmcnt 0x0
	global_store_b128 v0, v[2:5], s[0:1] scale_offset
.LBB124_2:
	s_endpgm
	.section	.rodata,"a",@progbits
	.p2align	6, 0x0
	.amdhsa_kernel _ZN9rocsolver6v33100L6iota_nI19rocblas_complex_numIdEEEvPT_jS4_
		.amdhsa_group_segment_fixed_size 0
		.amdhsa_private_segment_fixed_size 0
		.amdhsa_kernarg_size 32
		.amdhsa_user_sgpr_count 2
		.amdhsa_user_sgpr_dispatch_ptr 0
		.amdhsa_user_sgpr_queue_ptr 0
		.amdhsa_user_sgpr_kernarg_segment_ptr 1
		.amdhsa_user_sgpr_dispatch_id 0
		.amdhsa_user_sgpr_kernarg_preload_length 0
		.amdhsa_user_sgpr_kernarg_preload_offset 0
		.amdhsa_user_sgpr_private_segment_size 0
		.amdhsa_wavefront_size32 1
		.amdhsa_uses_dynamic_stack 0
		.amdhsa_enable_private_segment 0
		.amdhsa_system_sgpr_workgroup_id_x 1
		.amdhsa_system_sgpr_workgroup_id_y 0
		.amdhsa_system_sgpr_workgroup_id_z 0
		.amdhsa_system_sgpr_workgroup_info 0
		.amdhsa_system_vgpr_workitem_id 0
		.amdhsa_next_free_vgpr 6
		.amdhsa_next_free_sgpr 8
		.amdhsa_named_barrier_count 0
		.amdhsa_reserve_vcc 1
		.amdhsa_float_round_mode_32 0
		.amdhsa_float_round_mode_16_64 0
		.amdhsa_float_denorm_mode_32 3
		.amdhsa_float_denorm_mode_16_64 3
		.amdhsa_fp16_overflow 0
		.amdhsa_memory_ordered 1
		.amdhsa_forward_progress 1
		.amdhsa_inst_pref_size 1
		.amdhsa_round_robin_scheduling 0
		.amdhsa_exception_fp_ieee_invalid_op 0
		.amdhsa_exception_fp_denorm_src 0
		.amdhsa_exception_fp_ieee_div_zero 0
		.amdhsa_exception_fp_ieee_overflow 0
		.amdhsa_exception_fp_ieee_underflow 0
		.amdhsa_exception_fp_ieee_inexact 0
		.amdhsa_exception_int_div_zero 0
	.end_amdhsa_kernel
	.section	.text._ZN9rocsolver6v33100L6iota_nI19rocblas_complex_numIdEEEvPT_jS4_,"axG",@progbits,_ZN9rocsolver6v33100L6iota_nI19rocblas_complex_numIdEEEvPT_jS4_,comdat
.Lfunc_end124:
	.size	_ZN9rocsolver6v33100L6iota_nI19rocblas_complex_numIdEEEvPT_jS4_, .Lfunc_end124-_ZN9rocsolver6v33100L6iota_nI19rocblas_complex_numIdEEEvPT_jS4_
                                        ; -- End function
	.set _ZN9rocsolver6v33100L6iota_nI19rocblas_complex_numIdEEEvPT_jS4_.num_vgpr, 6
	.set _ZN9rocsolver6v33100L6iota_nI19rocblas_complex_numIdEEEvPT_jS4_.num_agpr, 0
	.set _ZN9rocsolver6v33100L6iota_nI19rocblas_complex_numIdEEEvPT_jS4_.numbered_sgpr, 8
	.set _ZN9rocsolver6v33100L6iota_nI19rocblas_complex_numIdEEEvPT_jS4_.num_named_barrier, 0
	.set _ZN9rocsolver6v33100L6iota_nI19rocblas_complex_numIdEEEvPT_jS4_.private_seg_size, 0
	.set _ZN9rocsolver6v33100L6iota_nI19rocblas_complex_numIdEEEvPT_jS4_.uses_vcc, 1
	.set _ZN9rocsolver6v33100L6iota_nI19rocblas_complex_numIdEEEvPT_jS4_.uses_flat_scratch, 0
	.set _ZN9rocsolver6v33100L6iota_nI19rocblas_complex_numIdEEEvPT_jS4_.has_dyn_sized_stack, 0
	.set _ZN9rocsolver6v33100L6iota_nI19rocblas_complex_numIdEEEvPT_jS4_.has_recursion, 0
	.set _ZN9rocsolver6v33100L6iota_nI19rocblas_complex_numIdEEEvPT_jS4_.has_indirect_call, 0
	.section	.AMDGPU.csdata,"",@progbits
; Kernel info:
; codeLenInByte = 84
; TotalNumSgprs: 10
; NumVgprs: 6
; ScratchSize: 0
; MemoryBound: 0
; FloatMode: 240
; IeeeMode: 1
; LDSByteSize: 0 bytes/workgroup (compile time only)
; SGPRBlocks: 0
; VGPRBlocks: 0
; NumSGPRsForWavesPerEU: 10
; NumVGPRsForWavesPerEU: 6
; NamedBarCnt: 0
; Occupancy: 16
; WaveLimiterHint : 0
; COMPUTE_PGM_RSRC2:SCRATCH_EN: 0
; COMPUTE_PGM_RSRC2:USER_SGPR: 2
; COMPUTE_PGM_RSRC2:TRAP_HANDLER: 0
; COMPUTE_PGM_RSRC2:TGID_X_EN: 1
; COMPUTE_PGM_RSRC2:TGID_Y_EN: 0
; COMPUTE_PGM_RSRC2:TGID_Z_EN: 0
; COMPUTE_PGM_RSRC2:TIDIG_COMP_CNT: 0
	.section	.text._ZN9rocsolver6v33100L16syev_scalar_caseI19rocblas_complex_numIdEdPS3_TnNSt9enable_ifIX18rocblas_is_complexIT_EEiE4typeELi0EEEv14rocblas_evect_T1_lPT0_li,"axG",@progbits,_ZN9rocsolver6v33100L16syev_scalar_caseI19rocblas_complex_numIdEdPS3_TnNSt9enable_ifIX18rocblas_is_complexIT_EEiE4typeELi0EEEv14rocblas_evect_T1_lPT0_li,comdat
	.globl	_ZN9rocsolver6v33100L16syev_scalar_caseI19rocblas_complex_numIdEdPS3_TnNSt9enable_ifIX18rocblas_is_complexIT_EEiE4typeELi0EEEv14rocblas_evect_T1_lPT0_li ; -- Begin function _ZN9rocsolver6v33100L16syev_scalar_caseI19rocblas_complex_numIdEdPS3_TnNSt9enable_ifIX18rocblas_is_complexIT_EEiE4typeELi0EEEv14rocblas_evect_T1_lPT0_li
	.p2align	8
	.type	_ZN9rocsolver6v33100L16syev_scalar_caseI19rocblas_complex_numIdEdPS3_TnNSt9enable_ifIX18rocblas_is_complexIT_EEiE4typeELi0EEEv14rocblas_evect_T1_lPT0_li,@function
_ZN9rocsolver6v33100L16syev_scalar_caseI19rocblas_complex_numIdEdPS3_TnNSt9enable_ifIX18rocblas_is_complexIT_EEiE4typeELi0EEEv14rocblas_evect_T1_lPT0_li: ; @_ZN9rocsolver6v33100L16syev_scalar_caseI19rocblas_complex_numIdEdPS3_TnNSt9enable_ifIX18rocblas_is_complexIT_EEiE4typeELi0EEEv14rocblas_evect_T1_lPT0_li
; %bb.0:
	s_clause 0x1
	s_load_b32 s2, s[0:1], 0x3c
	s_load_b32 s3, s[0:1], 0x28
	s_bfe_u32 s4, ttmp6, 0x4000c
	s_and_b32 s5, ttmp6, 15
	s_add_co_i32 s4, s4, 1
	s_getreg_b32 s6, hwreg(HW_REG_IB_STS2, 6, 4)
	s_mul_i32 s4, ttmp9, s4
	s_delay_alu instid0(SALU_CYCLE_1) | instskip(SKIP_4) | instid1(SALU_CYCLE_1)
	s_add_co_i32 s5, s5, s4
	s_wait_kmcnt 0x0
	s_and_b32 s2, s2, 0xffff
	s_cmp_eq_u32 s6, 0
	s_cselect_b32 s4, ttmp9, s5
	v_mad_u32 v0, s4, s2, v0
	s_mov_b32 s2, exec_lo
	s_delay_alu instid0(VALU_DEP_1)
	v_cmpx_gt_i32_e64 s3, v0
	s_cbranch_execz .LBB125_3
; %bb.1:
	s_load_b256 s[4:11], s[0:1], 0x8
	v_ashrrev_i32_e32 v1, 31, v0
	s_wait_xcnt 0x0
	s_load_b32 s0, s[0:1], 0x0
	s_wait_kmcnt 0x0
	s_delay_alu instid0(VALU_DEP_1) | instskip(SKIP_2) | instid1(VALU_DEP_2)
	v_mul_u64_e32 v[2:3], s[6:7], v[0:1]
	v_mul_u64_e32 v[0:1], s[10:11], v[0:1]
	s_cmp_lg_u32 s0, 0xd3
	v_lshl_add_u64 v[2:3], v[2:3], 4, s[4:5]
	s_delay_alu instid0(VALU_DEP_2)
	v_lshl_add_u64 v[0:1], v[0:1], 3, s[8:9]
	global_load_b64 v[4:5], v[2:3], off
	s_wait_loadcnt 0x0
	global_store_b64 v[0:1], v[4:5], off
	s_cbranch_scc1 .LBB125_3
; %bb.2:
	s_wait_xcnt 0x0
	v_dual_mov_b32 v4, 0 :: v_dual_mov_b32 v5, 0x3ff00000
	s_delay_alu instid0(VALU_DEP_1)
	v_dual_mov_b32 v6, v4 :: v_dual_mov_b32 v7, v4
	global_store_b128 v[2:3], v[4:7], off
.LBB125_3:
	s_endpgm
	.section	.rodata,"a",@progbits
	.p2align	6, 0x0
	.amdhsa_kernel _ZN9rocsolver6v33100L16syev_scalar_caseI19rocblas_complex_numIdEdPS3_TnNSt9enable_ifIX18rocblas_is_complexIT_EEiE4typeELi0EEEv14rocblas_evect_T1_lPT0_li
		.amdhsa_group_segment_fixed_size 0
		.amdhsa_private_segment_fixed_size 0
		.amdhsa_kernarg_size 304
		.amdhsa_user_sgpr_count 2
		.amdhsa_user_sgpr_dispatch_ptr 0
		.amdhsa_user_sgpr_queue_ptr 0
		.amdhsa_user_sgpr_kernarg_segment_ptr 1
		.amdhsa_user_sgpr_dispatch_id 0
		.amdhsa_user_sgpr_kernarg_preload_length 0
		.amdhsa_user_sgpr_kernarg_preload_offset 0
		.amdhsa_user_sgpr_private_segment_size 0
		.amdhsa_wavefront_size32 1
		.amdhsa_uses_dynamic_stack 0
		.amdhsa_enable_private_segment 0
		.amdhsa_system_sgpr_workgroup_id_x 1
		.amdhsa_system_sgpr_workgroup_id_y 0
		.amdhsa_system_sgpr_workgroup_id_z 0
		.amdhsa_system_sgpr_workgroup_info 0
		.amdhsa_system_vgpr_workitem_id 0
		.amdhsa_next_free_vgpr 8
		.amdhsa_next_free_sgpr 12
		.amdhsa_named_barrier_count 0
		.amdhsa_reserve_vcc 0
		.amdhsa_float_round_mode_32 0
		.amdhsa_float_round_mode_16_64 0
		.amdhsa_float_denorm_mode_32 3
		.amdhsa_float_denorm_mode_16_64 3
		.amdhsa_fp16_overflow 0
		.amdhsa_memory_ordered 1
		.amdhsa_forward_progress 1
		.amdhsa_inst_pref_size 2
		.amdhsa_round_robin_scheduling 0
		.amdhsa_exception_fp_ieee_invalid_op 0
		.amdhsa_exception_fp_denorm_src 0
		.amdhsa_exception_fp_ieee_div_zero 0
		.amdhsa_exception_fp_ieee_overflow 0
		.amdhsa_exception_fp_ieee_underflow 0
		.amdhsa_exception_fp_ieee_inexact 0
		.amdhsa_exception_int_div_zero 0
	.end_amdhsa_kernel
	.section	.text._ZN9rocsolver6v33100L16syev_scalar_caseI19rocblas_complex_numIdEdPS3_TnNSt9enable_ifIX18rocblas_is_complexIT_EEiE4typeELi0EEEv14rocblas_evect_T1_lPT0_li,"axG",@progbits,_ZN9rocsolver6v33100L16syev_scalar_caseI19rocblas_complex_numIdEdPS3_TnNSt9enable_ifIX18rocblas_is_complexIT_EEiE4typeELi0EEEv14rocblas_evect_T1_lPT0_li,comdat
.Lfunc_end125:
	.size	_ZN9rocsolver6v33100L16syev_scalar_caseI19rocblas_complex_numIdEdPS3_TnNSt9enable_ifIX18rocblas_is_complexIT_EEiE4typeELi0EEEv14rocblas_evect_T1_lPT0_li, .Lfunc_end125-_ZN9rocsolver6v33100L16syev_scalar_caseI19rocblas_complex_numIdEdPS3_TnNSt9enable_ifIX18rocblas_is_complexIT_EEiE4typeELi0EEEv14rocblas_evect_T1_lPT0_li
                                        ; -- End function
	.set _ZN9rocsolver6v33100L16syev_scalar_caseI19rocblas_complex_numIdEdPS3_TnNSt9enable_ifIX18rocblas_is_complexIT_EEiE4typeELi0EEEv14rocblas_evect_T1_lPT0_li.num_vgpr, 8
	.set _ZN9rocsolver6v33100L16syev_scalar_caseI19rocblas_complex_numIdEdPS3_TnNSt9enable_ifIX18rocblas_is_complexIT_EEiE4typeELi0EEEv14rocblas_evect_T1_lPT0_li.num_agpr, 0
	.set _ZN9rocsolver6v33100L16syev_scalar_caseI19rocblas_complex_numIdEdPS3_TnNSt9enable_ifIX18rocblas_is_complexIT_EEiE4typeELi0EEEv14rocblas_evect_T1_lPT0_li.numbered_sgpr, 12
	.set _ZN9rocsolver6v33100L16syev_scalar_caseI19rocblas_complex_numIdEdPS3_TnNSt9enable_ifIX18rocblas_is_complexIT_EEiE4typeELi0EEEv14rocblas_evect_T1_lPT0_li.num_named_barrier, 0
	.set _ZN9rocsolver6v33100L16syev_scalar_caseI19rocblas_complex_numIdEdPS3_TnNSt9enable_ifIX18rocblas_is_complexIT_EEiE4typeELi0EEEv14rocblas_evect_T1_lPT0_li.private_seg_size, 0
	.set _ZN9rocsolver6v33100L16syev_scalar_caseI19rocblas_complex_numIdEdPS3_TnNSt9enable_ifIX18rocblas_is_complexIT_EEiE4typeELi0EEEv14rocblas_evect_T1_lPT0_li.uses_vcc, 0
	.set _ZN9rocsolver6v33100L16syev_scalar_caseI19rocblas_complex_numIdEdPS3_TnNSt9enable_ifIX18rocblas_is_complexIT_EEiE4typeELi0EEEv14rocblas_evect_T1_lPT0_li.uses_flat_scratch, 0
	.set _ZN9rocsolver6v33100L16syev_scalar_caseI19rocblas_complex_numIdEdPS3_TnNSt9enable_ifIX18rocblas_is_complexIT_EEiE4typeELi0EEEv14rocblas_evect_T1_lPT0_li.has_dyn_sized_stack, 0
	.set _ZN9rocsolver6v33100L16syev_scalar_caseI19rocblas_complex_numIdEdPS3_TnNSt9enable_ifIX18rocblas_is_complexIT_EEiE4typeELi0EEEv14rocblas_evect_T1_lPT0_li.has_recursion, 0
	.set _ZN9rocsolver6v33100L16syev_scalar_caseI19rocblas_complex_numIdEdPS3_TnNSt9enable_ifIX18rocblas_is_complexIT_EEiE4typeELi0EEEv14rocblas_evect_T1_lPT0_li.has_indirect_call, 0
	.section	.AMDGPU.csdata,"",@progbits
; Kernel info:
; codeLenInByte = 244
; TotalNumSgprs: 12
; NumVgprs: 8
; ScratchSize: 0
; MemoryBound: 0
; FloatMode: 240
; IeeeMode: 1
; LDSByteSize: 0 bytes/workgroup (compile time only)
; SGPRBlocks: 0
; VGPRBlocks: 0
; NumSGPRsForWavesPerEU: 12
; NumVGPRsForWavesPerEU: 8
; NamedBarCnt: 0
; Occupancy: 16
; WaveLimiterHint : 0
; COMPUTE_PGM_RSRC2:SCRATCH_EN: 0
; COMPUTE_PGM_RSRC2:USER_SGPR: 2
; COMPUTE_PGM_RSRC2:TRAP_HANDLER: 0
; COMPUTE_PGM_RSRC2:TGID_X_EN: 1
; COMPUTE_PGM_RSRC2:TGID_Y_EN: 0
; COMPUTE_PGM_RSRC2:TGID_Z_EN: 0
; COMPUTE_PGM_RSRC2:TIDIG_COMP_CNT: 0
	.section	.text._ZN9rocsolver6v33100L18syevj_small_kernelI19rocblas_complex_numIdEdPS3_EEv14rocblas_esort_14rocblas_evect_13rocblas_fill_iT1_iilT0_S9_PS9_iPiSA_lSB_PT_,"axG",@progbits,_ZN9rocsolver6v33100L18syevj_small_kernelI19rocblas_complex_numIdEdPS3_EEv14rocblas_esort_14rocblas_evect_13rocblas_fill_iT1_iilT0_S9_PS9_iPiSA_lSB_PT_,comdat
	.globl	_ZN9rocsolver6v33100L18syevj_small_kernelI19rocblas_complex_numIdEdPS3_EEv14rocblas_esort_14rocblas_evect_13rocblas_fill_iT1_iilT0_S9_PS9_iPiSA_lSB_PT_ ; -- Begin function _ZN9rocsolver6v33100L18syevj_small_kernelI19rocblas_complex_numIdEdPS3_EEv14rocblas_esort_14rocblas_evect_13rocblas_fill_iT1_iilT0_S9_PS9_iPiSA_lSB_PT_
	.p2align	8
	.type	_ZN9rocsolver6v33100L18syevj_small_kernelI19rocblas_complex_numIdEdPS3_EEv14rocblas_esort_14rocblas_evect_13rocblas_fill_iT1_iilT0_S9_PS9_iPiSA_lSB_PT_,@function
_ZN9rocsolver6v33100L18syevj_small_kernelI19rocblas_complex_numIdEdPS3_EEv14rocblas_esort_14rocblas_evect_13rocblas_fill_iT1_iilT0_S9_PS9_iPiSA_lSB_PT_: ; @_ZN9rocsolver6v33100L18syevj_small_kernelI19rocblas_complex_numIdEdPS3_EEv14rocblas_esort_14rocblas_evect_13rocblas_fill_iT1_iilT0_S9_PS9_iPiSA_lSB_PT_
; %bb.0:
	s_load_b256 s[8:15], s[0:1], 0x0
	s_bfe_u32 s4, ttmp6, 0x40014
	s_lshr_b32 s2, ttmp7, 16
	s_add_co_i32 s4, s4, 1
	s_bfe_u32 s5, ttmp6, 0x40008
	s_getreg_b32 s6, hwreg(HW_REG_IB_STS2, 6, 4)
	s_load_b256 s[24:31], s[0:1], 0x20
	s_mov_b32 s41, 0
	s_clause 0x1
	s_load_b64 s[44:45], s[0:1], 0x68
	s_load_b256 s[16:23], s[0:1], 0x48
	s_wait_kmcnt 0x0
	s_lshr_b32 s3, s11, 31
	s_delay_alu instid0(SALU_CYCLE_1) | instskip(NEXT) | instid1(SALU_CYCLE_1)
	s_add_co_i32 s3, s11, s3
	s_and_b32 s3, s3, -2
	s_delay_alu instid0(SALU_CYCLE_1)
	s_sub_co_i32 s53, s11, s3
	s_mul_i32 s3, s2, s4
	s_add_co_i32 s53, s53, s11
	s_add_co_i32 s5, s5, s3
	s_lshr_b32 s4, s53, 31
	s_ashr_i32 s3, s14, 31
	s_add_co_i32 s4, s53, s4
	s_delay_alu instid0(SALU_CYCLE_1) | instskip(SKIP_3) | instid1(SALU_CYCLE_1)
	s_ashr_i32 s36, s4, 1
	s_cmp_eq_u32 s6, 0
	s_cselect_b32 s40, s2, s5
	s_min_i32 s33, s36, 0x100
	s_abs_i32 s34, s33
	s_ashr_i32 s61, s33, 31
	s_cvt_f32_u32 s2, s34
	s_sub_co_i32 s4, 0, s34
	s_delay_alu instid0(SALU_CYCLE_2) | instskip(SKIP_1) | instid1(TRANS32_DEP_1)
	v_rcp_iflag_f32_e32 v1, s2
	v_nop
	v_readfirstlane_b32 s2, v1
	s_mul_f32 s2, s2, 0x4f7ffffe
	s_delay_alu instid0(SALU_CYCLE_3) | instskip(NEXT) | instid1(SALU_CYCLE_3)
	s_cvt_u32_f32 s2, s2
	s_mul_i32 s4, s4, s2
	s_delay_alu instid0(SALU_CYCLE_1) | instskip(NEXT) | instid1(SALU_CYCLE_1)
	s_mul_hi_u32 s4, s2, s4
	s_add_co_i32 s35, s2, s4
	s_mov_b32 s2, s14
	v_mul_hi_u32 v1, v0, s35
	s_lshl_b64 s[6:7], s[2:3], 4
	s_mul_i32 s2, s11, s40
	s_lshr_b32 s14, s35, 22
	s_mul_i32 s2, s2, s11
	s_mul_u64 s[4:5], s[24:25], s[40:41]
	s_ashr_i32 s3, s2, 31
	s_mul_i32 s24, s14, s34
	s_lshl_b64 s[46:47], s[2:3], 4
	s_sub_co_i32 s2, 0x400, s24
	s_lshl_b64 s[4:5], s[4:5], 4
	v_mul_lo_u32 v2, v1, s34
	s_add_co_i32 s3, s14, 1
	s_sub_co_i32 s24, s2, s34
	s_cmp_ge_u32 s2, s34
	s_add_nc_u64 s[42:43], s[44:45], s[46:47]
	s_cselect_b32 s3, s3, s14
	s_cselect_b32 s2, s24, s2
	s_add_co_i32 s14, s3, 1
	s_cmp_ge_u32 s2, s34
	v_add_nc_u32_e32 v3, 1, v1
	s_cselect_b32 s2, s14, s3
	v_sub_nc_u32_e32 v2, v0, v2
	s_xor_b32 s14, s2, s61
	s_add_nc_u64 s[2:3], s[12:13], s[4:5]
	s_sub_co_i32 s38, s14, s61
	s_delay_alu instid0(VALU_DEP_1) | instskip(SKIP_2) | instid1(SALU_CYCLE_1)
	v_subrev_nc_u32_e32 v4, s34, v2
	v_cmp_le_u32_e32 vcc_lo, s34, v2
	s_min_i32 s14, s36, s38
	s_lshl_b32 s50, s14, 3
	s_delay_alu instid0(VALU_DEP_2) | instskip(SKIP_1) | instid1(VALU_DEP_1)
	v_dual_cndmask_b32 v1, v1, v3 :: v_dual_cndmask_b32 v2, v2, v4
	s_add_co_i32 s62, s50, 0
	v_add_nc_u32_e32 v3, 1, v1
	s_delay_alu instid0(VALU_DEP_2) | instskip(SKIP_1) | instid1(VALU_DEP_2)
	v_cmp_le_u32_e32 vcc_lo, s34, v2
	s_add_nc_u64 s[34:35], s[2:3], s[6:7]
	v_cndmask_b32_e32 v1, v1, v3, vcc_lo
	s_delay_alu instid0(VALU_DEP_1) | instskip(NEXT) | instid1(VALU_DEP_1)
	v_xor_b32_e32 v1, s61, v1
	v_subrev_nc_u32_e32 v14, s61, v1
	s_delay_alu instid0(VALU_DEP_1) | instskip(NEXT) | instid1(VALU_DEP_1)
	v_mul_lo_u32 v32, v14, s33
	v_sub_nc_u32_e32 v33, v0, v32
	s_delay_alu instid0(VALU_DEP_1)
	v_cmp_eq_u32_e64 s2, 0, v33
	s_and_saveexec_b32 s51, s2
	s_cbranch_execz .LBB126_32
; %bb.1:
	v_cmp_gt_i32_e64 s3, s11, v14
	s_cmp_eq_u32 s10, 0x79
	s_cbranch_scc1 .LBB126_13
; %bb.2:
	v_mov_b64_e32 v[16:17], 0
	v_mov_b64_e32 v[18:19], 0
	s_and_saveexec_b32 s10, s3
	s_cbranch_execz .LBB126_15
; %bb.3:
	s_cmp_lg_u32 s9, 0xd5
	v_dual_mov_b32 v2, 0 :: v_dual_ashrrev_i32 v15, 31, v14
	s_cselect_b32 s52, -1, 0
	s_ashr_i32 s37, s36, 31
	s_ashr_i32 s39, s38, 31
	s_delay_alu instid0(VALU_DEP_1)
	v_lshlrev_b64_e32 v[6:7], 4, v[14:15]
	v_min_i64 v[4:5], s[36:37], s[38:39]
	s_add_nc_u64 s[4:5], s[4:5], s[6:7]
	s_add_nc_u64 s[24:25], s[44:45], s[46:47]
	;; [unrolled: 1-line block ×3, first 2 shown]
	v_mul_lo_u32 v34, s15, v14
	v_mul_lo_u32 v20, s11, v14
	v_add_nc_u64_e32 v[8:9], s[4:5], v[6:7]
	v_add_nc_u64_e32 v[6:7], s[24:25], v[6:7]
	v_mov_b64_e32 v[16:17], 0
	v_mov_b64_e32 v[18:19], 0
	v_mov_b32_e32 v3, 0x3ff00000
	v_mov_b32_e32 v15, v14
	s_mov_b32 s6, s15
	v_add_nc_u64_e32 v[22:23], 8, v[8:9]
	v_add_nc_u64_e32 v[24:25], 8, v[6:7]
	s_mov_b32 s48, s11
	s_ashr_i32 s7, s15, 31
	s_ashr_i32 s49, s11, 31
	s_mul_i32 s37, s15, s14
	s_mul_i32 s39, s11, s14
	s_add_nc_u64 s[12:13], s[24:25], 8
	s_lshl_b64 s[24:25], s[6:7], 4
	s_lshl_b64 s[48:49], s[48:49], 4
	s_mov_b32 s4, 0
	s_mov_b32 s54, 0
	v_lshlrev_b64_e32 v[26:27], 4, v[4:5]
	s_branch .LBB126_6
.LBB126_4:                              ;   in Loop: Header=BB126_6 Depth=1
	s_or_b32 exec_lo, exec_lo, s56
.LBB126_5:                              ;   in Loop: Header=BB126_6 Depth=1
	s_delay_alu instid0(SALU_CYCLE_1) | instskip(SKIP_4) | instid1(VALU_DEP_4)
	s_or_b32 exec_lo, exec_lo, s55
	v_dual_mul_f64 v[4:5], v[8:9], v[8:9] :: v_dual_add_nc_u32 v15, s14, v15
	v_add_nc_u64_e32 v[22:23], v[22:23], v[26:27]
	v_add_nc_u64_e32 v[24:25], v[24:25], v[26:27]
	v_dual_add_nc_u32 v20, s39, v20 :: v_dual_add_nc_u32 v34, s37, v34
	v_cmp_le_i32_e32 vcc_lo, s11, v15
	s_or_b32 s54, vcc_lo, s54
	v_fmac_f64_e32 v[4:5], v[6:7], v[6:7]
	s_delay_alu instid0(VALU_DEP_1)
	v_add_f64_e32 v[18:19], v[18:19], v[4:5]
	s_and_not1_b32 exec_lo, exec_lo, s54
	s_cbranch_execz .LBB126_14
.LBB126_6:                              ; =>This Loop Header: Depth=1
                                        ;     Child Loop BB126_11 Depth 2
	v_mad_u32 v10, v15, s15, v15
	v_mad_u32 v4, v15, s11, v15
	s_and_not1_b32 vcc_lo, exec_lo, s52
	global_load_b128 v[6:9], v10, s[34:35] scale_offset
	s_wait_loadcnt 0x0
	global_store_b128 v4, v[6:9], s[42:43] scale_offset
	s_cbranch_vccnz .LBB126_8
; %bb.7:                                ;   in Loop: Header=BB126_6 Depth=1
	s_wait_xcnt 0x0
	v_dual_mov_b32 v4, v2 :: v_dual_ashrrev_i32 v11, 31, v10
	v_mov_b32_e32 v5, v2
	s_delay_alu instid0(VALU_DEP_2)
	v_lshl_add_u64 v[10:11], v[10:11], 4, s[34:35]
	global_store_b128 v[10:11], v[2:5], off
.LBB126_8:                              ;   in Loop: Header=BB126_6 Depth=1
	s_mov_b32 s55, exec_lo
	s_wait_xcnt 0x0
	v_cmpx_lt_i32_e32 0, v15
	s_cbranch_execz .LBB126_5
; %bb.9:                                ;   in Loop: Header=BB126_6 Depth=1
	v_ashrrev_i32_e32 v21, 31, v20
	v_mov_b64_e32 v[4:5], v[24:25]
	v_mov_b64_e32 v[30:31], v[22:23]
	s_mov_b32 s56, 0
	s_mov_b32 s57, 0
	v_lshl_add_u64 v[28:29], v[20:21], 4, s[12:13]
	s_branch .LBB126_11
.LBB126_10:                             ;   in Loop: Header=BB126_11 Depth=2
	s_wait_xcnt 0x1
	v_mul_f64_e32 v[12:13], v[12:13], v[12:13]
	s_add_co_i32 s57, s57, 1
	v_add_nc_u64_e32 v[30:31], s[24:25], v[30:31]
	s_wait_xcnt 0x0
	v_add_nc_u64_e32 v[28:29], 16, v[28:29]
	v_cmp_eq_u32_e32 vcc_lo, s57, v15
	v_add_nc_u64_e32 v[4:5], s[48:49], v[4:5]
	s_or_b32 s56, vcc_lo, s56
	v_fmac_f64_e32 v[12:13], v[10:11], v[10:11]
	s_delay_alu instid0(VALU_DEP_1)
	v_fmac_f64_e32 v[16:17], 2.0, v[12:13]
	s_and_not1_b32 exec_lo, exec_lo, s56
	s_cbranch_execz .LBB126_4
.LBB126_11:                             ;   Parent Loop BB126_6 Depth=1
                                        ; =>  This Inner Loop Header: Depth=2
	global_load_b128 v[10:13], v[30:31], off offset:-8
	s_and_not1_b32 vcc_lo, exec_lo, s52
	s_wait_loadcnt 0x0
	v_xor_b32_e32 v21, 0x80000000, v13
	v_mov_b64_e32 v[38:39], v[12:13]
	v_mov_b64_e32 v[36:37], v[10:11]
	s_delay_alu instid0(VALU_DEP_3)
	v_mov_b32_e32 v39, v21
	global_store_b128 v[4:5], v[10:13], off offset:-8
	global_store_b128 v[28:29], v[36:39], off offset:-8
	s_cbranch_vccnz .LBB126_10
; %bb.12:                               ;   in Loop: Header=BB126_11 Depth=2
	s_mov_b32 s6, s4
	s_mov_b32 s7, s4
	;; [unrolled: 1-line block ×3, first 2 shown]
	s_wait_xcnt 0x0
	v_mov_b64_e32 v[38:39], s[6:7]
	v_mov_b64_e32 v[36:37], s[4:5]
	v_add_nc_u32_e32 v21, s57, v34
	global_store_b128 v[30:31], v[36:39], off offset:-8
	global_store_b128 v21, v[36:39], s[34:35] scale_offset
	s_branch .LBB126_10
.LBB126_13:
                                        ; implicit-def: $vgpr16_vgpr17
                                        ; implicit-def: $vgpr18_vgpr19
	s_branch .LBB126_16
.LBB126_14:
	s_or_b32 exec_lo, exec_lo, s54
.LBB126_15:
	s_delay_alu instid0(SALU_CYCLE_1)
	s_or_b32 exec_lo, exec_lo, s10
	s_cbranch_execnz .LBB126_29
.LBB126_16:
	v_mov_b64_e32 v[16:17], 0
	v_mov_b64_e32 v[18:19], 0
	s_and_saveexec_b32 s10, s3
	s_cbranch_execz .LBB126_28
; %bb.17:
	s_cmp_lg_u32 s9, 0xd5
	v_mul_lo_u32 v15, s15, v14
	s_cselect_b32 s3, -1, 0
	s_add_co_i32 s24, s11, -1
	v_mov_b64_e32 v[16:17], 0
	v_mad_u32 v3, s15, s24, v1
	v_mad_u32 v4, s11, s24, v1
	;; [unrolled: 1-line block ×3, first 2 shown]
	v_mov_b64_e32 v[18:19], 0
	v_dual_mov_b32 v2, 0 :: v_dual_mov_b32 v26, v14
	s_add_nc_u64 s[4:5], s[44:45], s[46:47]
	s_mul_i32 s25, s15, s14
	s_add_nc_u64 s[12:13], s[4:5], 8
	s_mul_i32 s37, s11, s14
	s_mov_b32 s4, 0
	v_subrev_nc_u32_e32 v24, s61, v3
	v_subrev_nc_u32_e32 v25, s61, v4
	v_mov_b32_e32 v3, 0x3ff00000
	s_mov_b32 s39, 0
	s_branch .LBB126_20
.LBB126_18:                             ;   in Loop: Header=BB126_20 Depth=1
	s_or_b32 exec_lo, exec_lo, s49
.LBB126_19:                             ;   in Loop: Header=BB126_20 Depth=1
	s_delay_alu instid0(SALU_CYCLE_1) | instskip(SKIP_3) | instid1(VALU_DEP_3)
	s_or_b32 exec_lo, exec_lo, s48
	v_dual_mul_f64 v[4:5], v[8:9], v[8:9] :: v_dual_add_nc_u32 v26, s14, v26
	v_dual_add_nc_u32 v24, s14, v24 :: v_dual_add_nc_u32 v25, s14, v25
	v_dual_add_nc_u32 v20, s37, v20 :: v_dual_add_nc_u32 v15, s25, v15
	v_cmp_le_i32_e32 vcc_lo, s11, v26
	s_or_b32 s39, vcc_lo, s39
	s_delay_alu instid0(VALU_DEP_4) | instskip(NEXT) | instid1(VALU_DEP_1)
	v_fmac_f64_e32 v[4:5], v[6:7], v[6:7]
	v_add_f64_e32 v[18:19], v[18:19], v[4:5]
	s_and_not1_b32 exec_lo, exec_lo, s39
	s_cbranch_execz .LBB126_27
.LBB126_20:                             ; =>This Loop Header: Depth=1
                                        ;     Child Loop BB126_25 Depth 2
	v_mad_u32 v10, v26, s15, v26
	v_mad_u32 v4, v26, s11, v26
	s_and_not1_b32 vcc_lo, exec_lo, s3
	global_load_b128 v[6:9], v10, s[34:35] scale_offset
	s_wait_loadcnt 0x0
	global_store_b128 v4, v[6:9], s[42:43] scale_offset
	s_cbranch_vccnz .LBB126_22
; %bb.21:                               ;   in Loop: Header=BB126_20 Depth=1
	s_wait_xcnt 0x0
	v_dual_mov_b32 v4, v2 :: v_dual_ashrrev_i32 v11, 31, v10
	v_mov_b32_e32 v5, v2
	s_delay_alu instid0(VALU_DEP_2)
	v_lshl_add_u64 v[10:11], v[10:11], 4, s[34:35]
	global_store_b128 v[10:11], v[2:5], off
.LBB126_22:                             ;   in Loop: Header=BB126_20 Depth=1
	s_mov_b32 s48, exec_lo
	s_wait_xcnt 0x0
	v_cmpx_gt_i32_e64 s24, v26
	s_cbranch_execz .LBB126_19
; %bb.23:                               ;   in Loop: Header=BB126_20 Depth=1
	v_dual_ashrrev_i32 v21, 31, v20 :: v_dual_mov_b32 v27, v25
	v_mov_b32_e32 v22, v24
	s_mov_b32 s49, 0
	s_mov_b32 s52, s24
	s_delay_alu instid0(VALU_DEP_2)
	v_lshl_add_u64 v[4:5], v[20:21], 4, s[12:13]
	s_branch .LBB126_25
.LBB126_24:                             ;   in Loop: Header=BB126_25 Depth=2
	s_wait_xcnt 0x1
	v_mul_f64_e32 v[12:13], v[12:13], v[12:13]
	s_add_co_i32 s52, s52, -1
	s_wait_xcnt 0x0
	v_add_nc_u64_e32 v[4:5], -16, v[4:5]
	v_cmp_le_i32_e32 vcc_lo, s52, v26
	v_subrev_nc_u32_e32 v22, s15, v22
	v_subrev_nc_u32_e32 v27, s11, v27
	s_or_b32 s49, vcc_lo, s49
	v_fmac_f64_e32 v[12:13], v[10:11], v[10:11]
	s_delay_alu instid0(VALU_DEP_1)
	v_fmac_f64_e32 v[16:17], 2.0, v[12:13]
	s_and_not1_b32 exec_lo, exec_lo, s49
	s_cbranch_execz .LBB126_18
.LBB126_25:                             ;   Parent Loop BB126_20 Depth=1
                                        ; =>  This Inner Loop Header: Depth=2
	global_load_b128 v[10:13], v22, s[34:35] scale_offset
	s_and_not1_b32 vcc_lo, exec_lo, s3
	s_wait_loadcnt 0x0
	v_xor_b32_e32 v21, 0x80000000, v13
	v_mov_b64_e32 v[30:31], v[12:13]
	v_mov_b64_e32 v[28:29], v[10:11]
	s_delay_alu instid0(VALU_DEP_3)
	v_mov_b32_e32 v31, v21
	global_store_b128 v27, v[10:13], s[42:43] scale_offset
	global_store_b128 v[4:5], v[28:31], off offset:-8
	s_cbranch_vccnz .LBB126_24
; %bb.26:                               ;   in Loop: Header=BB126_25 Depth=2
	v_dual_ashrrev_i32 v23, 31, v22 :: v_dual_add_nc_u32 v21, s52, v15
	s_mov_b32 s6, s4
	s_mov_b32 s7, s4
	;; [unrolled: 1-line block ×3, first 2 shown]
	s_wait_xcnt 0x0
	v_mov_b64_e32 v[30:31], s[6:7]
	v_mov_b64_e32 v[28:29], s[4:5]
	v_lshl_add_u64 v[34:35], v[22:23], 4, s[34:35]
	s_clause 0x1
	global_store_b128 v[34:35], v[28:31], off
	global_store_b128 v21, v[28:31], s[34:35] scale_offset
	s_branch .LBB126_24
.LBB126_27:
	s_or_b32 exec_lo, exec_lo, s39
.LBB126_28:
	s_delay_alu instid0(SALU_CYCLE_1)
	s_or_b32 exec_lo, exec_lo, s10
.LBB126_29:
	v_mov_b32_e32 v2, 0
	v_lshl_add_u32 v4, v14, 3, 0
	v_cmp_gt_i32_e32 vcc_lo, s36, v14
	v_lshl_add_u32 v5, v14, 4, s62
	s_mov_b32 s3, 0
	v_mov_b32_e32 v3, v2
	ds_store_b64 v4, v[16:17]
	ds_store_2addr_b64 v5, v[18:19], v[2:3] offset1:1
	s_and_b32 exec_lo, exec_lo, vcc_lo
	s_cbranch_execz .LBB126_32
; %bb.30:
	v_dual_lshlrev_b32 v2, 2, v1 :: v_dual_lshlrev_b32 v3, 1, v1
	s_lshl_b32 s4, s61, 2
	s_lshl_b32 s5, s14, 2
	;; [unrolled: 1-line block ×3, first 2 shown]
	s_delay_alu instid0(VALU_DEP_1) | instskip(NEXT) | instid1(VALU_DEP_1)
	v_mad_u32 v2, s14, 24, v2
	v_subrev_nc_u32_e32 v4, s4, v2
	s_lshl_b32 s4, s61, 1
	s_delay_alu instid0(SALU_CYCLE_1) | instskip(SKIP_1) | instid1(VALU_DEP_2)
	v_subrev_nc_u32_e32 v2, s4, v3
	s_lshl_b32 s4, s36, 2
	v_dual_mov_b32 v4, v14 :: v_dual_add_nc_u32 v3, 0, v4
.LBB126_31:                             ; =>This Inner Loop Header: Depth=1
	s_delay_alu instid0(VALU_DEP_1)
	v_dual_add_nc_u32 v4, s14, v4 :: v_dual_add_nc_u32 v5, 1, v2
	ds_store_b32 v3, v2
	v_dual_add_nc_u32 v6, s4, v3 :: v_dual_add_nc_u32 v3, s5, v3
	v_cmp_le_i32_e32 vcc_lo, s36, v4
	v_add_nc_u32_e32 v2, s6, v2
	ds_store_b32 v6, v5
	s_or_b32 s3, vcc_lo, s3
	s_delay_alu instid0(SALU_CYCLE_1)
	s_and_not1_b32 exec_lo, exec_lo, s3
	s_cbranch_execnz .LBB126_31
.LBB126_32:
	s_or_b32 exec_lo, exec_lo, s51
	v_mov_b64_e32 v[2:3], 0
	v_mov_b64_e32 v[4:5], 0
	s_cmp_gt_i32 s14, 0
	s_mov_b32 s3, 0
	s_cselect_b32 s10, -1, 0
	s_cmp_lt_i32 s14, 1
	s_wait_storecnt_dscnt 0x0
	s_barrier_signal -1
	s_barrier_wait -1
	s_cbranch_scc1 .LBB126_39
; %bb.33:
	s_cmp_lt_u32 s14, 8
	s_cbranch_scc1 .LBB126_36
; %bb.34:
	s_and_b32 s3, s14, 0x7ffffff8
	s_mov_b32 s4, 0
	s_mov_b32 s5, 0
	;; [unrolled: 1-line block ×3, first 2 shown]
.LBB126_35:                             ; =>This Inner Loop Header: Depth=1
	s_delay_alu instid0(SALU_CYCLE_1)
	v_dual_mov_b32 v15, s5 :: v_dual_mov_b32 v20, s6
	s_add_co_i32 s4, s4, 8
	s_addk_co_i32 s6, 0x80
	s_add_co_i32 s5, s5, 64
	ds_load_2addr_b64 v[6:9], v15 offset1:1
	ds_load_2addr_b64 v[10:13], v20 offset1:2
	ds_load_2addr_b64 v[16:19], v15 offset0:2 offset1:3
	s_cmp_lg_u32 s3, s4
	s_wait_dscnt 0x2
	v_add_f64_e32 v[4:5], v[4:5], v[6:7]
	s_wait_dscnt 0x1
	v_add_f64_e32 v[2:3], v[2:3], v[10:11]
	s_delay_alu instid0(VALU_DEP_2) | instskip(NEXT) | instid1(VALU_DEP_2)
	v_add_f64_e32 v[6:7], v[4:5], v[8:9]
	v_add_f64_e32 v[8:9], v[2:3], v[12:13]
	ds_load_2addr_b64 v[2:5], v20 offset0:4 offset1:6
	s_wait_dscnt 0x1
	v_add_f64_e32 v[6:7], v[6:7], v[16:17]
	s_wait_dscnt 0x0
	v_add_f64_e32 v[2:3], v[8:9], v[2:3]
	s_delay_alu instid0(VALU_DEP_2) | instskip(NEXT) | instid1(VALU_DEP_2)
	v_add_f64_e32 v[16:17], v[6:7], v[18:19]
	v_add_f64_e32 v[18:19], v[2:3], v[4:5]
	ds_load_2addr_b64 v[2:5], v15 offset0:4 offset1:5
	ds_load_2addr_b64 v[6:9], v20 offset0:8 offset1:10
	;; [unrolled: 1-line block ×3, first 2 shown]
	s_wait_dscnt 0x2
	v_add_f64_e32 v[2:3], v[16:17], v[2:3]
	s_wait_dscnt 0x1
	v_add_f64_e32 v[6:7], v[18:19], v[6:7]
	s_delay_alu instid0(VALU_DEP_2) | instskip(NEXT) | instid1(VALU_DEP_2)
	v_add_f64_e32 v[2:3], v[2:3], v[4:5]
	v_add_f64_e32 v[8:9], v[6:7], v[8:9]
	ds_load_2addr_b64 v[4:7], v20 offset0:12 offset1:14
	s_wait_dscnt 0x1
	v_add_f64_e32 v[2:3], v[2:3], v[10:11]
	s_wait_dscnt 0x0
	v_add_f64_e32 v[8:9], v[8:9], v[4:5]
	s_delay_alu instid0(VALU_DEP_2) | instskip(NEXT) | instid1(VALU_DEP_2)
	v_add_f64_e32 v[4:5], v[2:3], v[12:13]
	v_add_f64_e32 v[2:3], v[8:9], v[6:7]
	s_cbranch_scc1 .LBB126_35
.LBB126_36:
	s_and_b32 s4, s14, 7
	s_delay_alu instid0(SALU_CYCLE_1)
	s_cmp_eq_u32 s4, 0
	s_cbranch_scc1 .LBB126_39
; %bb.37:
	s_lshl_b32 s5, s3, 4
	s_lshl_b32 s6, s3, 3
	s_add_co_i32 s5, s5, s50
	s_delay_alu instid0(SALU_CYCLE_1)
	s_add_co_i32 s3, s5, 0
	s_add_co_i32 s5, s6, 0
.LBB126_38:                             ; =>This Inner Loop Header: Depth=1
	s_delay_alu instid0(SALU_CYCLE_1)
	v_dual_mov_b32 v6, s5 :: v_dual_mov_b32 v8, s3
	s_add_co_i32 s4, s4, -1
	s_add_co_i32 s3, s3, 16
	s_add_co_i32 s5, s5, 8
	ds_load_b64 v[6:7], v6
	ds_load_b64 v[8:9], v8
	s_cmp_lg_u32 s4, 0
	s_wait_dscnt 0x1
	v_add_f64_e32 v[4:5], v[4:5], v[6:7]
	s_wait_dscnt 0x0
	v_add_f64_e32 v[2:3], v[2:3], v[8:9]
	s_cbranch_scc1 .LBB126_38
.LBB126_39:
	s_delay_alu instid0(VALU_DEP_1)
	v_add_f64_e32 v[2:3], v[2:3], v[4:5]
	s_load_b32 s48, s[0:1], 0x40
	s_mov_b32 s13, 0
	s_wait_kmcnt 0x0
	s_cmp_gt_i32 s48, 0
	s_cselect_b32 s0, -1, 0
	s_delay_alu instid0(VALU_DEP_1) | instskip(NEXT) | instid1(VALU_DEP_1)
	v_mul_f64_e32 v[2:3], s[26:27], v[2:3]
	v_mul_f64_e32 v[8:9], s[26:27], v[2:3]
	s_delay_alu instid0(VALU_DEP_1) | instskip(SKIP_1) | instid1(SALU_CYCLE_1)
	v_cmp_gt_f64_e32 vcc_lo, v[4:5], v[8:9]
	s_and_b32 s0, s0, vcc_lo
	s_and_not1_b32 vcc_lo, exec_lo, s0
	s_cbranch_vccnz .LBB126_128
; %bb.40:
	v_div_scale_f64 v[2:3], null, s[28:29], s[28:29], 0x100000
	s_mov_b64 s[0:1], 0x10000000000000
	s_lshl_b32 s3, s14, 4
	v_div_scale_f64 v[10:11], vcc_lo, s[0:1], s[28:29], s[0:1]
	s_abs_i32 s0, s14
	s_add_co_i32 s6, s36, -1
	s_cvt_f32_u32 s1, s0
	s_sub_co_i32 s5, 0, s0
	s_add_co_i32 s49, s62, s3
	s_lshl_b32 s4, s36, 2
	v_rcp_iflag_f32_e32 v12, s1
	s_add_co_i32 s50, s49, s4
	v_lshl_add_u32 v30, v14, 3, 0
	v_lshl_add_u32 v31, v14, 4, s62
	s_mov_b32 s24, 0
                                        ; implicit-def: $vgpr20_vgpr21
                                        ; implicit-def: $vgpr22_vgpr23
                                        ; implicit-def: $vgpr18_vgpr19
	v_dual_ashrrev_i32 v15, 31, v14 :: v_dual_sub_nc_u32 v1, s61, v1
	s_delay_alu instid0(TRANS32_DEP_1) | instskip(SKIP_1) | instid1(SALU_CYCLE_3)
	v_readfirstlane_b32 s1, v12
	s_mul_f32 s1, s1, 0x4f7ffffe
	s_cvt_u32_f32 s1, s1
	v_rcp_f64_e32 v[4:5], v[2:3]
	s_delay_alu instid0(SALU_CYCLE_2) | instskip(NEXT) | instid1(SALU_CYCLE_1)
	s_mul_i32 s5, s5, s1
	s_mul_hi_u32 s3, s1, s5
	s_abs_i32 s5, s6
	s_add_co_i32 s1, s1, s3
	s_xor_b32 s3, s6, s14
	s_mul_hi_u32 s1, s5, s1
	s_ashr_i32 s3, s3, 31
	s_mul_i32 s4, s1, s0
	s_delay_alu instid0(SALU_CYCLE_1)
	s_sub_co_i32 s4, s5, s4
	s_add_co_i32 s5, s1, 1
	s_sub_co_i32 s6, s4, s0
	s_cmp_ge_u32 s4, s0
	s_cselect_b32 s1, s5, s1
	s_cselect_b32 s4, s6, s4
	s_add_co_i32 s5, s1, 1
	s_cmp_ge_u32 s4, s0
	s_cselect_b32 s0, s5, s1
	s_add_co_i32 s52, s53, -1
	s_xor_b32 s0, s0, s3
	s_add_nc_u64 s[4:5], s[44:45], s[46:47]
	s_sub_co_i32 s51, s0, s3
	s_cmp_gt_i32 s53, 1
	v_cmp_gt_i32_e64 s0, s36, v33
	s_cselect_b32 s53, -1, 0
	s_cmp_gt_i32 s51, -1
	v_cmp_gt_i32_e64 s1, s11, v14
	s_cselect_b32 s54, -1, 0
	s_add_co_i32 s55, s11, 1
	s_cmp_lg_u32 s9, 0xd5
	s_mul_i32 s3, s11, s33
	s_cselect_b32 s56, -1, 0
	s_and_b32 s57, s14, 7
	s_cmp_gt_u32 s14, 7
	s_delay_alu instid0(TRANS32_DEP_1)
	v_fma_f64 v[6:7], -v[2:3], v[4:5], 1.0
	s_cselect_b32 s58, -1, 0
	s_and_b32 s59, s14, 0x7ffffff8
	s_cmp_lg_u32 s57, 0
	v_mad_u32 v33, s33, v1, v0
	s_cselect_b32 s60, -1, 0
	s_ashr_i32 s37, s36, 31
	s_ashr_i32 s39, s38, 31
	s_lshl_b32 s12, s33, 1
	s_delay_alu instid0(SALU_CYCLE_1) | instskip(NEXT) | instid1(VALU_DEP_2)
	s_ashr_i32 s13, s12, 31
	v_fmac_f64_e32 v[4:5], v[4:5], v[6:7]
	s_delay_alu instid0(VALU_DEP_1) | instskip(NEXT) | instid1(VALU_DEP_1)
	v_fma_f64 v[6:7], -v[2:3], v[4:5], 1.0
	v_fmac_f64_e32 v[4:5], v[4:5], v[6:7]
	s_delay_alu instid0(VALU_DEP_1) | instskip(NEXT) | instid1(VALU_DEP_1)
	v_mul_f64_e32 v[6:7], v[10:11], v[4:5]
	v_fma_f64 v[2:3], -v[2:3], v[6:7], v[10:11]
	s_delay_alu instid0(VALU_DEP_1) | instskip(SKIP_2) | instid1(VALU_DEP_2)
	v_div_fmas_f64 v[2:3], v[2:3], v[4:5], v[6:7]
	v_min_i64 v[4:5], s[36:37], s[38:39]
	s_lshl_b32 s37, s3, 1
	v_div_fixup_f64 v[10:11], v[2:3], s[28:29], 0x100000
	v_lshlrev_b32_e32 v2, 1, v0
	v_lshlrev_b32_e32 v3, 1, v32
	v_lshl_add_u64 v[0:1], v[14:15], 4, s[4:5]
	v_lshlrev_b64_e32 v[16:17], 4, v[4:5]
	s_ashr_i32 s5, s11, 31
	s_mov_b32 s4, s11
	v_sub_nc_u32_e32 v32, v2, v3
	v_add_nc_u64_e32 v[12:13], 8, v[0:1]
	s_lshl_b64 s[28:29], s[12:13], 4
	s_lshl_b64 s[44:45], s[4:5], 4
	s_mov_b32 s13, 0
	v_or_b32_e32 v34, 1, v32
	v_mul_lo_u32 v35, s11, v32
                                        ; implicit-def: $vgpr2_vgpr3
	s_delay_alu instid0(VALU_DEP_2)
	v_mul_lo_u32 v15, s11, v34
	s_branch .LBB126_42
.LBB126_41:                             ;   in Loop: Header=BB126_42 Depth=1
	s_delay_alu instid0(VALU_DEP_1) | instskip(SKIP_1) | instid1(SALU_CYCLE_1)
	v_cmp_gt_f64_e32 vcc_lo, v[4:5], v[8:9]
	s_add_co_i32 s13, s13, 1
	s_cmp_lt_i32 s13, s48
	s_cselect_b32 s3, -1, 0
	s_delay_alu instid0(SALU_CYCLE_1) | instskip(NEXT) | instid1(SALU_CYCLE_1)
	s_and_b32 s3, s3, vcc_lo
	s_and_b32 vcc_lo, exec_lo, s3
	s_cbranch_vccz .LBB126_128
.LBB126_42:                             ; =>This Loop Header: Depth=1
                                        ;     Child Loop BB126_45 Depth 2
                                        ;       Child Loop BB126_47 Depth 3
                                        ;         Child Loop BB126_82 Depth 4
                                        ;         Child Loop BB126_92 Depth 4
                                        ;     Child Loop BB126_114 Depth 2
                                        ;       Child Loop BB126_116 Depth 3
                                        ;     Child Loop BB126_123 Depth 2
                                        ;     Child Loop BB126_127 Depth 2
	s_and_not1_b32 vcc_lo, exec_lo, s53
	s_cbranch_vccnz .LBB126_110
; %bb.43:                               ;   in Loop: Header=BB126_42 Depth=1
	s_mov_b32 s39, 0
	s_branch .LBB126_45
.LBB126_44:                             ;   in Loop: Header=BB126_45 Depth=2
	s_add_co_i32 s39, s39, 1
	s_delay_alu instid0(SALU_CYCLE_1)
	s_cmp_eq_u32 s39, s52
	s_cbranch_scc1 .LBB126_110
.LBB126_45:                             ;   Parent Loop BB126_42 Depth=1
                                        ; =>  This Loop Header: Depth=2
                                        ;       Child Loop BB126_47 Depth 3
                                        ;         Child Loop BB126_82 Depth 4
                                        ;         Child Loop BB126_92 Depth 4
	s_and_not1_b32 vcc_lo, exec_lo, s54
	s_cbranch_vccnz .LBB126_44
; %bb.46:                               ;   in Loop: Header=BB126_45 Depth=2
	s_mov_b32 s46, 0
.LBB126_47:                             ;   Parent Loop BB126_42 Depth=1
                                        ;     Parent Loop BB126_45 Depth=2
                                        ; =>    This Loop Header: Depth=3
                                        ;         Child Loop BB126_82 Depth 4
                                        ;         Child Loop BB126_92 Depth 4
	s_delay_alu instid0(SALU_CYCLE_1) | instskip(SKIP_1) | instid1(VALU_DEP_2)
	v_mad_u32 v38, s46, s14, v14
	v_mov_b32_e32 v39, s11
	v_cmp_gt_i32_e64 s3, s36, v38
	s_and_saveexec_b32 s4, s3
; %bb.48:                               ;   in Loop: Header=BB126_47 Depth=3
	v_lshl_add_u32 v4, v38, 2, s49
	ds_load_b32 v39, v4
; %bb.49:                               ;   in Loop: Header=BB126_47 Depth=3
	s_or_b32 exec_lo, exec_lo, s4
	v_mov_b32_e32 v37, s11
	v_lshl_add_u32 v36, v38, 2, s50
	s_and_saveexec_b32 s4, s3
; %bb.50:                               ;   in Loop: Header=BB126_47 Depth=3
	ds_load_b32 v37, v36
; %bb.51:                               ;   in Loop: Header=BB126_47 Depth=3
	s_or_b32 exec_lo, exec_lo, s4
	s_wait_dscnt 0x0
	v_cmp_gt_i32_e64 s4, s11, v39
	v_cmp_gt_i32_e64 s5, s11, v37
	s_and_b32 s6, s2, s4
	s_delay_alu instid0(SALU_CYCLE_1) | instskip(NEXT) | instid1(SALU_CYCLE_1)
	s_and_b32 s25, s6, s5
	s_and_saveexec_b32 s7, s25
	s_cbranch_execz .LBB126_77
; %bb.52:                               ;   in Loop: Header=BB126_47 Depth=3
	v_mul_lo_u32 v26, v37, s11
	s_mov_b32 s6, exec_lo
                                        ; implicit-def: $vgpr24_vgpr25
	s_delay_alu instid0(VALU_DEP_1)
	v_add_nc_u32_e32 v2, v26, v39
	global_load_b128 v[4:7], v2, s[42:43] scale_offset
	s_wait_loadcnt 0x0
	v_cmp_gt_f64_e32 vcc_lo, 0, v[4:5]
	v_xor_b32_e32 v3, 0x80000000, v5
	v_mov_b32_e32 v2, v4
	v_xor_b32_e32 v20, 0x80000000, v7
	s_delay_alu instid0(VALU_DEP_3) | instskip(SKIP_1) | instid1(VALU_DEP_3)
	v_cndmask_b32_e32 v3, v5, v3, vcc_lo
	v_cmp_gt_f64_e32 vcc_lo, 0, v[6:7]
	v_dual_cndmask_b32 v21, v7, v20 :: v_dual_mov_b32 v20, v6
	s_delay_alu instid0(VALU_DEP_1)
	v_cmpx_ngt_f64_e32 v[2:3], v[20:21]
	s_xor_b32 s6, exec_lo, s6
	s_cbranch_execz .LBB126_56
; %bb.53:                               ;   in Loop: Header=BB126_47 Depth=3
	v_mov_b64_e32 v[24:25], 0
	s_mov_b32 s26, exec_lo
	v_cmpx_neq_f64_e32 0, v[6:7]
	s_cbranch_execz .LBB126_55
; %bb.54:                               ;   in Loop: Header=BB126_47 Depth=3
	v_div_scale_f64 v[22:23], null, v[20:21], v[20:21], v[2:3]
	v_div_scale_f64 v[40:41], vcc_lo, v[2:3], v[20:21], v[2:3]
	s_delay_alu instid0(VALU_DEP_2) | instskip(SKIP_1) | instid1(TRANS32_DEP_1)
	v_rcp_f64_e32 v[24:25], v[22:23]
	v_nop
	v_fma_f64 v[28:29], -v[22:23], v[24:25], 1.0
	s_delay_alu instid0(VALU_DEP_1) | instskip(NEXT) | instid1(VALU_DEP_1)
	v_fmac_f64_e32 v[24:25], v[24:25], v[28:29]
	v_fma_f64 v[28:29], -v[22:23], v[24:25], 1.0
	s_delay_alu instid0(VALU_DEP_1) | instskip(NEXT) | instid1(VALU_DEP_1)
	v_fmac_f64_e32 v[24:25], v[24:25], v[28:29]
	v_mul_f64_e32 v[28:29], v[40:41], v[24:25]
	s_delay_alu instid0(VALU_DEP_1) | instskip(NEXT) | instid1(VALU_DEP_1)
	v_fma_f64 v[22:23], -v[22:23], v[28:29], v[40:41]
	v_div_fmas_f64 v[22:23], v[22:23], v[24:25], v[28:29]
	s_delay_alu instid0(VALU_DEP_1) | instskip(NEXT) | instid1(VALU_DEP_1)
	v_div_fixup_f64 v[2:3], v[22:23], v[20:21], v[2:3]
	v_fma_f64 v[2:3], v[2:3], v[2:3], 1.0
	s_delay_alu instid0(VALU_DEP_1) | instskip(SKIP_1) | instid1(VALU_DEP_1)
	v_cmp_gt_f64_e32 vcc_lo, 0x10000000, v[2:3]
	v_cndmask_b32_e64 v22, 0, 0x100, vcc_lo
	v_ldexp_f64 v[2:3], v[2:3], v22
	s_delay_alu instid0(VALU_DEP_1) | instskip(SKIP_1) | instid1(TRANS32_DEP_1)
	v_rsq_f64_e32 v[22:23], v[2:3]
	v_nop
	v_mul_f64_e32 v[24:25], v[2:3], v[22:23]
	v_mul_f64_e32 v[22:23], 0.5, v[22:23]
	s_delay_alu instid0(VALU_DEP_1) | instskip(NEXT) | instid1(VALU_DEP_1)
	v_fma_f64 v[28:29], -v[22:23], v[24:25], 0.5
	v_fmac_f64_e32 v[24:25], v[24:25], v[28:29]
	v_fmac_f64_e32 v[22:23], v[22:23], v[28:29]
	s_delay_alu instid0(VALU_DEP_2) | instskip(NEXT) | instid1(VALU_DEP_1)
	v_fma_f64 v[28:29], -v[24:25], v[24:25], v[2:3]
	v_fmac_f64_e32 v[24:25], v[28:29], v[22:23]
	s_delay_alu instid0(VALU_DEP_1) | instskip(NEXT) | instid1(VALU_DEP_1)
	v_fma_f64 v[28:29], -v[24:25], v[24:25], v[2:3]
	v_fmac_f64_e32 v[24:25], v[28:29], v[22:23]
	v_cndmask_b32_e64 v22, 0, 0xffffff80, vcc_lo
	v_cmp_class_f64_e64 vcc_lo, v[2:3], 0x260
	s_delay_alu instid0(VALU_DEP_2) | instskip(NEXT) | instid1(VALU_DEP_1)
	v_ldexp_f64 v[22:23], v[24:25], v22
	v_dual_cndmask_b32 v3, v23, v3 :: v_dual_cndmask_b32 v2, v22, v2
	s_delay_alu instid0(VALU_DEP_1)
	v_mul_f64_e32 v[24:25], v[20:21], v[2:3]
.LBB126_55:                             ;   in Loop: Header=BB126_47 Depth=3
	s_or_b32 exec_lo, exec_lo, s26
                                        ; implicit-def: $vgpr2_vgpr3
                                        ; implicit-def: $vgpr20_vgpr21
.LBB126_56:                             ;   in Loop: Header=BB126_47 Depth=3
	s_and_not1_saveexec_b32 s6, s6
	s_cbranch_execz .LBB126_58
; %bb.57:                               ;   in Loop: Header=BB126_47 Depth=3
	v_div_scale_f64 v[22:23], null, v[2:3], v[2:3], v[20:21]
	v_div_scale_f64 v[40:41], vcc_lo, v[20:21], v[2:3], v[20:21]
	s_delay_alu instid0(VALU_DEP_2) | instskip(SKIP_1) | instid1(TRANS32_DEP_1)
	v_rcp_f64_e32 v[24:25], v[22:23]
	v_nop
	v_fma_f64 v[28:29], -v[22:23], v[24:25], 1.0
	s_delay_alu instid0(VALU_DEP_1) | instskip(NEXT) | instid1(VALU_DEP_1)
	v_fmac_f64_e32 v[24:25], v[24:25], v[28:29]
	v_fma_f64 v[28:29], -v[22:23], v[24:25], 1.0
	s_delay_alu instid0(VALU_DEP_1) | instskip(NEXT) | instid1(VALU_DEP_1)
	v_fmac_f64_e32 v[24:25], v[24:25], v[28:29]
	v_mul_f64_e32 v[28:29], v[40:41], v[24:25]
	s_delay_alu instid0(VALU_DEP_1) | instskip(NEXT) | instid1(VALU_DEP_1)
	v_fma_f64 v[22:23], -v[22:23], v[28:29], v[40:41]
	v_div_fmas_f64 v[22:23], v[22:23], v[24:25], v[28:29]
	s_delay_alu instid0(VALU_DEP_1) | instskip(NEXT) | instid1(VALU_DEP_1)
	v_div_fixup_f64 v[20:21], v[22:23], v[2:3], v[20:21]
	v_fma_f64 v[20:21], v[20:21], v[20:21], 1.0
	s_delay_alu instid0(VALU_DEP_1) | instskip(SKIP_1) | instid1(VALU_DEP_1)
	v_cmp_gt_f64_e32 vcc_lo, 0x10000000, v[20:21]
	v_cndmask_b32_e64 v22, 0, 0x100, vcc_lo
	v_ldexp_f64 v[20:21], v[20:21], v22
	s_delay_alu instid0(VALU_DEP_1) | instskip(SKIP_1) | instid1(TRANS32_DEP_1)
	v_rsq_f64_e32 v[22:23], v[20:21]
	v_nop
	v_mul_f64_e32 v[24:25], v[20:21], v[22:23]
	v_mul_f64_e32 v[22:23], 0.5, v[22:23]
	s_delay_alu instid0(VALU_DEP_1) | instskip(NEXT) | instid1(VALU_DEP_1)
	v_fma_f64 v[28:29], -v[22:23], v[24:25], 0.5
	v_fmac_f64_e32 v[24:25], v[24:25], v[28:29]
	v_fmac_f64_e32 v[22:23], v[22:23], v[28:29]
	s_delay_alu instid0(VALU_DEP_2) | instskip(NEXT) | instid1(VALU_DEP_1)
	v_fma_f64 v[28:29], -v[24:25], v[24:25], v[20:21]
	v_fmac_f64_e32 v[24:25], v[28:29], v[22:23]
	s_delay_alu instid0(VALU_DEP_1) | instskip(NEXT) | instid1(VALU_DEP_1)
	v_fma_f64 v[28:29], -v[24:25], v[24:25], v[20:21]
	v_fmac_f64_e32 v[24:25], v[28:29], v[22:23]
	v_cndmask_b32_e64 v22, 0, 0xffffff80, vcc_lo
	v_cmp_class_f64_e64 vcc_lo, v[20:21], 0x260
	s_delay_alu instid0(VALU_DEP_2) | instskip(NEXT) | instid1(VALU_DEP_1)
	v_ldexp_f64 v[22:23], v[24:25], v22
	v_dual_cndmask_b32 v21, v23, v21 :: v_dual_cndmask_b32 v20, v22, v20
	s_delay_alu instid0(VALU_DEP_1)
	v_mul_f64_e32 v[24:25], v[2:3], v[20:21]
.LBB126_58:                             ;   in Loop: Header=BB126_47 Depth=3
	s_or_b32 exec_lo, exec_lo, s6
	s_delay_alu instid0(VALU_DEP_1) | instskip(SKIP_2) | instid1(VALU_DEP_3)
	v_mul_f64_e32 v[2:3], v[24:25], v[24:25]
	v_mov_b64_e32 v[20:21], 1.0
	v_mov_b64_e32 v[22:23], 0
	v_cmp_nlt_f64_e32 vcc_lo, v[2:3], v[10:11]
	v_mov_b64_e32 v[2:3], 0
	s_and_saveexec_b32 s26, vcc_lo
	s_cbranch_execz .LBB126_76
; %bb.59:                               ;   in Loop: Header=BB126_47 Depth=3
	v_mul_lo_u32 v2, v39, s55
	s_delay_alu instid0(VALU_DEP_1) | instskip(NEXT) | instid1(VALU_DEP_1)
	v_dual_add_nc_u32 v20, v26, v37 :: v_dual_ashrrev_i32 v3, 31, v2
	v_ashrrev_i32_e32 v21, 31, v20
	s_delay_alu instid0(VALU_DEP_2) | instskip(NEXT) | instid1(VALU_DEP_2)
	v_lshl_add_u64 v[2:3], v[2:3], 4, s[42:43]
	v_lshl_add_u64 v[20:21], v[20:21], 4, s[42:43]
	s_clause 0x1
	global_load_b64 v[22:23], v[2:3], off
	global_load_b64 v[20:21], v[20:21], off
	s_wait_xcnt 0x1
	v_add_f64_e32 v[2:3], v[24:25], v[24:25]
	s_delay_alu instid0(VALU_DEP_1) | instskip(SKIP_2) | instid1(VALU_DEP_1)
	v_cmp_class_f64_e64 s27, v[2:3], 0x204
	s_wait_loadcnt 0x0
	v_add_f64_e64 v[22:23], v[20:21], -v[22:23]
	v_max_num_f64_e64 v[20:21], |v[22:23]|, |v[2:3]|
	v_cmp_ngt_f64_e64 s6, 0, v[22:23]
	v_cmp_class_f64_e64 s47, v[22:23], 0x204
	s_delay_alu instid0(VALU_DEP_3) | instskip(NEXT) | instid1(VALU_DEP_1)
	v_frexp_exp_i32_f64_e32 v26, v[20:21]
	v_sub_nc_u32_e32 v27, 0, v26
	s_delay_alu instid0(VALU_DEP_1) | instskip(SKIP_1) | instid1(VALU_DEP_2)
	v_ldexp_f64 v[20:21], |v[2:3]|, v27
	v_ldexp_f64 v[28:29], |v[22:23]|, v27
	v_mul_f64_e32 v[20:21], v[20:21], v[20:21]
	s_delay_alu instid0(VALU_DEP_1) | instskip(NEXT) | instid1(VALU_DEP_1)
	v_fmac_f64_e32 v[20:21], v[28:29], v[28:29]
	v_rsq_f64_e32 v[28:29], v[20:21]
	v_cmp_eq_f64_e32 vcc_lo, 0, v[20:21]
	s_delay_alu instid0(TRANS32_DEP_1) | instskip(SKIP_1) | instid1(VALU_DEP_1)
	v_mul_f64_e32 v[40:41], v[20:21], v[28:29]
	v_mul_f64_e32 v[28:29], 0.5, v[28:29]
	v_fma_f64 v[42:43], -v[28:29], v[40:41], 0.5
	s_delay_alu instid0(VALU_DEP_1) | instskip(SKIP_1) | instid1(VALU_DEP_2)
	v_fmac_f64_e32 v[40:41], v[40:41], v[42:43]
	v_fmac_f64_e32 v[28:29], v[28:29], v[42:43]
	v_fma_f64 v[42:43], -v[40:41], v[40:41], v[20:21]
	s_delay_alu instid0(VALU_DEP_1) | instskip(NEXT) | instid1(VALU_DEP_1)
	v_fmac_f64_e32 v[40:41], v[42:43], v[28:29]
                                        ; implicit-def: $vgpr28_vgpr29
	v_dual_cndmask_b32 v21, v41, v21 :: v_dual_cndmask_b32 v20, v40, v20
	s_and_saveexec_b32 s61, s6
	s_delay_alu instid0(SALU_CYCLE_1)
	s_xor_b32 s6, exec_lo, s61
	s_cbranch_execz .LBB126_61
; %bb.60:                               ;   in Loop: Header=BB126_47 Depth=3
	s_delay_alu instid0(VALU_DEP_1) | instskip(SKIP_2) | instid1(VALU_DEP_2)
	v_ldexp_f64 v[20:21], v[20:21], v26
	v_cmp_o_f64_e32 vcc_lo, v[22:23], v[2:3]
	s_or_b32 s61, s27, s47
                                        ; implicit-def: $vgpr26
	v_cndmask_b32_e32 v20, 0, v20, vcc_lo
	s_delay_alu instid0(VALU_DEP_3) | instskip(NEXT) | instid1(VALU_DEP_2)
	v_cndmask_b32_e32 v21, 0x7ff80000, v21, vcc_lo
	v_cndmask_b32_e64 v28, v20, 0, s61
	s_delay_alu instid0(VALU_DEP_2)
	v_cndmask_b32_e64 v29, v21, 0x7ff00000, s61
                                        ; implicit-def: $vgpr20_vgpr21
.LBB126_61:                             ;   in Loop: Header=BB126_47 Depth=3
	s_and_not1_saveexec_b32 s6, s6
	s_cbranch_execz .LBB126_63
; %bb.62:                               ;   in Loop: Header=BB126_47 Depth=3
	v_ldexp_f64 v[20:21], -v[20:21], v26
	v_cmp_o_f64_e32 vcc_lo, v[2:3], v[2:3]
	s_or_b32 s27, s27, s47
	s_delay_alu instid0(VALU_DEP_2) | instskip(NEXT) | instid1(VALU_DEP_3)
	v_cndmask_b32_e32 v20, 0, v20, vcc_lo
	v_cndmask_b32_e32 v21, 0xfff80000, v21, vcc_lo
	s_delay_alu instid0(VALU_DEP_2) | instskip(NEXT) | instid1(VALU_DEP_2)
	v_cndmask_b32_e64 v28, v20, 0, s27
	v_cndmask_b32_e64 v29, v21, 0xfff00000, s27
.LBB126_63:                             ;   in Loop: Header=BB126_47 Depth=3
	s_or_b32 exec_lo, exec_lo, s6
	v_mov_b64_e32 v[26:27], 0
	v_mov_b64_e32 v[20:21], 1.0
	s_mov_b32 s6, exec_lo
	v_cmpx_neq_f64_e32 0, v[2:3]
	s_cbranch_execz .LBB126_71
; %bb.64:                               ;   in Loop: Header=BB126_47 Depth=3
	v_add_f64_e32 v[22:23], v[22:23], v[28:29]
	v_mov_b64_e32 v[20:21], 0
	v_mov_b64_e32 v[26:27], 1.0
	s_mov_b32 s27, exec_lo
	s_delay_alu instid0(VALU_DEP_3)
	v_cmpx_neq_f64_e32 0, v[22:23]
	s_cbranch_execz .LBB126_70
; %bb.65:                               ;   in Loop: Header=BB126_47 Depth=3
	v_cmp_ngt_f64_e64 s47, |v[2:3]|, |v[22:23]|
                                        ; implicit-def: $vgpr20_vgpr21
                                        ; implicit-def: $vgpr26_vgpr27
	s_and_saveexec_b32 s61, s47
	s_delay_alu instid0(SALU_CYCLE_1)
	s_xor_b32 s47, exec_lo, s61
	s_cbranch_execz .LBB126_67
; %bb.66:                               ;   in Loop: Header=BB126_47 Depth=3
	v_div_scale_f64 v[20:21], null, v[22:23], v[22:23], -v[2:3]
	v_div_scale_f64 v[40:41], vcc_lo, -v[2:3], v[22:23], -v[2:3]
	s_delay_alu instid0(VALU_DEP_2) | instskip(SKIP_1) | instid1(TRANS32_DEP_1)
	v_rcp_f64_e32 v[26:27], v[20:21]
	v_nop
	v_fma_f64 v[28:29], -v[20:21], v[26:27], 1.0
	s_delay_alu instid0(VALU_DEP_1) | instskip(NEXT) | instid1(VALU_DEP_1)
	v_fmac_f64_e32 v[26:27], v[26:27], v[28:29]
	v_fma_f64 v[28:29], -v[20:21], v[26:27], 1.0
	s_delay_alu instid0(VALU_DEP_1) | instskip(NEXT) | instid1(VALU_DEP_1)
	v_fmac_f64_e32 v[26:27], v[26:27], v[28:29]
	v_mul_f64_e32 v[28:29], v[40:41], v[26:27]
	s_delay_alu instid0(VALU_DEP_1) | instskip(NEXT) | instid1(VALU_DEP_1)
	v_fma_f64 v[20:21], -v[20:21], v[28:29], v[40:41]
	v_div_fmas_f64 v[20:21], v[20:21], v[26:27], v[28:29]
	s_delay_alu instid0(VALU_DEP_1) | instskip(NEXT) | instid1(VALU_DEP_1)
	v_div_fixup_f64 v[2:3], v[20:21], v[22:23], -v[2:3]
	v_fma_f64 v[20:21], v[2:3], v[2:3], 1.0
	s_delay_alu instid0(VALU_DEP_1) | instskip(SKIP_1) | instid1(VALU_DEP_1)
	v_cmp_gt_f64_e32 vcc_lo, 0x10000000, v[20:21]
	v_cndmask_b32_e64 v22, 0, 0x100, vcc_lo
	v_ldexp_f64 v[20:21], v[20:21], v22
	s_delay_alu instid0(VALU_DEP_1) | instskip(SKIP_1) | instid1(TRANS32_DEP_1)
	v_rsq_f64_e32 v[22:23], v[20:21]
	v_nop
	v_mul_f64_e32 v[26:27], v[20:21], v[22:23]
	v_mul_f64_e32 v[22:23], 0.5, v[22:23]
	s_delay_alu instid0(VALU_DEP_1) | instskip(NEXT) | instid1(VALU_DEP_1)
	v_fma_f64 v[28:29], -v[22:23], v[26:27], 0.5
	v_fmac_f64_e32 v[26:27], v[26:27], v[28:29]
	v_fmac_f64_e32 v[22:23], v[22:23], v[28:29]
	s_delay_alu instid0(VALU_DEP_2) | instskip(NEXT) | instid1(VALU_DEP_1)
	v_fma_f64 v[28:29], -v[26:27], v[26:27], v[20:21]
	v_fmac_f64_e32 v[26:27], v[28:29], v[22:23]
	s_delay_alu instid0(VALU_DEP_1) | instskip(NEXT) | instid1(VALU_DEP_1)
	v_fma_f64 v[28:29], -v[26:27], v[26:27], v[20:21]
	v_fmac_f64_e32 v[26:27], v[28:29], v[22:23]
	v_cndmask_b32_e64 v22, 0, 0xffffff80, vcc_lo
	v_cmp_class_f64_e64 vcc_lo, v[20:21], 0x260
	s_delay_alu instid0(VALU_DEP_2) | instskip(NEXT) | instid1(VALU_DEP_1)
	v_ldexp_f64 v[22:23], v[26:27], v22
	v_dual_cndmask_b32 v21, v23, v21 :: v_dual_cndmask_b32 v20, v22, v20
	s_delay_alu instid0(VALU_DEP_1) | instskip(NEXT) | instid1(VALU_DEP_1)
	v_div_scale_f64 v[22:23], null, v[20:21], v[20:21], 1.0
	v_rcp_f64_e32 v[26:27], v[22:23]
	v_nop
	s_delay_alu instid0(TRANS32_DEP_1) | instskip(NEXT) | instid1(VALU_DEP_1)
	v_fma_f64 v[28:29], -v[22:23], v[26:27], 1.0
	v_fmac_f64_e32 v[26:27], v[26:27], v[28:29]
	s_delay_alu instid0(VALU_DEP_1) | instskip(NEXT) | instid1(VALU_DEP_1)
	v_fma_f64 v[28:29], -v[22:23], v[26:27], 1.0
	v_fmac_f64_e32 v[26:27], v[26:27], v[28:29]
	v_div_scale_f64 v[28:29], vcc_lo, 1.0, v[20:21], 1.0
	s_delay_alu instid0(VALU_DEP_1) | instskip(NEXT) | instid1(VALU_DEP_1)
	v_mul_f64_e32 v[40:41], v[28:29], v[26:27]
	v_fma_f64 v[22:23], -v[22:23], v[40:41], v[28:29]
	s_delay_alu instid0(VALU_DEP_1) | instskip(NEXT) | instid1(VALU_DEP_1)
	v_div_fmas_f64 v[22:23], v[22:23], v[26:27], v[40:41]
	v_div_fixup_f64 v[20:21], v[22:23], v[20:21], 1.0
                                        ; implicit-def: $vgpr22_vgpr23
	s_delay_alu instid0(VALU_DEP_1)
	v_mul_f64_e32 v[26:27], v[2:3], v[20:21]
                                        ; implicit-def: $vgpr2_vgpr3
.LBB126_67:                             ;   in Loop: Header=BB126_47 Depth=3
	s_and_not1_saveexec_b32 s47, s47
	s_cbranch_execz .LBB126_69
; %bb.68:                               ;   in Loop: Header=BB126_47 Depth=3
	v_div_scale_f64 v[20:21], null, v[2:3], v[2:3], -v[22:23]
	v_div_scale_f64 v[40:41], vcc_lo, -v[22:23], v[2:3], -v[22:23]
	s_delay_alu instid0(VALU_DEP_2) | instskip(SKIP_1) | instid1(TRANS32_DEP_1)
	v_rcp_f64_e32 v[26:27], v[20:21]
	v_nop
	v_fma_f64 v[28:29], -v[20:21], v[26:27], 1.0
	s_delay_alu instid0(VALU_DEP_1) | instskip(NEXT) | instid1(VALU_DEP_1)
	v_fmac_f64_e32 v[26:27], v[26:27], v[28:29]
	v_fma_f64 v[28:29], -v[20:21], v[26:27], 1.0
	s_delay_alu instid0(VALU_DEP_1) | instskip(NEXT) | instid1(VALU_DEP_1)
	v_fmac_f64_e32 v[26:27], v[26:27], v[28:29]
	v_mul_f64_e32 v[28:29], v[40:41], v[26:27]
	s_delay_alu instid0(VALU_DEP_1) | instskip(NEXT) | instid1(VALU_DEP_1)
	v_fma_f64 v[20:21], -v[20:21], v[28:29], v[40:41]
	v_div_fmas_f64 v[20:21], v[20:21], v[26:27], v[28:29]
	s_delay_alu instid0(VALU_DEP_1) | instskip(NEXT) | instid1(VALU_DEP_1)
	v_div_fixup_f64 v[2:3], v[20:21], v[2:3], -v[22:23]
	v_fma_f64 v[20:21], v[2:3], v[2:3], 1.0
	s_delay_alu instid0(VALU_DEP_1) | instskip(SKIP_1) | instid1(VALU_DEP_1)
	v_cmp_gt_f64_e32 vcc_lo, 0x10000000, v[20:21]
	v_cndmask_b32_e64 v22, 0, 0x100, vcc_lo
	v_ldexp_f64 v[20:21], v[20:21], v22
	s_delay_alu instid0(VALU_DEP_1) | instskip(SKIP_1) | instid1(TRANS32_DEP_1)
	v_rsq_f64_e32 v[22:23], v[20:21]
	v_nop
	v_mul_f64_e32 v[26:27], v[20:21], v[22:23]
	v_mul_f64_e32 v[22:23], 0.5, v[22:23]
	s_delay_alu instid0(VALU_DEP_1) | instskip(NEXT) | instid1(VALU_DEP_1)
	v_fma_f64 v[28:29], -v[22:23], v[26:27], 0.5
	v_fmac_f64_e32 v[26:27], v[26:27], v[28:29]
	v_fmac_f64_e32 v[22:23], v[22:23], v[28:29]
	s_delay_alu instid0(VALU_DEP_2) | instskip(NEXT) | instid1(VALU_DEP_1)
	v_fma_f64 v[28:29], -v[26:27], v[26:27], v[20:21]
	v_fmac_f64_e32 v[26:27], v[28:29], v[22:23]
	s_delay_alu instid0(VALU_DEP_1) | instskip(NEXT) | instid1(VALU_DEP_1)
	v_fma_f64 v[28:29], -v[26:27], v[26:27], v[20:21]
	v_fmac_f64_e32 v[26:27], v[28:29], v[22:23]
	v_cndmask_b32_e64 v22, 0, 0xffffff80, vcc_lo
	v_cmp_class_f64_e64 vcc_lo, v[20:21], 0x260
	s_delay_alu instid0(VALU_DEP_2) | instskip(NEXT) | instid1(VALU_DEP_1)
	v_ldexp_f64 v[22:23], v[26:27], v22
	v_dual_cndmask_b32 v21, v23, v21 :: v_dual_cndmask_b32 v20, v22, v20
	s_delay_alu instid0(VALU_DEP_1) | instskip(NEXT) | instid1(VALU_DEP_1)
	v_div_scale_f64 v[22:23], null, v[20:21], v[20:21], 1.0
	v_rcp_f64_e32 v[26:27], v[22:23]
	v_nop
	s_delay_alu instid0(TRANS32_DEP_1) | instskip(NEXT) | instid1(VALU_DEP_1)
	v_fma_f64 v[28:29], -v[22:23], v[26:27], 1.0
	v_fmac_f64_e32 v[26:27], v[26:27], v[28:29]
	s_delay_alu instid0(VALU_DEP_1) | instskip(NEXT) | instid1(VALU_DEP_1)
	v_fma_f64 v[28:29], -v[22:23], v[26:27], 1.0
	v_fmac_f64_e32 v[26:27], v[26:27], v[28:29]
	v_div_scale_f64 v[28:29], vcc_lo, 1.0, v[20:21], 1.0
	s_delay_alu instid0(VALU_DEP_1) | instskip(NEXT) | instid1(VALU_DEP_1)
	v_mul_f64_e32 v[40:41], v[28:29], v[26:27]
	v_fma_f64 v[22:23], -v[22:23], v[40:41], v[28:29]
	s_delay_alu instid0(VALU_DEP_1) | instskip(NEXT) | instid1(VALU_DEP_1)
	v_div_fmas_f64 v[22:23], v[22:23], v[26:27], v[40:41]
	v_div_fixup_f64 v[26:27], v[22:23], v[20:21], 1.0
	s_delay_alu instid0(VALU_DEP_1)
	v_mul_f64_e32 v[20:21], v[2:3], v[26:27]
.LBB126_69:                             ;   in Loop: Header=BB126_47 Depth=3
	s_or_b32 exec_lo, exec_lo, s47
.LBB126_70:                             ;   in Loop: Header=BB126_47 Depth=3
	s_delay_alu instid0(SALU_CYCLE_1)
	s_or_b32 exec_lo, exec_lo, s27
.LBB126_71:                             ;   in Loop: Header=BB126_47 Depth=3
	s_delay_alu instid0(SALU_CYCLE_1) | instskip(NEXT) | instid1(VALU_DEP_1)
	s_or_b32 exec_lo, exec_lo, s6
	v_mul_f64_e32 v[4:5], v[4:5], v[26:27]
	v_mul_f64_e32 v[6:7], v[6:7], v[26:27]
	s_mov_b32 s6, exec_lo
                                        ; implicit-def: $vgpr22_vgpr23
	v_cmpx_lg_f64_e32 0, v[24:25]
	s_xor_b32 s6, exec_lo, s6
	s_cbranch_execz .LBB126_73
; %bb.72:                               ;   in Loop: Header=BB126_47 Depth=3
	v_div_scale_f64 v[2:3], null, v[24:25], v[24:25], 0
	v_div_scale_f64 v[28:29], vcc_lo, 0, v[24:25], 0
	s_delay_alu instid0(VALU_DEP_2) | instskip(SKIP_1) | instid1(TRANS32_DEP_1)
	v_rcp_f64_e32 v[22:23], v[2:3]
	v_nop
	v_fma_f64 v[26:27], -v[2:3], v[22:23], 1.0
	s_delay_alu instid0(VALU_DEP_1) | instskip(NEXT) | instid1(VALU_DEP_1)
	v_fmac_f64_e32 v[22:23], v[22:23], v[26:27]
	v_fma_f64 v[26:27], -v[2:3], v[22:23], 1.0
	s_delay_alu instid0(VALU_DEP_1) | instskip(NEXT) | instid1(VALU_DEP_1)
	v_fmac_f64_e32 v[22:23], v[22:23], v[26:27]
	v_mul_f64_e32 v[26:27], v[28:29], v[22:23]
	s_delay_alu instid0(VALU_DEP_1) | instskip(NEXT) | instid1(VALU_DEP_1)
	v_fma_f64 v[2:3], -v[2:3], v[26:27], v[28:29]
	v_div_fmas_f64 v[2:3], v[2:3], v[22:23], v[26:27]
	s_delay_alu instid0(VALU_DEP_1) | instskip(NEXT) | instid1(VALU_DEP_1)
	v_div_fixup_f64 v[2:3], v[2:3], v[24:25], 0
	v_fmac_f64_e32 v[24:25], 0, v[2:3]
	s_delay_alu instid0(VALU_DEP_1) | instskip(SKIP_1) | instid1(VALU_DEP_2)
	v_div_scale_f64 v[22:23], null, v[24:25], v[24:25], 1.0
	v_div_scale_f64 v[40:41], vcc_lo, 1.0, v[24:25], 1.0
	v_rcp_f64_e32 v[26:27], v[22:23]
	v_nop
	s_delay_alu instid0(TRANS32_DEP_1) | instskip(NEXT) | instid1(VALU_DEP_1)
	v_fma_f64 v[28:29], -v[22:23], v[26:27], 1.0
	v_fmac_f64_e32 v[26:27], v[26:27], v[28:29]
	s_delay_alu instid0(VALU_DEP_1) | instskip(NEXT) | instid1(VALU_DEP_1)
	v_fma_f64 v[28:29], -v[22:23], v[26:27], 1.0
	v_fmac_f64_e32 v[26:27], v[26:27], v[28:29]
	s_delay_alu instid0(VALU_DEP_1) | instskip(NEXT) | instid1(VALU_DEP_1)
	v_mul_f64_e32 v[28:29], v[40:41], v[26:27]
	v_fma_f64 v[22:23], -v[22:23], v[28:29], v[40:41]
	s_delay_alu instid0(VALU_DEP_1) | instskip(SKIP_2) | instid1(VALU_DEP_3)
	v_div_fmas_f64 v[22:23], v[22:23], v[26:27], v[28:29]
	v_fma_f64 v[26:27], v[2:3], v[6:7], v[4:5]
	v_fma_f64 v[2:3], -v[2:3], v[4:5], v[6:7]
                                        ; implicit-def: $vgpr4_vgpr5
                                        ; implicit-def: $vgpr6_vgpr7
	v_div_fixup_f64 v[24:25], v[22:23], v[24:25], 1.0
	s_delay_alu instid0(VALU_DEP_1) | instskip(NEXT) | instid1(VALU_DEP_3)
	v_mul_f64_e32 v[22:23], v[24:25], v[26:27]
	v_mul_f64_e32 v[2:3], v[24:25], v[2:3]
                                        ; implicit-def: $vgpr24_vgpr25
.LBB126_73:                             ;   in Loop: Header=BB126_47 Depth=3
	s_and_not1_saveexec_b32 s6, s6
	s_cbranch_execz .LBB126_75
; %bb.74:                               ;   in Loop: Header=BB126_47 Depth=3
	v_div_scale_f64 v[2:3], null, 0, 0, v[24:25]
	v_div_scale_f64 v[28:29], vcc_lo, v[24:25], 0, v[24:25]
	s_delay_alu instid0(VALU_DEP_2) | instskip(SKIP_1) | instid1(TRANS32_DEP_1)
	v_rcp_f64_e32 v[22:23], v[2:3]
	v_nop
	v_fma_f64 v[26:27], -v[2:3], v[22:23], 1.0
	s_delay_alu instid0(VALU_DEP_1) | instskip(NEXT) | instid1(VALU_DEP_1)
	v_fmac_f64_e32 v[22:23], v[22:23], v[26:27]
	v_fma_f64 v[26:27], -v[2:3], v[22:23], 1.0
	s_delay_alu instid0(VALU_DEP_1) | instskip(NEXT) | instid1(VALU_DEP_1)
	v_fmac_f64_e32 v[22:23], v[22:23], v[26:27]
	v_mul_f64_e32 v[26:27], v[28:29], v[22:23]
	s_delay_alu instid0(VALU_DEP_1) | instskip(NEXT) | instid1(VALU_DEP_1)
	v_fma_f64 v[2:3], -v[2:3], v[26:27], v[28:29]
	v_div_fmas_f64 v[2:3], v[2:3], v[22:23], v[26:27]
	s_delay_alu instid0(VALU_DEP_1) | instskip(NEXT) | instid1(VALU_DEP_1)
	v_div_fixup_f64 v[2:3], v[2:3], 0, v[24:25]
	v_fma_f64 v[22:23], v[24:25], v[2:3], 0
	s_delay_alu instid0(VALU_DEP_1) | instskip(SKIP_1) | instid1(VALU_DEP_2)
	v_div_scale_f64 v[24:25], null, v[22:23], v[22:23], 1.0
	v_div_scale_f64 v[40:41], vcc_lo, 1.0, v[22:23], 1.0
	v_rcp_f64_e32 v[26:27], v[24:25]
	v_nop
	s_delay_alu instid0(TRANS32_DEP_1) | instskip(NEXT) | instid1(VALU_DEP_1)
	v_fma_f64 v[28:29], -v[24:25], v[26:27], 1.0
	v_fmac_f64_e32 v[26:27], v[26:27], v[28:29]
	s_delay_alu instid0(VALU_DEP_1) | instskip(NEXT) | instid1(VALU_DEP_1)
	v_fma_f64 v[28:29], -v[24:25], v[26:27], 1.0
	v_fmac_f64_e32 v[26:27], v[26:27], v[28:29]
	s_delay_alu instid0(VALU_DEP_1) | instskip(NEXT) | instid1(VALU_DEP_1)
	v_mul_f64_e32 v[28:29], v[40:41], v[26:27]
	v_fma_f64 v[24:25], -v[24:25], v[28:29], v[40:41]
	s_delay_alu instid0(VALU_DEP_1) | instskip(SKIP_2) | instid1(VALU_DEP_3)
	v_div_fmas_f64 v[24:25], v[24:25], v[26:27], v[28:29]
	v_fma_f64 v[26:27], v[2:3], v[4:5], v[6:7]
	v_fma_f64 v[2:3], v[2:3], v[6:7], -v[4:5]
	v_div_fixup_f64 v[24:25], v[24:25], v[22:23], 1.0
	s_delay_alu instid0(VALU_DEP_1) | instskip(NEXT) | instid1(VALU_DEP_3)
	v_mul_f64_e32 v[22:23], v[24:25], v[26:27]
	v_mul_f64_e32 v[2:3], v[24:25], v[2:3]
.LBB126_75:                             ;   in Loop: Header=BB126_47 Depth=3
	s_or_b32 exec_lo, exec_lo, s6
.LBB126_76:                             ;   in Loop: Header=BB126_47 Depth=3
	s_delay_alu instid0(SALU_CYCLE_1) | instskip(NEXT) | instid1(VALU_DEP_1)
	s_or_b32 exec_lo, exec_lo, s26
	v_dual_mov_b32 v4, v2 :: v_dual_mov_b32 v5, v3
	ds_store_b64 v30, v[20:21]
	ds_store_2addr_b64 v31, v[22:23], v[4:5] offset1:1
.LBB126_77:                             ;   in Loop: Header=BB126_47 Depth=3
	s_or_b32 exec_lo, exec_lo, s7
	s_and_b32 s4, s4, s5
	s_mov_b32 s6, 0
	s_wait_dscnt 0x0
	s_barrier_signal -1
	s_barrier_wait -1
	s_and_saveexec_b32 s5, s4
	s_cbranch_execz .LBB126_89
; %bb.78:                               ;   in Loop: Header=BB126_47 Depth=3
	ds_load_b64 v[20:21], v30
	ds_load_2addr_b64 v[0:3], v31 offset1:1
	s_mov_b32 s4, 0
	s_and_saveexec_b32 s26, s0
	s_cbranch_execz .LBB126_88
; %bb.79:                               ;   in Loop: Header=BB126_47 Depth=3
	v_mad_u32 v4, v39, s11, v32
	v_mad_u32 v6, v37, s11, v32
	v_mul_lo_u32 v24, v39, s15
	v_mul_lo_u32 v25, v37, s15
	v_dual_mov_b32 v26, v34 :: v_dual_mov_b32 v27, v33
	s_mov_b32 s27, 0
	s_mov_b64 s[6:7], s[42:43]
	s_delay_alu instid0(VALU_DEP_4) | instskip(NEXT) | instid1(VALU_DEP_1)
	v_dual_ashrrev_i32 v5, 31, v4 :: v_dual_ashrrev_i32 v7, 31, v6
	v_lshlrev_b64_e32 v[4:5], 4, v[4:5]
	s_delay_alu instid0(VALU_DEP_2)
	v_lshlrev_b64_e32 v[6:7], 4, v[6:7]
	s_branch .LBB126_82
.LBB126_80:                             ;   in Loop: Header=BB126_82 Depth=4
	s_wait_xcnt 0x0
	s_or_b32 exec_lo, exec_lo, s47
.LBB126_81:                             ;   in Loop: Header=BB126_82 Depth=4
	v_dual_add_nc_u32 v27, s33, v27 :: v_dual_add_nc_u32 v26, s12, v26
	s_add_nc_u64 s[6:7], s[6:7], s[28:29]
	s_delay_alu instid0(VALU_DEP_1) | instskip(SKIP_1) | instid1(SALU_CYCLE_1)
	v_cmp_le_i32_e32 vcc_lo, s36, v27
	s_or_b32 s27, vcc_lo, s27
	s_and_not1_b32 exec_lo, exec_lo, s27
	s_cbranch_execz .LBB126_87
.LBB126_82:                             ;   Parent Loop BB126_42 Depth=1
                                        ;     Parent Loop BB126_45 Depth=2
                                        ;       Parent Loop BB126_47 Depth=3
                                        ; =>      This Inner Loop Header: Depth=4
	s_delay_alu instid0(VALU_DEP_1) | instskip(NEXT) | instid1(VALU_DEP_3)
	v_add_nc_u64_e32 v[18:19], s[6:7], v[6:7]
	v_add_nc_u64_e32 v[22:23], s[6:7], v[4:5]
	v_cmp_gt_i32_e64 s4, s11, v26
	s_clause 0x1
	global_load_b128 v[40:43], v[18:19], off
	global_load_b128 v[44:47], v[22:23], off
	s_wait_loadcnt_dscnt 0x100
	v_mul_f64_e32 v[48:49], v[2:3], v[42:43]
	v_mul_f64_e32 v[28:29], v[2:3], v[40:41]
	s_wait_loadcnt 0x0
	v_mul_f64_e32 v[52:53], v[0:1], v[44:45]
	v_mul_f64_e32 v[54:55], v[0:1], v[46:47]
	s_delay_alu instid0(VALU_DEP_4) | instskip(NEXT) | instid1(VALU_DEP_4)
	v_fmac_f64_e32 v[48:49], v[0:1], v[40:41]
	v_fma_f64 v[50:51], v[0:1], v[42:43], -v[28:29]
	s_delay_alu instid0(VALU_DEP_4) | instskip(NEXT) | instid1(VALU_DEP_4)
	v_fma_f64 v[52:53], v[2:3], v[46:47], -v[52:53]
	v_fma_f64 v[54:55], v[44:45], -v[2:3], -v[54:55]
	s_delay_alu instid0(VALU_DEP_4) | instskip(NEXT) | instid1(VALU_DEP_4)
	v_fmac_f64_e32 v[48:49], v[20:21], v[44:45]
	v_fmac_f64_e32 v[50:51], v[20:21], v[46:47]
	s_delay_alu instid0(VALU_DEP_4) | instskip(NEXT) | instid1(VALU_DEP_4)
	v_fmac_f64_e32 v[52:53], v[20:21], v[40:41]
	v_fmac_f64_e32 v[54:55], v[20:21], v[42:43]
	s_clause 0x1
	global_store_b128 v[22:23], v[48:51], off
	global_store_b128 v[18:19], v[52:55], off
	s_wait_xcnt 0x0
	s_and_saveexec_b32 s47, s4
	s_cbranch_execz .LBB126_84
; %bb.83:                               ;   in Loop: Header=BB126_82 Depth=4
	s_clause 0x1
	global_load_b128 v[40:43], v[18:19], off offset:16
	global_load_b128 v[44:47], v[22:23], off offset:16
	s_wait_loadcnt 0x1
	v_mul_f64_e32 v[48:49], v[2:3], v[42:43]
	v_mul_f64_e32 v[28:29], v[2:3], v[40:41]
	s_wait_loadcnt 0x0
	v_mul_f64_e32 v[52:53], v[0:1], v[44:45]
	v_mul_f64_e32 v[54:55], v[0:1], v[46:47]
	s_delay_alu instid0(VALU_DEP_4) | instskip(NEXT) | instid1(VALU_DEP_4)
	v_fmac_f64_e32 v[48:49], v[0:1], v[40:41]
	v_fma_f64 v[50:51], v[0:1], v[42:43], -v[28:29]
	s_delay_alu instid0(VALU_DEP_4) | instskip(NEXT) | instid1(VALU_DEP_4)
	v_fma_f64 v[52:53], v[2:3], v[46:47], -v[52:53]
	v_fma_f64 v[54:55], v[44:45], -v[2:3], -v[54:55]
	s_delay_alu instid0(VALU_DEP_4) | instskip(NEXT) | instid1(VALU_DEP_4)
	v_fmac_f64_e32 v[48:49], v[20:21], v[44:45]
	v_fmac_f64_e32 v[50:51], v[20:21], v[46:47]
	s_delay_alu instid0(VALU_DEP_4) | instskip(NEXT) | instid1(VALU_DEP_4)
	v_fmac_f64_e32 v[52:53], v[20:21], v[40:41]
	v_fmac_f64_e32 v[54:55], v[20:21], v[42:43]
	s_clause 0x1
	global_store_b128 v[22:23], v[48:51], off offset:16
	global_store_b128 v[18:19], v[52:55], off offset:16
.LBB126_84:                             ;   in Loop: Header=BB126_82 Depth=4
	s_wait_xcnt 0x0
	s_or_b32 exec_lo, exec_lo, s47
	s_delay_alu instid0(SALU_CYCLE_1)
	s_and_not1_b32 vcc_lo, exec_lo, s56
	s_cbranch_vccnz .LBB126_81
; %bb.85:                               ;   in Loop: Header=BB126_82 Depth=4
	v_add3_u32 v22, v25, v26, -1
	v_add3_u32 v18, v24, v26, -1
	s_clause 0x1
	global_load_b128 v[40:43], v22, s[34:35] scale_offset
	global_load_b128 v[44:47], v18, s[34:35] scale_offset
	s_wait_loadcnt 0x1
	v_mul_f64_e32 v[48:49], v[2:3], v[42:43]
	v_mul_f64_e32 v[28:29], v[2:3], v[40:41]
	s_wait_loadcnt 0x0
	v_mul_f64_e32 v[52:53], v[0:1], v[44:45]
	v_mul_f64_e32 v[54:55], v[0:1], v[46:47]
	s_delay_alu instid0(VALU_DEP_4) | instskip(NEXT) | instid1(VALU_DEP_4)
	v_fmac_f64_e32 v[48:49], v[0:1], v[40:41]
	v_fma_f64 v[50:51], v[0:1], v[42:43], -v[28:29]
	s_delay_alu instid0(VALU_DEP_4) | instskip(NEXT) | instid1(VALU_DEP_4)
	v_fma_f64 v[52:53], v[2:3], v[46:47], -v[52:53]
	v_fma_f64 v[54:55], v[44:45], -v[2:3], -v[54:55]
	s_delay_alu instid0(VALU_DEP_4) | instskip(NEXT) | instid1(VALU_DEP_4)
	v_fmac_f64_e32 v[48:49], v[20:21], v[44:45]
	v_fmac_f64_e32 v[50:51], v[20:21], v[46:47]
	s_delay_alu instid0(VALU_DEP_4) | instskip(NEXT) | instid1(VALU_DEP_4)
	v_fmac_f64_e32 v[52:53], v[20:21], v[40:41]
	v_fmac_f64_e32 v[54:55], v[20:21], v[42:43]
	s_clause 0x1
	global_store_b128 v18, v[48:51], s[34:35] scale_offset
	global_store_b128 v22, v[52:55], s[34:35] scale_offset
	s_wait_xcnt 0x0
	s_and_saveexec_b32 s47, s4
	s_cbranch_execz .LBB126_80
; %bb.86:                               ;   in Loop: Header=BB126_82 Depth=4
	v_ashrrev_i32_e32 v23, 31, v22
	v_ashrrev_i32_e32 v19, 31, v18
	s_delay_alu instid0(VALU_DEP_2) | instskip(NEXT) | instid1(VALU_DEP_2)
	v_lshl_add_u64 v[22:23], v[22:23], 4, s[34:35]
	v_lshl_add_u64 v[18:19], v[18:19], 4, s[34:35]
	s_clause 0x1
	global_load_b128 v[40:43], v[22:23], off offset:16
	global_load_b128 v[44:47], v[18:19], off offset:16
	s_wait_loadcnt 0x1
	v_mul_f64_e32 v[48:49], v[2:3], v[42:43]
	v_mul_f64_e32 v[28:29], v[2:3], v[40:41]
	s_wait_loadcnt 0x0
	v_mul_f64_e32 v[52:53], v[0:1], v[44:45]
	v_mul_f64_e32 v[54:55], v[0:1], v[46:47]
	s_delay_alu instid0(VALU_DEP_4) | instskip(NEXT) | instid1(VALU_DEP_4)
	v_fmac_f64_e32 v[48:49], v[0:1], v[40:41]
	v_fma_f64 v[50:51], v[0:1], v[42:43], -v[28:29]
	s_delay_alu instid0(VALU_DEP_4) | instskip(NEXT) | instid1(VALU_DEP_4)
	v_fma_f64 v[52:53], v[2:3], v[46:47], -v[52:53]
	v_fma_f64 v[54:55], v[44:45], -v[2:3], -v[54:55]
	s_delay_alu instid0(VALU_DEP_4) | instskip(NEXT) | instid1(VALU_DEP_4)
	v_fmac_f64_e32 v[48:49], v[20:21], v[44:45]
	v_fmac_f64_e32 v[50:51], v[20:21], v[46:47]
	s_delay_alu instid0(VALU_DEP_4) | instskip(NEXT) | instid1(VALU_DEP_4)
	v_fmac_f64_e32 v[52:53], v[20:21], v[40:41]
	v_fmac_f64_e32 v[54:55], v[20:21], v[42:43]
	s_clause 0x1
	global_store_b128 v[18:19], v[48:51], off offset:16
	global_store_b128 v[22:23], v[52:55], off offset:16
	s_branch .LBB126_80
.LBB126_87:                             ;   in Loop: Header=BB126_47 Depth=3
	s_or_b32 exec_lo, exec_lo, s27
	s_delay_alu instid0(SALU_CYCLE_1)
	s_mov_b32 s4, exec_lo
.LBB126_88:                             ;   in Loop: Header=BB126_47 Depth=3
	s_or_b32 exec_lo, exec_lo, s26
	s_wait_dscnt 0x0
	v_mov_b64_e32 v[22:23], v[0:1]
	v_xor_b32_e32 v19, 0x80000000, v3
	v_mov_b32_e32 v18, v2
	s_and_b32 s6, s4, exec_lo
.LBB126_89:                             ;   in Loop: Header=BB126_47 Depth=3
	s_or_b32 exec_lo, exec_lo, s5
	s_wait_storecnt 0x0
	s_barrier_signal -1
	s_barrier_wait -1
	s_and_saveexec_b32 s4, s6
	s_cbranch_execz .LBB126_94
; %bb.90:                               ;   in Loop: Header=BB126_47 Depth=3
	v_dual_add_nc_u32 v4, v15, v39 :: v_dual_add_nc_u32 v5, v15, v37
	v_dual_add_nc_u32 v6, v35, v37 :: v_dual_add_nc_u32 v7, v35, v39
	v_dual_mov_b32 v24, v34 :: v_dual_mov_b32 v25, v33
	s_mov_b32 s5, 0
	s_mov_b32 s6, 0
	s_branch .LBB126_92
.LBB126_91:                             ;   in Loop: Header=BB126_92 Depth=4
	s_wait_xcnt 0x0
	s_or_b32 exec_lo, exec_lo, s7
	v_dual_add_nc_u32 v25, s33, v25 :: v_dual_add_nc_u32 v24, s12, v24
	s_add_co_i32 s6, s6, s37
	s_delay_alu instid0(VALU_DEP_1) | instskip(SKIP_1) | instid1(SALU_CYCLE_1)
	v_cmp_le_i32_e32 vcc_lo, s36, v25
	s_or_b32 s5, vcc_lo, s5
	s_and_not1_b32 exec_lo, exec_lo, s5
	s_cbranch_execz .LBB126_94
.LBB126_92:                             ;   Parent Loop BB126_42 Depth=1
                                        ;     Parent Loop BB126_45 Depth=2
                                        ;       Parent Loop BB126_47 Depth=3
                                        ; =>      This Inner Loop Header: Depth=4
	v_dual_add_nc_u32 v52, s6, v6 :: v_dual_add_nc_u32 v53, s6, v7
	s_mov_b32 s7, exec_lo
	s_clause 0x1
	global_load_b128 v[26:29], v52, s[42:43] scale_offset
	global_load_b128 v[40:43], v53, s[42:43] scale_offset
	s_wait_loadcnt 0x1
	v_mul_f64_e32 v[44:45], v[2:3], v[28:29]
	v_mul_f64_e32 v[46:47], v[22:23], v[28:29]
	s_wait_loadcnt 0x0
	v_mul_f64_e32 v[48:49], v[0:1], v[40:41]
	v_mul_f64_e32 v[50:51], v[0:1], v[42:43]
	s_delay_alu instid0(VALU_DEP_4) | instskip(NEXT) | instid1(VALU_DEP_4)
	v_fma_f64 v[44:45], v[22:23], v[26:27], -v[44:45]
	v_fmac_f64_e32 v[46:47], v[2:3], v[26:27]
	s_delay_alu instid0(VALU_DEP_4) | instskip(NEXT) | instid1(VALU_DEP_4)
	v_fma_f64 v[48:49], v[18:19], v[42:43], -v[48:49]
	v_fma_f64 v[50:51], v[40:41], -v[18:19], -v[50:51]
	s_delay_alu instid0(VALU_DEP_4) | instskip(NEXT) | instid1(VALU_DEP_4)
	v_fmac_f64_e32 v[44:45], v[20:21], v[40:41]
	v_fmac_f64_e32 v[46:47], v[20:21], v[42:43]
	s_delay_alu instid0(VALU_DEP_4) | instskip(NEXT) | instid1(VALU_DEP_4)
	v_fmac_f64_e32 v[48:49], v[20:21], v[26:27]
	v_fmac_f64_e32 v[50:51], v[20:21], v[28:29]
	s_clause 0x1
	global_store_b128 v53, v[44:47], s[42:43] scale_offset
	global_store_b128 v52, v[48:51], s[42:43] scale_offset
	s_wait_xcnt 0x0
	v_cmpx_gt_i32_e64 s11, v24
	s_cbranch_execz .LBB126_91
; %bb.93:                               ;   in Loop: Header=BB126_92 Depth=4
	v_dual_add_nc_u32 v52, s6, v5 :: v_dual_add_nc_u32 v53, s6, v4
	s_clause 0x1
	global_load_b128 v[26:29], v52, s[42:43] scale_offset
	global_load_b128 v[40:43], v53, s[42:43] scale_offset
	s_wait_loadcnt 0x1
	v_mul_f64_e32 v[44:45], v[2:3], v[28:29]
	v_mul_f64_e32 v[46:47], v[22:23], v[28:29]
	s_wait_loadcnt 0x0
	v_mul_f64_e32 v[48:49], v[0:1], v[40:41]
	v_mul_f64_e32 v[50:51], v[0:1], v[42:43]
	s_delay_alu instid0(VALU_DEP_4) | instskip(NEXT) | instid1(VALU_DEP_4)
	v_fma_f64 v[44:45], v[22:23], v[26:27], -v[44:45]
	v_fmac_f64_e32 v[46:47], v[2:3], v[26:27]
	s_delay_alu instid0(VALU_DEP_4) | instskip(NEXT) | instid1(VALU_DEP_4)
	v_fma_f64 v[48:49], v[18:19], v[42:43], -v[48:49]
	v_fma_f64 v[50:51], v[40:41], -v[18:19], -v[50:51]
	s_delay_alu instid0(VALU_DEP_4) | instskip(NEXT) | instid1(VALU_DEP_4)
	v_fmac_f64_e32 v[44:45], v[20:21], v[40:41]
	v_fmac_f64_e32 v[46:47], v[20:21], v[42:43]
	s_delay_alu instid0(VALU_DEP_4) | instskip(NEXT) | instid1(VALU_DEP_4)
	v_fmac_f64_e32 v[48:49], v[20:21], v[26:27]
	v_fmac_f64_e32 v[50:51], v[20:21], v[28:29]
	s_clause 0x1
	global_store_b128 v53, v[44:47], s[42:43] scale_offset
	global_store_b128 v52, v[48:51], s[42:43] scale_offset
	s_branch .LBB126_91
.LBB126_94:                             ;   in Loop: Header=BB126_47 Depth=3
	s_or_b32 exec_lo, exec_lo, s4
	s_wait_storecnt 0x0
	s_barrier_signal -1
	s_barrier_wait -1
	s_and_saveexec_b32 s4, s25
	s_cbranch_execz .LBB126_96
; %bb.95:                               ;   in Loop: Header=BB126_47 Depth=3
	v_mad_u32 v24, v37, s11, v39
	v_mad_u32 v25, v39, s11, v37
	s_mov_b32 s25, s24
	s_mov_b32 s26, s24
	;; [unrolled: 1-line block ×3, first 2 shown]
	v_mov_b64_e32 v[4:5], s[24:25]
	v_mov_b64_e32 v[6:7], s[26:27]
	s_clause 0x1
	global_store_b128 v24, v[4:7], s[42:43] scale_offset
	global_store_b128 v25, v[4:7], s[42:43] scale_offset
.LBB126_96:                             ;   in Loop: Header=BB126_47 Depth=3
	s_wait_xcnt 0x0
	s_or_b32 exec_lo, exec_lo, s4
	s_and_b32 s3, s2, s3
	s_wait_storecnt 0x0
	s_barrier_signal -1
	s_barrier_wait -1
	s_and_saveexec_b32 s4, s3
	s_cbranch_execz .LBB126_108
; %bb.97:                               ;   in Loop: Header=BB126_47 Depth=3
	s_mov_b32 s5, exec_lo
	v_cmpx_lt_i32_e32 0, v39
	s_cbranch_execz .LBB126_103
; %bb.98:                               ;   in Loop: Header=BB126_47 Depth=3
	v_cmp_ne_u32_e32 vcc_lo, 2, v39
	v_cmp_ne_u32_e64 s3, s52, v39
                                        ; implicit-def: $vgpr4
	s_and_b32 s3, vcc_lo, s3
	s_delay_alu instid0(SALU_CYCLE_1) | instskip(NEXT) | instid1(SALU_CYCLE_1)
	s_and_saveexec_b32 s6, s3
	s_xor_b32 s3, exec_lo, s6
; %bb.99:                               ;   in Loop: Header=BB126_47 Depth=3
	v_and_b32_e32 v4, 1, v39
	s_delay_alu instid0(VALU_DEP_1) | instskip(SKIP_1) | instid1(VALU_DEP_1)
	v_cmp_eq_u32_e32 vcc_lo, 0, v4
	v_cndmask_b32_e64 v4, 2, -2, vcc_lo
	v_add_nc_u32_e32 v4, v4, v39
                                        ; implicit-def: $vgpr39
; %bb.100:                              ;   in Loop: Header=BB126_47 Depth=3
	s_and_not1_saveexec_b32 s3, s3
; %bb.101:                              ;   in Loop: Header=BB126_47 Depth=3
	v_add_nc_u32_e32 v4, -1, v39
; %bb.102:                              ;   in Loop: Header=BB126_47 Depth=3
	s_or_b32 exec_lo, exec_lo, s3
	v_lshl_add_u32 v5, v38, 2, s49
	ds_store_b32 v5, v4
.LBB126_103:                            ;   in Loop: Header=BB126_47 Depth=3
	s_or_b32 exec_lo, exec_lo, s5
	v_cmp_ne_u32_e32 vcc_lo, 2, v37
	v_cmp_ne_u32_e64 s3, s52, v37
                                        ; implicit-def: $vgpr4
	s_and_b32 s3, vcc_lo, s3
	s_delay_alu instid0(SALU_CYCLE_1) | instskip(NEXT) | instid1(SALU_CYCLE_1)
	s_and_saveexec_b32 s5, s3
	s_xor_b32 s3, exec_lo, s5
; %bb.104:                              ;   in Loop: Header=BB126_47 Depth=3
	v_and_b32_e32 v4, 1, v37
	s_delay_alu instid0(VALU_DEP_1) | instskip(SKIP_1) | instid1(VALU_DEP_1)
	v_cmp_eq_u32_e32 vcc_lo, 0, v4
	v_cndmask_b32_e64 v4, 2, -2, vcc_lo
	v_add_nc_u32_e32 v4, v4, v37
                                        ; implicit-def: $vgpr37
; %bb.105:                              ;   in Loop: Header=BB126_47 Depth=3
	s_and_not1_saveexec_b32 s3, s3
; %bb.106:                              ;   in Loop: Header=BB126_47 Depth=3
	v_add_nc_u32_e32 v4, -1, v37
; %bb.107:                              ;   in Loop: Header=BB126_47 Depth=3
	s_or_b32 exec_lo, exec_lo, s3
	ds_store_b32 v36, v4
.LBB126_108:                            ;   in Loop: Header=BB126_47 Depth=3
	s_or_b32 exec_lo, exec_lo, s4
	s_add_co_i32 s3, s46, 1
	s_cmp_eq_u32 s46, s51
	s_wait_dscnt 0x0
	s_barrier_signal -1
	s_barrier_wait -1
	s_cbranch_scc1 .LBB126_44
; %bb.109:                              ;   in Loop: Header=BB126_47 Depth=3
	s_mov_b32 s46, s3
	s_branch .LBB126_47
.LBB126_110:                            ;   in Loop: Header=BB126_42 Depth=1
	s_and_saveexec_b32 s3, s2
	s_cbranch_execz .LBB126_120
; %bb.111:                              ;   in Loop: Header=BB126_42 Depth=1
	v_mov_b64_e32 v[4:5], 0
	s_and_saveexec_b32 s4, s1
	s_cbranch_execz .LBB126_119
; %bb.112:                              ;   in Loop: Header=BB126_42 Depth=1
	v_mov_b64_e32 v[4:5], 0
	v_mov_b64_e32 v[6:7], v[12:13]
	v_mov_b32_e32 v26, v14
	s_mov_b32 s5, 0
	s_branch .LBB126_114
.LBB126_113:                            ;   in Loop: Header=BB126_114 Depth=2
	s_or_b32 exec_lo, exec_lo, s6
	v_add_nc_u32_e32 v26, s14, v26
	v_add_nc_u64_e32 v[6:7], v[6:7], v[16:17]
	s_delay_alu instid0(VALU_DEP_2) | instskip(SKIP_1) | instid1(SALU_CYCLE_1)
	v_cmp_le_i32_e32 vcc_lo, s11, v26
	s_or_b32 s5, vcc_lo, s5
	s_and_not1_b32 exec_lo, exec_lo, s5
	s_cbranch_execz .LBB126_118
.LBB126_114:                            ;   Parent Loop BB126_42 Depth=1
                                        ; =>  This Loop Header: Depth=2
                                        ;       Child Loop BB126_116 Depth 3
	s_mov_b32 s6, exec_lo
	s_delay_alu instid0(VALU_DEP_1)
	v_cmpx_lt_i32_e32 0, v26
	s_cbranch_execz .LBB126_113
; %bb.115:                              ;   in Loop: Header=BB126_114 Depth=2
	v_mov_b64_e32 v[24:25], v[6:7]
	s_mov_b32 s7, 0
	s_mov_b32 s25, 0
.LBB126_116:                            ;   Parent Loop BB126_42 Depth=1
                                        ;     Parent Loop BB126_114 Depth=2
                                        ; =>    This Inner Loop Header: Depth=3
	global_load_b128 v[36:39], v[24:25], off offset:-8
	s_add_co_i32 s25, s25, 1
	s_wait_xcnt 0x0
	v_add_nc_u64_e32 v[24:25], s[44:45], v[24:25]
	v_cmp_eq_u32_e32 vcc_lo, s25, v26
	s_or_b32 s7, vcc_lo, s7
	s_wait_loadcnt 0x0
	v_mul_f64_e32 v[28:29], v[38:39], v[38:39]
	s_delay_alu instid0(VALU_DEP_1) | instskip(NEXT) | instid1(VALU_DEP_1)
	v_fmac_f64_e32 v[28:29], v[36:37], v[36:37]
	v_fmac_f64_e32 v[4:5], 2.0, v[28:29]
	s_and_not1_b32 exec_lo, exec_lo, s7
	s_cbranch_execnz .LBB126_116
; %bb.117:                              ;   in Loop: Header=BB126_114 Depth=2
	s_or_b32 exec_lo, exec_lo, s7
	s_branch .LBB126_113
.LBB126_118:                            ;   in Loop: Header=BB126_42 Depth=1
	s_or_b32 exec_lo, exec_lo, s5
.LBB126_119:                            ;   in Loop: Header=BB126_42 Depth=1
	s_delay_alu instid0(SALU_CYCLE_1)
	s_or_b32 exec_lo, exec_lo, s4
	ds_store_b64 v30, v[4:5]
.LBB126_120:                            ;   in Loop: Header=BB126_42 Depth=1
	s_or_b32 exec_lo, exec_lo, s3
	v_mov_b64_e32 v[4:5], 0
	s_and_not1_b32 vcc_lo, exec_lo, s10
	s_wait_dscnt 0x0
	s_barrier_signal -1
	s_barrier_wait -1
	s_cbranch_vccnz .LBB126_41
; %bb.121:                              ;   in Loop: Header=BB126_42 Depth=1
	s_mov_b32 s3, 0
	s_and_not1_b32 vcc_lo, exec_lo, s58
	s_cbranch_vccnz .LBB126_125
; %bb.122:                              ;   in Loop: Header=BB126_42 Depth=1
	s_mov_b32 s4, 0
.LBB126_123:                            ;   Parent Loop BB126_42 Depth=1
                                        ; =>  This Inner Loop Header: Depth=2
	s_delay_alu instid0(SALU_CYCLE_1)
	v_mov_b32_e32 v40, s4
	s_add_co_i32 s3, s3, 8
	s_add_co_i32 s4, s4, 64
	s_cmp_lg_u32 s59, s3
	ds_load_2addr_b64 v[24:27], v40 offset1:1
	ds_load_2addr_b64 v[36:39], v40 offset0:2 offset1:3
	s_wait_dscnt 0x1
	v_add_f64_e32 v[4:5], v[4:5], v[24:25]
	s_delay_alu instid0(VALU_DEP_1) | instskip(SKIP_1) | instid1(VALU_DEP_1)
	v_add_f64_e32 v[4:5], v[4:5], v[26:27]
	s_wait_dscnt 0x0
	v_add_f64_e32 v[4:5], v[4:5], v[36:37]
	s_delay_alu instid0(VALU_DEP_1) | instskip(SKIP_4) | instid1(VALU_DEP_1)
	v_add_f64_e32 v[28:29], v[4:5], v[38:39]
	ds_load_2addr_b64 v[4:7], v40 offset0:4 offset1:5
	ds_load_2addr_b64 v[24:27], v40 offset0:6 offset1:7
	s_wait_dscnt 0x1
	v_add_f64_e32 v[4:5], v[28:29], v[4:5]
	v_add_f64_e32 v[4:5], v[4:5], v[6:7]
	s_wait_dscnt 0x0
	s_delay_alu instid0(VALU_DEP_1) | instskip(NEXT) | instid1(VALU_DEP_1)
	v_add_f64_e32 v[4:5], v[4:5], v[24:25]
	v_add_f64_e32 v[4:5], v[4:5], v[26:27]
	s_cbranch_scc1 .LBB126_123
; %bb.124:                              ;   in Loop: Header=BB126_42 Depth=1
	s_mov_b32 s3, s59
.LBB126_125:                            ;   in Loop: Header=BB126_42 Depth=1
	s_and_not1_b32 vcc_lo, exec_lo, s60
	s_cbranch_vccnz .LBB126_41
; %bb.126:                              ;   in Loop: Header=BB126_42 Depth=1
	s_lshl_b32 s3, s3, 3
	s_mov_b32 s4, s57
	s_add_co_i32 s3, s3, 0
.LBB126_127:                            ;   Parent Loop BB126_42 Depth=1
                                        ; =>  This Inner Loop Header: Depth=2
	s_delay_alu instid0(SALU_CYCLE_1)
	v_mov_b32_e32 v6, s3
	s_add_co_i32 s4, s4, -1
	s_add_co_i32 s3, s3, 8
	s_cmp_lg_u32 s4, 0
	ds_load_b64 v[6:7], v6
	s_wait_dscnt 0x0
	v_add_f64_e32 v[4:5], v[4:5], v[6:7]
	s_cbranch_scc1 .LBB126_127
	s_branch .LBB126_41
.LBB126_128:
	s_mul_u64 s[0:1], s[20:21], s[40:41]
	s_and_saveexec_b32 s3, s2
	s_cbranch_execz .LBB126_134
; %bb.129:
	s_mov_b32 s4, exec_lo
	v_cmpx_eq_u32_e32 0, v14
	s_cbranch_execz .LBB126_131
; %bb.130:
	v_cmp_gt_f64_e32 vcc_lo, 0x10000000, v[4:5]
	s_cmp_gt_i32 s13, s48
	s_cselect_b32 s5, -1, 0
	s_min_i32 s6, s13, s48
	s_and_b32 s7, vcc_lo, exec_lo
	s_cselect_b32 s7, 0x100, 0
	s_delay_alu instid0(SALU_CYCLE_1) | instskip(SKIP_1) | instid1(VALU_DEP_1)
	v_ldexp_f64 v[0:1], v[4:5], s7
	s_cselect_b32 s7, 0xffffff80, 0
	v_rsq_f64_e32 v[2:3], v[0:1]
	v_cmp_class_f64_e64 vcc_lo, v[0:1], 0x260
	s_delay_alu instid0(TRANS32_DEP_1) | instskip(SKIP_1) | instid1(VALU_DEP_1)
	v_mul_f64_e32 v[4:5], v[0:1], v[2:3]
	v_mul_f64_e32 v[2:3], 0.5, v[2:3]
	v_fma_f64 v[6:7], -v[2:3], v[4:5], 0.5
	s_delay_alu instid0(VALU_DEP_1) | instskip(SKIP_1) | instid1(VALU_DEP_2)
	v_fmac_f64_e32 v[4:5], v[4:5], v[6:7]
	v_fmac_f64_e32 v[2:3], v[2:3], v[6:7]
	v_fma_f64 v[6:7], -v[4:5], v[4:5], v[0:1]
	s_delay_alu instid0(VALU_DEP_1) | instskip(NEXT) | instid1(VALU_DEP_1)
	v_fmac_f64_e32 v[4:5], v[6:7], v[2:3]
	v_fma_f64 v[6:7], -v[4:5], v[4:5], v[0:1]
	s_delay_alu instid0(VALU_DEP_1) | instskip(NEXT) | instid1(VALU_DEP_1)
	v_fmac_f64_e32 v[4:5], v[6:7], v[2:3]
	v_ldexp_f64 v[2:3], v[4:5], s7
	s_delay_alu instid0(VALU_DEP_1) | instskip(NEXT) | instid1(VALU_DEP_2)
	v_dual_mov_b32 v4, s40 :: v_dual_cndmask_b32 v1, v3, v1
	v_dual_cndmask_b32 v0, v2, v0, vcc_lo :: v_dual_mov_b32 v2, s6
	v_cndmask_b32_e64 v3, 0, 1, s5
	s_clause 0x2
	global_store_b64 v4, v[0:1], s[30:31] scale_offset
	global_store_b32 v4, v2, s[16:17] scale_offset
	global_store_b32 v4, v3, s[22:23] scale_offset
.LBB126_131:
	s_wait_xcnt 0x0
	s_or_b32 exec_lo, exec_lo, s4
	v_cmp_gt_i32_e32 vcc_lo, s11, v14
	s_and_b32 exec_lo, exec_lo, vcc_lo
	s_cbranch_execz .LBB126_134
; %bb.132:
	s_ashr_i32 s37, s36, 31
	s_ashr_i32 s39, s38, 31
	v_mad_u32 v0, v14, s11, v14
	v_min_i64 v[2:3], s[36:37], s[38:39]
	v_dual_mov_b32 v6, v14 :: v_dual_ashrrev_i32 v15, 31, v14
	s_lshl_b64 s[4:5], s[0:1], 3
	s_add_co_i32 s6, s11, 1
	s_add_nc_u64 s[4:5], s[18:19], s[4:5]
	s_delay_alu instid0(VALU_DEP_1) | instid1(SALU_CYCLE_1)
	v_lshl_add_u64 v[4:5], v[14:15], 3, s[4:5]
	s_mul_i32 s4, s14, s6
	s_mov_b32 s5, 0
	s_delay_alu instid0(VALU_DEP_3)
	v_lshlrev_b64_e32 v[2:3], 3, v[2:3]
.LBB126_133:                            ; =>This Inner Loop Header: Depth=1
	v_dual_ashrrev_i32 v1, 31, v0 :: v_dual_add_nc_u32 v6, s14, v6
	s_delay_alu instid0(VALU_DEP_1) | instskip(NEXT) | instid1(VALU_DEP_2)
	v_lshl_add_u64 v[8:9], v[0:1], 4, s[42:43]
	v_cmp_le_i32_e32 vcc_lo, s11, v6
	v_add_nc_u32_e32 v0, s4, v0
	global_load_b64 v[8:9], v[8:9], off
	s_or_b32 s5, vcc_lo, s5
	s_wait_loadcnt 0x0
	global_store_b64 v[4:5], v[8:9], off
	s_wait_xcnt 0x0
	v_add_nc_u64_e32 v[4:5], v[4:5], v[2:3]
	s_and_not1_b32 exec_lo, exec_lo, s5
	s_cbranch_execnz .LBB126_133
.LBB126_134:
	s_or_b32 exec_lo, exec_lo, s3
	s_cmp_eq_u32 s8, 0xfb
	s_wait_storecnt 0x0
	s_cselect_b32 s3, -1, 0
	s_cmp_lt_i32 s11, 2
	s_barrier_signal -1
	s_cselect_b32 s4, -1, 0
	s_barrier_wait -1
	s_or_b32 s3, s3, s4
	s_delay_alu instid0(SALU_CYCLE_1)
	s_and_b32 vcc_lo, exec_lo, s3
	s_cbranch_vccnz .LBB126_145
; %bb.135:
	s_lshl_b64 s[4:5], s[0:1], 3
	s_cmp_lg_u32 s9, 0xd5
	v_cmp_gt_i32_e64 s0, s11, v14
	s_cselect_b32 s1, -1, 0
	s_ashr_i32 s37, s36, 31
	s_ashr_i32 s39, s38, 31
	v_dual_mov_b32 v10, 0 :: v_dual_mov_b32 v2, v14
	v_min_i64 v[0:1], s[36:37], s[38:39]
	s_add_nc_u64 s[4:5], s[18:19], s[4:5]
	s_mov_b32 s7, 0
	s_and_b32 s1, s1, s0
	s_add_co_i32 s3, s11, -2
	s_add_nc_u64 s[8:9], s[4:5], 8
	s_mov_b32 s6, s7
	v_cmp_eq_u32_e32 vcc_lo, 0, v14
	s_delay_alu instid0(VALU_DEP_2)
	v_lshlrev_b64_e32 v[0:1], 4, v[0:1]
	s_branch .LBB126_137
.LBB126_136:                            ;   in Loop: Header=BB126_137 Depth=1
	s_or_b32 exec_lo, exec_lo, s16
	v_add_nc_u32_e32 v2, s15, v2
	s_add_nc_u64 s[8:9], s[8:9], 8
	s_cmp_lg_u32 s6, s3
	s_mov_b32 s6, s10
	s_wait_storecnt 0x0
	s_barrier_signal -1
	s_barrier_wait -1
	s_cbranch_scc0 .LBB126_145
.LBB126_137:                            ; =>This Loop Header: Depth=1
                                        ;     Child Loop BB126_138 Depth 2
                                        ;     Child Loop BB126_144 Depth 2
	v_mov_b32_e32 v3, s6
	s_lshl_b64 s[12:13], s[6:7], 3
	s_add_co_i32 s10, s6, 1
	s_add_nc_u64 s[12:13], s[4:5], s[12:13]
	s_mov_b64 s[16:17], s[8:9]
	global_load_b64 v[4:5], v3, s[4:5] scale_offset
	s_mov_b32 s18, s6
	s_mov_b32 s19, s10
.LBB126_138:                            ;   Parent Loop BB126_137 Depth=1
                                        ; =>  This Inner Loop Header: Depth=2
	global_load_b64 v[6:7], v10, s[16:17]
	s_wait_xcnt 0x0
	s_add_nc_u64 s[16:17], s[16:17], 8
	s_wait_loadcnt 0x0
	v_cmp_lt_f64_e64 s0, v[6:7], v[4:5]
	s_delay_alu instid0(VALU_DEP_1) | instskip(SKIP_3) | instid1(SALU_CYCLE_1)
	v_dual_cndmask_b32 v5, v5, v7, s0 :: v_dual_cndmask_b32 v4, v4, v6, s0
	s_and_b32 s20, s0, exec_lo
	s_cselect_b32 s18, s19, s18
	s_add_co_i32 s19, s19, 1
	s_cmp_lg_u32 s11, s19
	s_cbranch_scc1 .LBB126_138
; %bb.139:                              ;   in Loop: Header=BB126_137 Depth=1
	s_cmp_lg_u32 s18, s6
	s_cselect_b32 s0, -1, 0
	s_barrier_signal -1
	s_and_b32 s0, s2, s0
	s_barrier_wait -1
	s_and_saveexec_b32 s16, s0
	s_cbranch_execz .LBB126_136
; %bb.140:                              ;   in Loop: Header=BB126_137 Depth=1
	s_and_saveexec_b32 s0, vcc_lo
	s_cbranch_execz .LBB126_142
; %bb.141:                              ;   in Loop: Header=BB126_137 Depth=1
	global_load_b64 v[6:7], v10, s[12:13]
	v_mov_b32_e32 v3, s18
	s_wait_loadcnt 0x0
	s_clause 0x1
	global_store_b64 v3, v[6:7], s[4:5] scale_offset
	global_store_b64 v10, v[4:5], s[12:13]
.LBB126_142:                            ;   in Loop: Header=BB126_137 Depth=1
	s_wait_xcnt 0x0
	s_or_b32 exec_lo, exec_lo, s0
	s_delay_alu instid0(SALU_CYCLE_1)
	s_and_b32 exec_lo, exec_lo, s1
	s_cbranch_execz .LBB126_136
; %bb.143:                              ;   in Loop: Header=BB126_137 Depth=1
	v_mad_u32 v6, s18, s15, v14
	v_ashrrev_i32_e32 v3, 31, v2
	v_mov_b64_e32 v[8:9], s[34:35]
	s_mov_b32 s12, 0
	s_delay_alu instid0(VALU_DEP_2) | instskip(NEXT) | instid1(VALU_DEP_4)
	v_lshlrev_b64_e32 v[4:5], 4, v[2:3]
	v_dual_mov_b32 v3, v14 :: v_dual_ashrrev_i32 v7, 31, v6
	s_delay_alu instid0(VALU_DEP_1)
	v_lshlrev_b64_e32 v[6:7], 4, v[6:7]
.LBB126_144:                            ;   Parent Loop BB126_137 Depth=1
                                        ; =>  This Inner Loop Header: Depth=2
	s_delay_alu instid0(VALU_DEP_3) | instskip(NEXT) | instid1(VALU_DEP_2)
	v_add_nc_u64_e32 v[12:13], v[8:9], v[4:5]
	v_add_nc_u64_e32 v[24:25], v[8:9], v[6:7]
	s_delay_alu instid0(VALU_DEP_4)
	v_add_nc_u32_e32 v3, s14, v3
	v_add_nc_u64_e32 v[8:9], v[8:9], v[0:1]
	s_clause 0x1
	global_load_b128 v[16:19], v[12:13], off
	global_load_b128 v[20:23], v[24:25], off
	v_cmp_le_i32_e64 s0, s11, v3
	s_wait_loadcnt 0x1
	global_store_b128 v[24:25], v[16:19], off
	s_wait_loadcnt 0x0
	global_store_b128 v[12:13], v[20:23], off
	s_or_b32 s12, s0, s12
	s_wait_xcnt 0x0
	s_and_not1_b32 exec_lo, exec_lo, s12
	s_cbranch_execnz .LBB126_144
	s_branch .LBB126_136
.LBB126_145:
	s_endpgm
	.section	.rodata,"a",@progbits
	.p2align	6, 0x0
	.amdhsa_kernel _ZN9rocsolver6v33100L18syevj_small_kernelI19rocblas_complex_numIdEdPS3_EEv14rocblas_esort_14rocblas_evect_13rocblas_fill_iT1_iilT0_S9_PS9_iPiSA_lSB_PT_
		.amdhsa_group_segment_fixed_size 0
		.amdhsa_private_segment_fixed_size 24
		.amdhsa_kernarg_size 112
		.amdhsa_user_sgpr_count 2
		.amdhsa_user_sgpr_dispatch_ptr 0
		.amdhsa_user_sgpr_queue_ptr 0
		.amdhsa_user_sgpr_kernarg_segment_ptr 1
		.amdhsa_user_sgpr_dispatch_id 0
		.amdhsa_user_sgpr_kernarg_preload_length 0
		.amdhsa_user_sgpr_kernarg_preload_offset 0
		.amdhsa_user_sgpr_private_segment_size 0
		.amdhsa_wavefront_size32 1
		.amdhsa_uses_dynamic_stack 0
		.amdhsa_enable_private_segment 1
		.amdhsa_system_sgpr_workgroup_id_x 1
		.amdhsa_system_sgpr_workgroup_id_y 0
		.amdhsa_system_sgpr_workgroup_id_z 1
		.amdhsa_system_sgpr_workgroup_info 0
		.amdhsa_system_vgpr_workitem_id 0
		.amdhsa_next_free_vgpr 56
		.amdhsa_next_free_sgpr 63
		.amdhsa_named_barrier_count 0
		.amdhsa_reserve_vcc 1
		.amdhsa_float_round_mode_32 0
		.amdhsa_float_round_mode_16_64 0
		.amdhsa_float_denorm_mode_32 3
		.amdhsa_float_denorm_mode_16_64 3
		.amdhsa_fp16_overflow 0
		.amdhsa_memory_ordered 1
		.amdhsa_forward_progress 1
		.amdhsa_inst_pref_size 66
		.amdhsa_round_robin_scheduling 0
		.amdhsa_exception_fp_ieee_invalid_op 0
		.amdhsa_exception_fp_denorm_src 0
		.amdhsa_exception_fp_ieee_div_zero 0
		.amdhsa_exception_fp_ieee_overflow 0
		.amdhsa_exception_fp_ieee_underflow 0
		.amdhsa_exception_fp_ieee_inexact 0
		.amdhsa_exception_int_div_zero 0
	.end_amdhsa_kernel
	.section	.text._ZN9rocsolver6v33100L18syevj_small_kernelI19rocblas_complex_numIdEdPS3_EEv14rocblas_esort_14rocblas_evect_13rocblas_fill_iT1_iilT0_S9_PS9_iPiSA_lSB_PT_,"axG",@progbits,_ZN9rocsolver6v33100L18syevj_small_kernelI19rocblas_complex_numIdEdPS3_EEv14rocblas_esort_14rocblas_evect_13rocblas_fill_iT1_iilT0_S9_PS9_iPiSA_lSB_PT_,comdat
.Lfunc_end126:
	.size	_ZN9rocsolver6v33100L18syevj_small_kernelI19rocblas_complex_numIdEdPS3_EEv14rocblas_esort_14rocblas_evect_13rocblas_fill_iT1_iilT0_S9_PS9_iPiSA_lSB_PT_, .Lfunc_end126-_ZN9rocsolver6v33100L18syevj_small_kernelI19rocblas_complex_numIdEdPS3_EEv14rocblas_esort_14rocblas_evect_13rocblas_fill_iT1_iilT0_S9_PS9_iPiSA_lSB_PT_
                                        ; -- End function
	.set _ZN9rocsolver6v33100L18syevj_small_kernelI19rocblas_complex_numIdEdPS3_EEv14rocblas_esort_14rocblas_evect_13rocblas_fill_iT1_iilT0_S9_PS9_iPiSA_lSB_PT_.num_vgpr, 56
	.set _ZN9rocsolver6v33100L18syevj_small_kernelI19rocblas_complex_numIdEdPS3_EEv14rocblas_esort_14rocblas_evect_13rocblas_fill_iT1_iilT0_S9_PS9_iPiSA_lSB_PT_.num_agpr, 0
	.set _ZN9rocsolver6v33100L18syevj_small_kernelI19rocblas_complex_numIdEdPS3_EEv14rocblas_esort_14rocblas_evect_13rocblas_fill_iT1_iilT0_S9_PS9_iPiSA_lSB_PT_.numbered_sgpr, 63
	.set _ZN9rocsolver6v33100L18syevj_small_kernelI19rocblas_complex_numIdEdPS3_EEv14rocblas_esort_14rocblas_evect_13rocblas_fill_iT1_iilT0_S9_PS9_iPiSA_lSB_PT_.num_named_barrier, 0
	.set _ZN9rocsolver6v33100L18syevj_small_kernelI19rocblas_complex_numIdEdPS3_EEv14rocblas_esort_14rocblas_evect_13rocblas_fill_iT1_iilT0_S9_PS9_iPiSA_lSB_PT_.private_seg_size, 24
	.set _ZN9rocsolver6v33100L18syevj_small_kernelI19rocblas_complex_numIdEdPS3_EEv14rocblas_esort_14rocblas_evect_13rocblas_fill_iT1_iilT0_S9_PS9_iPiSA_lSB_PT_.uses_vcc, 1
	.set _ZN9rocsolver6v33100L18syevj_small_kernelI19rocblas_complex_numIdEdPS3_EEv14rocblas_esort_14rocblas_evect_13rocblas_fill_iT1_iilT0_S9_PS9_iPiSA_lSB_PT_.uses_flat_scratch, 0
	.set _ZN9rocsolver6v33100L18syevj_small_kernelI19rocblas_complex_numIdEdPS3_EEv14rocblas_esort_14rocblas_evect_13rocblas_fill_iT1_iilT0_S9_PS9_iPiSA_lSB_PT_.has_dyn_sized_stack, 0
	.set _ZN9rocsolver6v33100L18syevj_small_kernelI19rocblas_complex_numIdEdPS3_EEv14rocblas_esort_14rocblas_evect_13rocblas_fill_iT1_iilT0_S9_PS9_iPiSA_lSB_PT_.has_recursion, 0
	.set _ZN9rocsolver6v33100L18syevj_small_kernelI19rocblas_complex_numIdEdPS3_EEv14rocblas_esort_14rocblas_evect_13rocblas_fill_iT1_iilT0_S9_PS9_iPiSA_lSB_PT_.has_indirect_call, 0
	.section	.AMDGPU.csdata,"",@progbits
; Kernel info:
; codeLenInByte = 8380
; TotalNumSgprs: 65
; NumVgprs: 56
; ScratchSize: 24
; MemoryBound: 0
; FloatMode: 240
; IeeeMode: 1
; LDSByteSize: 0 bytes/workgroup (compile time only)
; SGPRBlocks: 0
; VGPRBlocks: 3
; NumSGPRsForWavesPerEU: 65
; NumVGPRsForWavesPerEU: 56
; NamedBarCnt: 0
; Occupancy: 16
; WaveLimiterHint : 0
; COMPUTE_PGM_RSRC2:SCRATCH_EN: 1
; COMPUTE_PGM_RSRC2:USER_SGPR: 2
; COMPUTE_PGM_RSRC2:TRAP_HANDLER: 0
; COMPUTE_PGM_RSRC2:TGID_X_EN: 1
; COMPUTE_PGM_RSRC2:TGID_Y_EN: 0
; COMPUTE_PGM_RSRC2:TGID_Z_EN: 1
; COMPUTE_PGM_RSRC2:TIDIG_COMP_CNT: 0
	.section	.text._ZN9rocsolver6v33100L10syevj_initI19rocblas_complex_numIdEdPS3_EEv14rocblas_evect_13rocblas_fill_iiT1_iilT0_PS8_PT_S9_PiSC_SC_,"axG",@progbits,_ZN9rocsolver6v33100L10syevj_initI19rocblas_complex_numIdEdPS3_EEv14rocblas_evect_13rocblas_fill_iiT1_iilT0_PS8_PT_S9_PiSC_SC_,comdat
	.globl	_ZN9rocsolver6v33100L10syevj_initI19rocblas_complex_numIdEdPS3_EEv14rocblas_evect_13rocblas_fill_iiT1_iilT0_PS8_PT_S9_PiSC_SC_ ; -- Begin function _ZN9rocsolver6v33100L10syevj_initI19rocblas_complex_numIdEdPS3_EEv14rocblas_evect_13rocblas_fill_iiT1_iilT0_PS8_PT_S9_PiSC_SC_
	.p2align	8
	.type	_ZN9rocsolver6v33100L10syevj_initI19rocblas_complex_numIdEdPS3_EEv14rocblas_evect_13rocblas_fill_iiT1_iilT0_PS8_PT_S9_PiSC_SC_,@function
_ZN9rocsolver6v33100L10syevj_initI19rocblas_complex_numIdEdPS3_EEv14rocblas_evect_13rocblas_fill_iiT1_iilT0_PS8_PT_S9_PiSC_SC_: ; @_ZN9rocsolver6v33100L10syevj_initI19rocblas_complex_numIdEdPS3_EEv14rocblas_evect_13rocblas_fill_iiT1_iilT0_PS8_PT_S9_PiSC_SC_
; %bb.0:
	s_clause 0x2
	s_load_b32 s2, s[0:1], 0x6c
	s_load_b256 s[20:27], s[0:1], 0x0
	s_load_b512 s[4:19], s[0:1], 0x20
	s_wait_xcnt 0x0
	s_bfe_u32 s0, ttmp6, 0x40010
	s_bfe_u32 s1, ttmp6, 0x40004
	s_add_co_i32 s0, s0, 1
	s_getreg_b32 s28, hwreg(HW_REG_IB_STS2, 6, 4)
	s_mul_i32 s0, ttmp7, s0
	s_delay_alu instid0(SALU_CYCLE_1)
	s_add_co_i32 s1, s1, s0
	s_wait_kmcnt 0x0
	s_and_b32 s33, s2, 0xffff
	s_ashr_i32 s3, s26, 31
	s_cmp_eq_u32 s28, 0
	s_mov_b32 s2, s26
	s_cselect_b32 s34, ttmp7, s1
	v_cmp_gt_i32_e64 s0, s23, v0
	s_ashr_i32 s35, s34, 31
	s_mul_i32 s1, s23, s34
	s_mul_u64 s[4:5], s[4:5], s[34:35]
	s_mul_i32 s30, s1, s23
	s_lshl_b64 s[28:29], s[4:5], 4
	s_ashr_i32 s31, s30, 31
	s_lshl_b64 s[2:3], s[2:3], 4
	s_add_nc_u64 s[4:5], s[24:25], s[28:29]
	s_lshl_b64 s[30:31], s[30:31], 4
	s_cmp_eq_u32 s21, 0x79
	s_add_nc_u64 s[4:5], s[4:5], s[2:3]
	s_add_nc_u64 s[10:11], s[10:11], s[30:31]
	s_cbranch_scc1 .LBB127_12
; %bb.1:
	v_mov_b64_e32 v[14:15], 0
	v_mov_b64_e32 v[16:17], 0
	s_and_saveexec_b32 s1, s0
	s_cbranch_execz .LBB127_14
; %bb.2:
	v_dual_mov_b32 v2, 0 :: v_dual_lshlrev_b32 v4, 4, v0
	s_add_nc_u64 s[2:3], s[28:29], s[2:3]
	v_mul_lo_u32 v1, v0, s27
	s_add_nc_u64 s[2:3], s[24:25], s[2:3]
	s_delay_alu instid0(VALU_DEP_2) | instskip(SKIP_3) | instid1(VALU_DEP_3)
	v_dual_mov_b32 v5, v2 :: v_dual_mov_b32 v28, v0
	v_mul_lo_u32 v20, v0, s23
	s_add_co_i32 s21, s23, 1
	v_mov_b64_e32 v[14:15], 0
	v_add_nc_u64_e32 v[6:7], s[2:3], v[4:5]
	v_add_nc_u64_e32 v[4:5], s[10:11], v[4:5]
	v_mov_b64_e32 v[16:17], 0
	s_cmp_lg_u32 s20, 0xd5
	v_mov_b32_e32 v3, 0x3ff00000
	s_mov_b32 s28, 0
	s_mov_b32 s24, s27
	v_add_nc_u64_e32 v[18:19], 8, v[6:7]
	v_add_nc_u64_e32 v[22:23], 8, v[4:5]
	s_cselect_b32 s40, -1, 0
	s_ashr_i32 s25, s27, 31
	s_ashr_i32 s31, s23, 31
	s_mov_b32 s30, s23
	s_mul_i32 s26, s27, s33
	s_mov_b32 s3, s28
	s_lshl_b32 s2, s33, 4
	s_lshl_b64 s[24:25], s[24:25], 4
	s_add_nc_u64 s[36:37], s[10:11], 8
	s_mul_i32 s41, s23, s33
	s_lshl_b64 s[38:39], s[30:31], 4
	s_mov_b32 s42, 0
	s_branch .LBB127_5
.LBB127_3:                              ;   in Loop: Header=BB127_5 Depth=1
	s_or_b32 exec_lo, exec_lo, s44
.LBB127_4:                              ;   in Loop: Header=BB127_5 Depth=1
	s_delay_alu instid0(SALU_CYCLE_1)
	s_or_b32 exec_lo, exec_lo, s43
	v_mul_f64_e32 v[4:5], v[8:9], v[8:9]
	v_dual_add_nc_u32 v28, s33, v28 :: v_dual_add_nc_u32 v1, s26, v1
	v_add_nc_u64_e32 v[18:19], s[2:3], v[18:19]
	v_add_nc_u64_e32 v[22:23], s[2:3], v[22:23]
	v_add_nc_u32_e32 v20, s41, v20
	s_delay_alu instid0(VALU_DEP_4) | instskip(SKIP_2) | instid1(VALU_DEP_1)
	v_cmp_le_i32_e32 vcc_lo, s23, v28
	s_or_b32 s42, vcc_lo, s42
	v_fmac_f64_e32 v[4:5], v[6:7], v[6:7]
	v_add_f64_e32 v[16:17], v[16:17], v[4:5]
	s_and_not1_b32 exec_lo, exec_lo, s42
	s_cbranch_execz .LBB127_13
.LBB127_5:                              ; =>This Loop Header: Depth=1
                                        ;     Child Loop BB127_10 Depth 2
	v_mad_u32 v10, v28, s27, v28
	v_mul_lo_u32 v4, v28, s21
	s_and_not1_b32 vcc_lo, exec_lo, s40
	global_load_b128 v[6:9], v10, s[4:5] scale_offset
	s_wait_loadcnt 0x0
	global_store_b128 v4, v[6:9], s[10:11] scale_offset
	s_cbranch_vccnz .LBB127_7
; %bb.6:                                ;   in Loop: Header=BB127_5 Depth=1
	s_wait_xcnt 0x0
	v_dual_mov_b32 v4, v2 :: v_dual_ashrrev_i32 v11, 31, v10
	v_mov_b32_e32 v5, v2
	s_delay_alu instid0(VALU_DEP_2)
	v_lshl_add_u64 v[10:11], v[10:11], 4, s[4:5]
	global_store_b128 v[10:11], v[2:5], off
.LBB127_7:                              ;   in Loop: Header=BB127_5 Depth=1
	s_mov_b32 s43, exec_lo
	s_wait_xcnt 0x0
	v_cmpx_ne_u32_e32 0, v28
	s_cbranch_execz .LBB127_4
; %bb.8:                                ;   in Loop: Header=BB127_5 Depth=1
	v_ashrrev_i32_e32 v21, 31, v20
	v_mov_b64_e32 v[4:5], v[22:23]
	v_mov_b64_e32 v[26:27], v[18:19]
	s_mov_b32 s44, 0
	s_mov_b32 s45, 0
	v_lshl_add_u64 v[24:25], v[20:21], 4, s[36:37]
	s_branch .LBB127_10
.LBB127_9:                              ;   in Loop: Header=BB127_10 Depth=2
	s_wait_xcnt 0x1
	v_mul_f64_e32 v[12:13], v[12:13], v[12:13]
	s_add_co_i32 s45, s45, 1
	v_add_nc_u64_e32 v[26:27], s[24:25], v[26:27]
	s_wait_xcnt 0x0
	v_add_nc_u64_e32 v[24:25], 16, v[24:25]
	v_cmp_eq_u32_e32 vcc_lo, s45, v28
	v_add_nc_u64_e32 v[4:5], s[38:39], v[4:5]
	s_or_b32 s44, vcc_lo, s44
	v_fmac_f64_e32 v[12:13], v[10:11], v[10:11]
	s_delay_alu instid0(VALU_DEP_1)
	v_fmac_f64_e32 v[14:15], 2.0, v[12:13]
	s_and_not1_b32 exec_lo, exec_lo, s44
	s_cbranch_execz .LBB127_3
.LBB127_10:                             ;   Parent Loop BB127_5 Depth=1
                                        ; =>  This Inner Loop Header: Depth=2
	global_load_b128 v[10:13], v[26:27], off offset:-8
	s_and_not1_b32 vcc_lo, exec_lo, s40
	s_wait_loadcnt 0x0
	v_xor_b32_e32 v21, 0x80000000, v13
	v_mov_b64_e32 v[32:33], v[12:13]
	v_mov_b64_e32 v[30:31], v[10:11]
	s_delay_alu instid0(VALU_DEP_3)
	v_mov_b32_e32 v33, v21
	global_store_b128 v[4:5], v[10:13], off offset:-8
	global_store_b128 v[24:25], v[30:33], off offset:-8
	s_cbranch_vccnz .LBB127_9
; %bb.11:                               ;   in Loop: Header=BB127_10 Depth=2
	s_mov_b32 s30, s28
	s_mov_b32 s31, s28
	;; [unrolled: 1-line block ×3, first 2 shown]
	s_wait_xcnt 0x0
	v_mov_b64_e32 v[32:33], s[30:31]
	v_mov_b64_e32 v[30:31], s[28:29]
	v_add_nc_u32_e32 v21, s45, v1
	global_store_b128 v[26:27], v[30:33], off offset:-8
	global_store_b128 v21, v[30:33], s[4:5] scale_offset
	s_branch .LBB127_9
.LBB127_12:
                                        ; implicit-def: $vgpr14_vgpr15
                                        ; implicit-def: $vgpr16_vgpr17
	s_branch .LBB127_15
.LBB127_13:
	s_or_b32 exec_lo, exec_lo, s42
.LBB127_14:
	s_delay_alu instid0(SALU_CYCLE_1)
	s_or_b32 exec_lo, exec_lo, s1
	s_cbranch_execnz .LBB127_28
.LBB127_15:
	v_mov_b64_e32 v[14:15], 0
	v_mov_b64_e32 v[16:17], 0
	s_and_saveexec_b32 s24, s0
	s_cbranch_execz .LBB127_27
; %bb.16:
	s_add_co_i32 s25, s23, 1
	s_cmp_lg_u32 s20, 0xd5
	v_mul_lo_u32 v23, v0, s27
	s_cselect_b32 s26, -1, 0
	s_add_co_i32 s28, s23, -1
	v_mov_b64_e32 v[14:15], 0
	v_mad_u32 v1, s27, s28, v0
	v_mad_u32 v22, s23, s28, v0
	;; [unrolled: 1-line block ×3, first 2 shown]
	v_mov_b64_e32 v[16:17], 0
	v_dual_mov_b32 v2, 0 :: v_dual_mov_b32 v3, 0x3ff00000
	v_mov_b32_e32 v24, v0
	s_mul_i32 s29, s27, s33
	s_add_nc_u64 s[20:21], s[10:11], 8
	s_mul_i32 s30, s23, s33
	s_mov_b32 s0, 0
	s_mov_b32 s31, 0
	s_branch .LBB127_19
.LBB127_17:                             ;   in Loop: Header=BB127_19 Depth=1
	s_or_b32 exec_lo, exec_lo, s37
.LBB127_18:                             ;   in Loop: Header=BB127_19 Depth=1
	s_delay_alu instid0(SALU_CYCLE_1) | instskip(SKIP_3) | instid1(VALU_DEP_2)
	s_or_b32 exec_lo, exec_lo, s36
	v_dual_mul_f64 v[4:5], v[8:9], v[8:9] :: v_dual_add_nc_u32 v22, s33, v22
	v_dual_add_nc_u32 v24, s33, v24 :: v_dual_add_nc_u32 v1, s33, v1
	v_dual_add_nc_u32 v18, s30, v18 :: v_dual_add_nc_u32 v23, s29, v23
	v_cmp_le_i32_e32 vcc_lo, s23, v24
	s_or_b32 s31, vcc_lo, s31
	s_delay_alu instid0(VALU_DEP_4) | instskip(NEXT) | instid1(VALU_DEP_1)
	v_fmac_f64_e32 v[4:5], v[6:7], v[6:7]
	v_add_f64_e32 v[16:17], v[16:17], v[4:5]
	s_and_not1_b32 exec_lo, exec_lo, s31
	s_cbranch_execz .LBB127_26
.LBB127_19:                             ; =>This Loop Header: Depth=1
                                        ;     Child Loop BB127_24 Depth 2
	v_mad_u32 v10, v24, s27, v24
	v_mul_lo_u32 v4, v24, s25
	s_and_not1_b32 vcc_lo, exec_lo, s26
	global_load_b128 v[6:9], v10, s[4:5] scale_offset
	s_wait_loadcnt 0x0
	global_store_b128 v4, v[6:9], s[10:11] scale_offset
	s_cbranch_vccnz .LBB127_21
; %bb.20:                               ;   in Loop: Header=BB127_19 Depth=1
	s_wait_xcnt 0x0
	v_dual_mov_b32 v4, v2 :: v_dual_ashrrev_i32 v11, 31, v10
	v_mov_b32_e32 v5, v2
	s_delay_alu instid0(VALU_DEP_2)
	v_lshl_add_u64 v[10:11], v[10:11], 4, s[4:5]
	global_store_b128 v[10:11], v[2:5], off
.LBB127_21:                             ;   in Loop: Header=BB127_19 Depth=1
	s_mov_b32 s36, exec_lo
	s_wait_xcnt 0x0
	v_cmpx_gt_i32_e64 s28, v24
	s_cbranch_execz .LBB127_18
; %bb.22:                               ;   in Loop: Header=BB127_19 Depth=1
	v_dual_ashrrev_i32 v19, 31, v18 :: v_dual_mov_b32 v25, v22
	v_mov_b32_e32 v20, v1
	s_mov_b32 s37, 0
	s_mov_b32 s38, s28
	s_delay_alu instid0(VALU_DEP_2)
	v_lshl_add_u64 v[4:5], v[18:19], 4, s[20:21]
	s_branch .LBB127_24
.LBB127_23:                             ;   in Loop: Header=BB127_24 Depth=2
	s_wait_xcnt 0x1
	v_mul_f64_e32 v[12:13], v[12:13], v[12:13]
	s_add_co_i32 s38, s38, -1
	s_wait_xcnt 0x0
	v_add_nc_u64_e32 v[4:5], -16, v[4:5]
	v_cmp_le_i32_e32 vcc_lo, s38, v24
	v_subrev_nc_u32_e32 v20, s27, v20
	v_subrev_nc_u32_e32 v25, s23, v25
	s_or_b32 s37, vcc_lo, s37
	v_fmac_f64_e32 v[12:13], v[10:11], v[10:11]
	s_delay_alu instid0(VALU_DEP_1)
	v_fmac_f64_e32 v[14:15], 2.0, v[12:13]
	s_and_not1_b32 exec_lo, exec_lo, s37
	s_cbranch_execz .LBB127_17
.LBB127_24:                             ;   Parent Loop BB127_19 Depth=1
                                        ; =>  This Inner Loop Header: Depth=2
	global_load_b128 v[10:13], v20, s[4:5] scale_offset
	s_and_not1_b32 vcc_lo, exec_lo, s26
	s_wait_loadcnt 0x0
	v_xor_b32_e32 v19, 0x80000000, v13
	v_mov_b64_e32 v[28:29], v[12:13]
	v_mov_b64_e32 v[26:27], v[10:11]
	s_delay_alu instid0(VALU_DEP_3)
	v_mov_b32_e32 v29, v19
	global_store_b128 v25, v[10:13], s[10:11] scale_offset
	global_store_b128 v[4:5], v[26:29], off offset:-8
	s_cbranch_vccnz .LBB127_23
; %bb.25:                               ;   in Loop: Header=BB127_24 Depth=2
	v_dual_ashrrev_i32 v21, 31, v20 :: v_dual_add_nc_u32 v19, s38, v23
	s_mov_b32 s2, s0
	s_mov_b32 s3, s0
	;; [unrolled: 1-line block ×3, first 2 shown]
	s_wait_xcnt 0x0
	v_mov_b64_e32 v[28:29], s[2:3]
	v_mov_b64_e32 v[26:27], s[0:1]
	v_lshl_add_u64 v[30:31], v[20:21], 4, s[4:5]
	s_clause 0x1
	global_store_b128 v[30:31], v[26:29], off
	global_store_b128 v19, v[26:29], s[4:5] scale_offset
	s_branch .LBB127_23
.LBB127_26:
	s_or_b32 exec_lo, exec_lo, s31
.LBB127_27:
	s_delay_alu instid0(SALU_CYCLE_1)
	s_or_b32 exec_lo, exec_lo, s24
.LBB127_28:
	v_lshlrev_b32_e32 v1, 3, v0
	s_lshl_b32 s1, s33, 3
	s_mov_b32 s0, exec_lo
	s_delay_alu instid0(VALU_DEP_1)
	v_add_nc_u32_e32 v2, 0, v1
	v_add3_u32 v1, 0, s1, v1
	ds_store_b64 v2, v[14:15]
	ds_store_b64 v1, v[16:17]
	s_wait_storecnt_dscnt 0x0
	s_barrier_signal -1
	s_barrier_wait -1
	v_cmpx_eq_u32_e32 0, v0
	s_cbranch_execz .LBB127_40
; %bb.29:
	s_min_i32 s2, s23, s33
	s_delay_alu instid0(SALU_CYCLE_1)
	s_cmp_lt_i32 s2, 2
	s_cbranch_scc1 .LBB127_37
; %bb.30:
	s_add_co_i32 s3, s2, -2
	s_add_co_i32 s2, s2, -1
	s_cmp_lt_u32 s3, 7
	s_cbranch_scc1 .LBB127_34
; %bb.31:
	s_and_b32 s3, s2, -8
	s_mov_b32 s5, 0
	s_add_co_i32 s4, 0, 8
.LBB127_32:                             ; =>This Inner Loop Header: Depth=1
	s_delay_alu instid0(SALU_CYCLE_1) | instskip(NEXT) | instid1(SALU_CYCLE_1)
	s_add_co_i32 s10, s4, s1
	v_dual_mov_b32 v1, s4 :: v_dual_mov_b32 v22, s10
	s_mov_b32 s10, s5
	s_add_co_i32 s5, s5, 8
	s_add_co_i32 s4, s4, 64
	ds_load_2addr_b64 v[2:5], v1 offset1:1
	ds_load_2addr_b64 v[6:9], v22 offset1:1
	ds_load_2addr_b64 v[10:13], v1 offset0:2 offset1:3
	ds_load_2addr_b64 v[18:21], v22 offset0:2 offset1:3
	s_cmp_lg_u32 s3, s5
	s_wait_dscnt 0x3
	v_add_f64_e32 v[2:3], v[14:15], v[2:3]
	s_wait_dscnt 0x2
	v_add_f64_e32 v[6:7], v[16:17], v[6:7]
	s_delay_alu instid0(VALU_DEP_2) | instskip(NEXT) | instid1(VALU_DEP_2)
	v_add_f64_e32 v[2:3], v[2:3], v[4:5]
	v_add_f64_e32 v[4:5], v[6:7], v[8:9]
	s_wait_dscnt 0x1
	s_delay_alu instid0(VALU_DEP_2) | instskip(SKIP_1) | instid1(VALU_DEP_2)
	v_add_f64_e32 v[2:3], v[2:3], v[10:11]
	s_wait_dscnt 0x0
	v_add_f64_e32 v[4:5], v[4:5], v[18:19]
	s_delay_alu instid0(VALU_DEP_2) | instskip(NEXT) | instid1(VALU_DEP_2)
	v_add_f64_e32 v[18:19], v[2:3], v[12:13]
	v_add_f64_e32 v[20:21], v[4:5], v[20:21]
	ds_load_2addr_b64 v[2:5], v1 offset0:4 offset1:5
	ds_load_2addr_b64 v[6:9], v22 offset0:4 offset1:5
	;; [unrolled: 1-line block ×4, first 2 shown]
	s_wait_dscnt 0x3
	v_add_f64_e32 v[2:3], v[18:19], v[2:3]
	s_wait_dscnt 0x2
	v_add_f64_e32 v[6:7], v[20:21], v[6:7]
	s_delay_alu instid0(VALU_DEP_2) | instskip(NEXT) | instid1(VALU_DEP_2)
	v_add_f64_e32 v[2:3], v[2:3], v[4:5]
	v_add_f64_e32 v[4:5], v[6:7], v[8:9]
	s_wait_dscnt 0x1
	s_delay_alu instid0(VALU_DEP_2) | instskip(SKIP_1) | instid1(VALU_DEP_2)
	v_add_f64_e32 v[2:3], v[2:3], v[10:11]
	s_wait_dscnt 0x0
	v_add_f64_e32 v[4:5], v[4:5], v[14:15]
	s_delay_alu instid0(VALU_DEP_2) | instskip(NEXT) | instid1(VALU_DEP_2)
	v_add_f64_e32 v[14:15], v[2:3], v[12:13]
	v_add_f64_e32 v[16:17], v[4:5], v[16:17]
	s_cbranch_scc1 .LBB127_32
; %bb.33:
	s_add_co_i32 s3, s10, 9
	s_and_b32 s2, s2, 7
	s_delay_alu instid0(SALU_CYCLE_1)
	s_cmp_eq_u32 s2, 0
	s_cbranch_scc0 .LBB127_35
	s_branch .LBB127_37
.LBB127_34:
	s_mov_b32 s3, 1
	s_and_b32 s2, s2, 7
	s_delay_alu instid0(SALU_CYCLE_1)
	s_cmp_eq_u32 s2, 0
	s_cbranch_scc1 .LBB127_37
.LBB127_35:
	s_lshl_b32 s3, s3, 3
	s_delay_alu instid0(SALU_CYCLE_1)
	s_add_co_i32 s3, s3, 0
.LBB127_36:                             ; =>This Inner Loop Header: Depth=1
	s_delay_alu instid0(SALU_CYCLE_1) | instskip(NEXT) | instid1(SALU_CYCLE_1)
	s_add_co_i32 s4, s3, s1
	v_dual_mov_b32 v1, s3 :: v_dual_mov_b32 v4, s4
	s_add_co_i32 s2, s2, -1
	s_add_co_i32 s3, s3, 8
	s_cmp_lg_u32 s2, 0
	ds_load_b64 v[2:3], v1
	ds_load_b64 v[4:5], v4
	s_wait_dscnt 0x1
	v_add_f64_e32 v[14:15], v[14:15], v[2:3]
	s_wait_dscnt 0x0
	v_add_f64_e32 v[16:17], v[16:17], v[4:5]
	s_cbranch_scc1 .LBB127_36
.LBB127_37:
	s_delay_alu instid0(VALU_DEP_1) | instskip(SKIP_1) | instid1(SALU_CYCLE_1)
	v_dual_add_f64 v[2:3], v[16:17], v[14:15] :: v_dual_mov_b32 v1, 0
	s_lshl_b64 s[2:3], s[34:35], 3
	s_add_nc_u64 s[4:5], s[12:13], s[2:3]
	s_add_nc_u64 s[2:3], s[8:9], s[2:3]
	s_delay_alu instid0(VALU_DEP_1) | instskip(NEXT) | instid1(VALU_DEP_1)
	v_mul_f64_e32 v[2:3], s[6:7], v[2:3]
	v_mul_f64_e32 v[2:3], s[6:7], v[2:3]
	s_clause 0x2
	global_store_b64 v1, v[2:3], s[4:5]
	global_store_b64 v1, v[14:15], s[2:3]
	global_load_b64 v[2:3], v1, s[4:5]
	s_wait_loadcnt 0x0
	v_cmp_lt_f64_e32 vcc_lo, v[14:15], v[2:3]
	s_wait_xcnt 0x0
	s_and_b32 exec_lo, exec_lo, vcc_lo
	s_cbranch_execz .LBB127_40
; %bb.38:
	s_mov_b32 s1, exec_lo
	v_mov_b32_e32 v3, 1
	v_mbcnt_lo_u32_b32 v2, s1, 0
	s_lshl_b64 s[2:3], s[34:35], 2
	s_delay_alu instid0(SALU_CYCLE_1) | instskip(SKIP_4) | instid1(SALU_CYCLE_1)
	s_add_nc_u64 s[2:3], s[18:19], s[2:3]
	global_store_b32 v1, v3, s[2:3] offset:4
	v_cmp_eq_u32_e32 vcc_lo, 0, v2
	s_wait_xcnt 0x0
	s_and_b32 s2, exec_lo, vcc_lo
	s_mov_b32 exec_lo, s2
	s_cbranch_execz .LBB127_40
; %bb.39:
	s_bcnt1_i32_b32 s1, s1
	s_delay_alu instid0(SALU_CYCLE_1)
	v_dual_mov_b32 v1, 0 :: v_dual_mov_b32 v2, s1
	global_atomic_add_u32 v1, v2, s[18:19] scope:SCOPE_DEV
.LBB127_40:
	s_wait_xcnt 0x0
	s_or_b32 exec_lo, exec_lo, s0
	s_cmp_eq_u32 s34, 0
	v_cmp_gt_i32_e32 vcc_lo, s22, v0
	s_cselect_b32 s0, -1, 0
	s_cmp_lg_u64 s[14:15], 0
	s_cselect_b32 s1, -1, 0
	s_cmp_lg_u64 s[16:17], 0
	s_cselect_b32 s2, -1, 0
	s_delay_alu instid0(SALU_CYCLE_1) | instskip(NEXT) | instid1(SALU_CYCLE_1)
	s_and_b32 s1, s1, s2
	s_and_b32 s0, s1, s0
	s_mov_b32 s1, 0
	s_and_b32 s0, s0, vcc_lo
	s_delay_alu instid0(SALU_CYCLE_1)
	s_and_saveexec_b32 s2, s0
	s_cbranch_execz .LBB127_43
; %bb.41:
	v_dual_lshlrev_b32 v1, 1, v0 :: v_dual_lshlrev_b32 v2, 2, v0
	v_mov_b32_e32 v3, 0
	s_lshl_b32 s2, s33, 1
	s_lshl_b32 s0, s33, 2
	s_mov_b32 s3, s1
.LBB127_42:                             ; =>This Inner Loop Header: Depth=1
	v_dual_add_nc_u32 v0, s33, v0 :: v_dual_add_nc_u32 v8, 1, v1
	v_add_nc_u64_e32 v[4:5], s[14:15], v[2:3]
	v_add_nc_u64_e32 v[6:7], s[16:17], v[2:3]
	v_add_nc_u64_e32 v[2:3], s[0:1], v[2:3]
	s_delay_alu instid0(VALU_DEP_4)
	v_cmp_le_i32_e32 vcc_lo, s22, v0
	global_store_b32 v[4:5], v1, off
	s_wait_xcnt 0x0
	v_add_nc_u32_e32 v1, s2, v1
	s_or_b32 s3, vcc_lo, s3
	global_store_b32 v[6:7], v8, off
	s_wait_xcnt 0x0
	s_and_not1_b32 exec_lo, exec_lo, s3
	s_cbranch_execnz .LBB127_42
.LBB127_43:
	s_endpgm
	.section	.rodata,"a",@progbits
	.p2align	6, 0x0
	.amdhsa_kernel _ZN9rocsolver6v33100L10syevj_initI19rocblas_complex_numIdEdPS3_EEv14rocblas_evect_13rocblas_fill_iiT1_iilT0_PS8_PT_S9_PiSC_SC_
		.amdhsa_group_segment_fixed_size 0
		.amdhsa_private_segment_fixed_size 0
		.amdhsa_kernarg_size 352
		.amdhsa_user_sgpr_count 2
		.amdhsa_user_sgpr_dispatch_ptr 0
		.amdhsa_user_sgpr_queue_ptr 0
		.amdhsa_user_sgpr_kernarg_segment_ptr 1
		.amdhsa_user_sgpr_dispatch_id 0
		.amdhsa_user_sgpr_kernarg_preload_length 0
		.amdhsa_user_sgpr_kernarg_preload_offset 0
		.amdhsa_user_sgpr_private_segment_size 0
		.amdhsa_wavefront_size32 1
		.amdhsa_uses_dynamic_stack 0
		.amdhsa_enable_private_segment 0
		.amdhsa_system_sgpr_workgroup_id_x 1
		.amdhsa_system_sgpr_workgroup_id_y 1
		.amdhsa_system_sgpr_workgroup_id_z 0
		.amdhsa_system_sgpr_workgroup_info 0
		.amdhsa_system_vgpr_workitem_id 0
		.amdhsa_next_free_vgpr 34
		.amdhsa_next_free_sgpr 46
		.amdhsa_named_barrier_count 0
		.amdhsa_reserve_vcc 1
		.amdhsa_float_round_mode_32 0
		.amdhsa_float_round_mode_16_64 0
		.amdhsa_float_denorm_mode_32 3
		.amdhsa_float_denorm_mode_16_64 3
		.amdhsa_fp16_overflow 0
		.amdhsa_memory_ordered 1
		.amdhsa_forward_progress 1
		.amdhsa_inst_pref_size 17
		.amdhsa_round_robin_scheduling 0
		.amdhsa_exception_fp_ieee_invalid_op 0
		.amdhsa_exception_fp_denorm_src 0
		.amdhsa_exception_fp_ieee_div_zero 0
		.amdhsa_exception_fp_ieee_overflow 0
		.amdhsa_exception_fp_ieee_underflow 0
		.amdhsa_exception_fp_ieee_inexact 0
		.amdhsa_exception_int_div_zero 0
	.end_amdhsa_kernel
	.section	.text._ZN9rocsolver6v33100L10syevj_initI19rocblas_complex_numIdEdPS3_EEv14rocblas_evect_13rocblas_fill_iiT1_iilT0_PS8_PT_S9_PiSC_SC_,"axG",@progbits,_ZN9rocsolver6v33100L10syevj_initI19rocblas_complex_numIdEdPS3_EEv14rocblas_evect_13rocblas_fill_iiT1_iilT0_PS8_PT_S9_PiSC_SC_,comdat
.Lfunc_end127:
	.size	_ZN9rocsolver6v33100L10syevj_initI19rocblas_complex_numIdEdPS3_EEv14rocblas_evect_13rocblas_fill_iiT1_iilT0_PS8_PT_S9_PiSC_SC_, .Lfunc_end127-_ZN9rocsolver6v33100L10syevj_initI19rocblas_complex_numIdEdPS3_EEv14rocblas_evect_13rocblas_fill_iiT1_iilT0_PS8_PT_S9_PiSC_SC_
                                        ; -- End function
	.set _ZN9rocsolver6v33100L10syevj_initI19rocblas_complex_numIdEdPS3_EEv14rocblas_evect_13rocblas_fill_iiT1_iilT0_PS8_PT_S9_PiSC_SC_.num_vgpr, 34
	.set _ZN9rocsolver6v33100L10syevj_initI19rocblas_complex_numIdEdPS3_EEv14rocblas_evect_13rocblas_fill_iiT1_iilT0_PS8_PT_S9_PiSC_SC_.num_agpr, 0
	.set _ZN9rocsolver6v33100L10syevj_initI19rocblas_complex_numIdEdPS3_EEv14rocblas_evect_13rocblas_fill_iiT1_iilT0_PS8_PT_S9_PiSC_SC_.numbered_sgpr, 46
	.set _ZN9rocsolver6v33100L10syevj_initI19rocblas_complex_numIdEdPS3_EEv14rocblas_evect_13rocblas_fill_iiT1_iilT0_PS8_PT_S9_PiSC_SC_.num_named_barrier, 0
	.set _ZN9rocsolver6v33100L10syevj_initI19rocblas_complex_numIdEdPS3_EEv14rocblas_evect_13rocblas_fill_iiT1_iilT0_PS8_PT_S9_PiSC_SC_.private_seg_size, 0
	.set _ZN9rocsolver6v33100L10syevj_initI19rocblas_complex_numIdEdPS3_EEv14rocblas_evect_13rocblas_fill_iiT1_iilT0_PS8_PT_S9_PiSC_SC_.uses_vcc, 1
	.set _ZN9rocsolver6v33100L10syevj_initI19rocblas_complex_numIdEdPS3_EEv14rocblas_evect_13rocblas_fill_iiT1_iilT0_PS8_PT_S9_PiSC_SC_.uses_flat_scratch, 0
	.set _ZN9rocsolver6v33100L10syevj_initI19rocblas_complex_numIdEdPS3_EEv14rocblas_evect_13rocblas_fill_iiT1_iilT0_PS8_PT_S9_PiSC_SC_.has_dyn_sized_stack, 0
	.set _ZN9rocsolver6v33100L10syevj_initI19rocblas_complex_numIdEdPS3_EEv14rocblas_evect_13rocblas_fill_iiT1_iilT0_PS8_PT_S9_PiSC_SC_.has_recursion, 0
	.set _ZN9rocsolver6v33100L10syevj_initI19rocblas_complex_numIdEdPS3_EEv14rocblas_evect_13rocblas_fill_iiT1_iilT0_PS8_PT_S9_PiSC_SC_.has_indirect_call, 0
	.section	.AMDGPU.csdata,"",@progbits
; Kernel info:
; codeLenInByte = 2116
; TotalNumSgprs: 48
; NumVgprs: 34
; ScratchSize: 0
; MemoryBound: 0
; FloatMode: 240
; IeeeMode: 1
; LDSByteSize: 0 bytes/workgroup (compile time only)
; SGPRBlocks: 0
; VGPRBlocks: 2
; NumSGPRsForWavesPerEU: 48
; NumVGPRsForWavesPerEU: 34
; NamedBarCnt: 0
; Occupancy: 16
; WaveLimiterHint : 0
; COMPUTE_PGM_RSRC2:SCRATCH_EN: 0
; COMPUTE_PGM_RSRC2:USER_SGPR: 2
; COMPUTE_PGM_RSRC2:TRAP_HANDLER: 0
; COMPUTE_PGM_RSRC2:TGID_X_EN: 1
; COMPUTE_PGM_RSRC2:TGID_Y_EN: 1
; COMPUTE_PGM_RSRC2:TGID_Z_EN: 0
; COMPUTE_PGM_RSRC2:TIDIG_COMP_CNT: 0
	.section	.text._ZN9rocsolver6v33100L17syevj_diag_kernelI19rocblas_complex_numIdEdPS3_EEviT1_iilT0_PT_Pi,"axG",@progbits,_ZN9rocsolver6v33100L17syevj_diag_kernelI19rocblas_complex_numIdEdPS3_EEviT1_iilT0_PT_Pi,comdat
	.globl	_ZN9rocsolver6v33100L17syevj_diag_kernelI19rocblas_complex_numIdEdPS3_EEviT1_iilT0_PT_Pi ; -- Begin function _ZN9rocsolver6v33100L17syevj_diag_kernelI19rocblas_complex_numIdEdPS3_EEviT1_iilT0_PT_Pi
	.p2align	8
	.type	_ZN9rocsolver6v33100L17syevj_diag_kernelI19rocblas_complex_numIdEdPS3_EEviT1_iilT0_PT_Pi,@function
_ZN9rocsolver6v33100L17syevj_diag_kernelI19rocblas_complex_numIdEdPS3_EEviT1_iilT0_PT_Pi: ; @_ZN9rocsolver6v33100L17syevj_diag_kernelI19rocblas_complex_numIdEdPS3_EEviT1_iilT0_PT_Pi
; %bb.0:
	s_load_b256 s[4:11], s[0:1], 0x18
	s_bfe_u32 s2, ttmp6, 0x40014
	s_lshr_b32 s3, ttmp7, 16
	s_add_co_i32 s2, s2, 1
	s_bfe_u32 s13, ttmp6, 0x40008
	s_mul_i32 s12, s3, s2
	s_getreg_b32 s2, hwreg(HW_REG_IB_STS2, 6, 4)
	s_add_co_i32 s13, s13, s12
	s_cmp_eq_u32 s2, 0
	s_cselect_b32 s12, s3, s13
	s_mov_b32 s13, 0
	s_wait_kmcnt 0x0
	s_load_b32 s3, s[10:11], s12 offset:0x4 scale_offset
	s_wait_kmcnt 0x0
	s_cmp_lg_u32 s3, 0
	s_cbranch_scc1 .LBB128_58
; %bb.1:
	s_clause 0x1
	s_load_b32 s18, s[0:1], 0x0
	s_load_b32 s3, s[0:1], 0x44
	s_bfe_u32 s10, ttmp6, 0x4000c
	s_and_b32 s11, ttmp6, 15
	s_add_co_i32 s10, s10, 1
	v_and_b32_e32 v22, 0x3ff, v0
	s_mul_i32 s10, ttmp9, s10
	v_bfe_u32 v1, v0, 10, 10
	s_add_co_i32 s11, s11, s10
	s_cmp_eq_u32 s2, 0
	s_cselect_b32 s2, ttmp9, s11
	s_delay_alu instid0(VALU_DEP_1)
	v_max_i32_e32 v0, v22, v1
	s_wait_kmcnt 0x0
	s_add_co_i32 s10, s18, -1
	s_and_b32 s3, s3, 0xffff
	s_lshr_b32 s11, s10, 31
	s_lshl_b32 s14, s3, 1
	s_add_co_i32 s10, s10, s11
	s_mul_i32 s19, s14, s2
	s_and_b32 s3, s10, -2
	s_mov_b32 s10, exec_lo
	s_sub_co_i32 s3, s3, s19
	s_delay_alu instid0(SALU_CYCLE_1) | instskip(NEXT) | instid1(SALU_CYCLE_1)
	s_add_co_i32 s3, s3, 2
	s_min_i32 s3, s14, s3
	s_delay_alu instid0(SALU_CYCLE_1) | instskip(NEXT) | instid1(SALU_CYCLE_1)
	s_ashr_i32 s15, s3, 1
	v_cmpx_gt_i32_e64 s15, v0
	s_cbranch_execz .LBB128_58
; %bb.2:
	s_cmp_eq_u64 s[8:9], 0
	s_mov_b64 s[16:17], 0
	s_cbranch_scc1 .LBB128_4
; %bb.3:
	s_add_nc_u64 s[10:11], s[0:1], 56
	s_load_b32 s10, s[10:11], 0x0
	s_wait_kmcnt 0x0
	s_mul_i32 s10, s10, s12
	s_delay_alu instid0(SALU_CYCLE_1) | instskip(NEXT) | instid1(SALU_CYCLE_1)
	s_add_co_i32 s10, s10, s2
	s_mul_i32 s2, s14, s10
	s_delay_alu instid0(SALU_CYCLE_1) | instskip(NEXT) | instid1(SALU_CYCLE_1)
	s_mul_i32 s10, s2, s14
	s_ashr_i32 s11, s10, 31
	s_delay_alu instid0(SALU_CYCLE_1) | instskip(NEXT) | instid1(SALU_CYCLE_1)
	s_lshl_b64 s[10:11], s[10:11], 4
	s_add_nc_u64 s[16:17], s[8:9], s[10:11]
.LBB128_4:
	v_dual_lshlrev_b32 v2, 1, v22 :: v_dual_lshlrev_b32 v0, 1, v1
	s_cmp_lg_u64 s[16:17], 0
	s_cselect_b32 s20, -1, 0
	s_cmp_eq_u64 s[16:17], 0
	s_cbranch_scc1 .LBB128_6
; %bb.5:
	s_mov_b32 s8, 0
	v_cmp_eq_u32_e32 vcc_lo, v2, v0
	v_mad_u32_u24 v3, s14, v0, v2
	v_mov_b32_e32 v4, 0
	s_mov_b32 s9, s8
	s_mov_b32 s10, s8
	;; [unrolled: 1-line block ×3, first 2 shown]
	v_mov_b64_e32 v[8:9], s[8:9]
	v_mov_b64_e32 v[10:11], s[10:11]
	v_cndmask_b32_e64 v5, 0, 0x3ff00000, vcc_lo
	v_dual_add_nc_u32 v12, s14, v3 :: v_dual_mov_b32 v6, v4
	v_mov_b32_e32 v7, v4
	s_clause 0x3
	global_store_b128 v3, v[4:7], s[16:17] scale_offset
	global_store_b128 v12, v[8:11], s[16:17] scale_offset
	global_store_b128 v3, v[8:11], s[16:17] offset:16 scale_offset
	global_store_b128 v12, v[4:7], s[16:17] offset:16 scale_offset
.LBB128_6:
	v_add_nc_u32_e32 v23, s19, v2
	s_lshl_b32 s2, s15, 3
	s_lshl_b32 s8, s15, 4
	s_add_co_i32 s23, s2, 0
	v_cmp_eq_u32_e64 s2, 0, v1
	v_dual_lshlrev_b32 v1, 2, v22 :: v_dual_bitop2_b32 v24, 1, v23 bitop3:0x54
	s_add_co_i32 s22, s23, s8
	s_lshl_b32 s8, s15, 2
	s_delay_alu instid0(SALU_CYCLE_1)
	s_add_co_i32 s21, s22, s8
	s_wait_xcnt 0x0
	s_and_saveexec_b32 s8, s2
	s_cbranch_execz .LBB128_8
; %bb.7:
	v_dual_add_nc_u32 v2, s22, v1 :: v_dual_add_nc_u32 v3, s21, v1
	ds_store_b32 v2, v23
	ds_store_b32 v3, v24
.LBB128_8:
	s_or_b32 exec_lo, exec_lo, s8
	s_cmp_lt_i32 s3, 2
	s_cbranch_scc1 .LBB128_58
; %bb.9:
	v_div_scale_f64 v[2:3], null, s[6:7], s[6:7], 0x100000
	s_mov_b64 s[8:9], 0x10000000000000
	v_dual_add_nc_u32 v25, s19, v0 :: v_dual_add_nc_u32 v30, s21, v1
	v_mul_u32_u24_e32 v29, s14, v0
	v_mad_u32_u24 v32, s14, v0, s14
	s_mul_u64 s[4:5], s[4:5], s[12:13]
	s_add_co_i32 s15, s15, -1
	s_lshl_b64 s[4:5], s[4:5], 4
	v_add_nc_u32_e32 v31, s22, v1
	v_lshl_add_u32 v27, v22, 3, 0
	v_lshl_add_u32 v28, v22, 4, s23
	s_mov_b32 s12, 0
                                        ; implicit-def: $vgpr14_vgpr15
                                        ; implicit-def: $vgpr10_vgpr11
                                        ; implicit-def: $vgpr12_vgpr13
	s_delay_alu instid0(VALU_DEP_3) | instskip(SKIP_2) | instid1(TRANS32_DEP_1)
	v_dual_add_nc_u32 v0, 4, v30 :: v_dual_add_nc_u32 v34, -4, v31
	v_rcp_f64_e32 v[4:5], v[2:3]
	v_nop
	v_fma_f64 v[6:7], -v[2:3], v[4:5], 1.0
	s_delay_alu instid0(VALU_DEP_1) | instskip(NEXT) | instid1(VALU_DEP_1)
	v_fmac_f64_e32 v[4:5], v[4:5], v[6:7]
	v_fma_f64 v[6:7], -v[2:3], v[4:5], 1.0
	s_delay_alu instid0(VALU_DEP_1)
	v_fmac_f64_e32 v[4:5], v[4:5], v[6:7]
	v_div_scale_f64 v[6:7], vcc_lo, s[8:9], s[6:7], s[8:9]
	s_load_b128 s[8:11], s[0:1], 0x8
	s_wait_kmcnt 0x0
	v_mul_lo_u32 v26, v25, s11
	s_ashr_i32 s1, s10, 31
	s_mov_b32 s0, s10
	s_add_nc_u64 s[4:5], s[8:9], s[4:5]
	s_lshl_b64 s[0:1], s[0:1], 4
	s_add_co_i32 s8, s3, -1
	s_delay_alu instid0(VALU_DEP_1) | instskip(NEXT) | instid1(VALU_DEP_1)
	v_dual_mul_f64 v[8:9], v[6:7], v[4:5] :: v_dual_add_nc_u32 v33, s11, v26
	v_fma_f64 v[2:3], -v[2:3], v[8:9], v[6:7]
	s_delay_alu instid0(VALU_DEP_1) | instskip(SKIP_1) | instid1(VALU_DEP_2)
	v_div_fmas_f64 v[2:3], v[2:3], v[4:5], v[8:9]
	v_cmp_eq_u32_e32 vcc_lo, s15, v22
	v_div_fixup_f64 v[8:9], v[2:3], s[6:7], 0x100000
	v_or_b32_e32 v2, 1, v25
	s_add_nc_u64 s[6:7], s[4:5], s[0:1]
	s_add_co_i32 s1, s21, -4
	s_add_co_i32 s5, s11, 1
	v_cndmask_b32_e64 v35, v0, s1, vcc_lo
	v_cmp_gt_i32_e64 s0, s18, v2
                                        ; implicit-def: $vgpr2_vgpr3
	s_branch .LBB128_11
.LBB128_10:                             ;   in Loop: Header=BB128_11 Depth=1
	s_or_b32 exec_lo, exec_lo, s1
	s_add_co_i32 s8, s8, -1
	s_delay_alu instid0(SALU_CYCLE_1)
	s_cmp_lg_u32 s8, 0
	s_cbranch_scc0 .LBB128_58
.LBB128_11:                             ; =>This Inner Loop Header: Depth=1
	v_cmp_gt_i32_e64 s1, s18, v23
	v_cmp_gt_i32_e64 s3, s18, v24
	s_and_b32 s4, s2, s1
	s_delay_alu instid0(SALU_CYCLE_1) | instskip(NEXT) | instid1(SALU_CYCLE_1)
	s_and_b32 s9, s4, s3
	s_and_saveexec_b32 s10, s9
	s_cbranch_execz .LBB128_37
; %bb.12:                               ;   in Loop: Header=BB128_11 Depth=1
	v_mul_lo_u32 v18, v24, s11
	s_mov_b32 s4, exec_lo
                                        ; implicit-def: $vgpr16_vgpr17
	s_delay_alu instid0(VALU_DEP_1)
	v_add_nc_u32_e32 v0, v23, v18
	global_load_b128 v[4:7], v0, s[6:7] scale_offset
	s_wait_loadcnt 0x0
	v_cmp_gt_f64_e32 vcc_lo, 0, v[4:5]
	v_xor_b32_e32 v1, 0x80000000, v5
	v_xor_b32_e32 v2, 0x80000000, v7
	s_delay_alu instid0(VALU_DEP_2) | instskip(SKIP_2) | instid1(VALU_DEP_3)
	v_cndmask_b32_e32 v1, v5, v1, vcc_lo
	v_cmp_gt_f64_e32 vcc_lo, 0, v[6:7]
	s_wait_xcnt 0x0
	v_dual_mov_b32 v0, v4 :: v_dual_cndmask_b32 v3, v7, v2
	v_mov_b32_e32 v2, v6
	s_delay_alu instid0(VALU_DEP_1)
	v_cmpx_ngt_f64_e32 v[0:1], v[2:3]
	s_xor_b32 s4, exec_lo, s4
	s_cbranch_execz .LBB128_16
; %bb.13:                               ;   in Loop: Header=BB128_11 Depth=1
	v_mov_b64_e32 v[16:17], 0
	s_mov_b32 s13, exec_lo
	v_cmpx_neq_f64_e32 0, v[6:7]
	s_cbranch_execz .LBB128_15
; %bb.14:                               ;   in Loop: Header=BB128_11 Depth=1
	v_div_scale_f64 v[14:15], null, v[2:3], v[2:3], v[0:1]
	v_div_scale_f64 v[36:37], vcc_lo, v[0:1], v[2:3], v[0:1]
	s_delay_alu instid0(VALU_DEP_2) | instskip(SKIP_1) | instid1(TRANS32_DEP_1)
	v_rcp_f64_e32 v[16:17], v[14:15]
	v_nop
	v_fma_f64 v[20:21], -v[14:15], v[16:17], 1.0
	s_delay_alu instid0(VALU_DEP_1) | instskip(NEXT) | instid1(VALU_DEP_1)
	v_fmac_f64_e32 v[16:17], v[16:17], v[20:21]
	v_fma_f64 v[20:21], -v[14:15], v[16:17], 1.0
	s_delay_alu instid0(VALU_DEP_1) | instskip(NEXT) | instid1(VALU_DEP_1)
	v_fmac_f64_e32 v[16:17], v[16:17], v[20:21]
	v_mul_f64_e32 v[20:21], v[36:37], v[16:17]
	s_delay_alu instid0(VALU_DEP_1) | instskip(NEXT) | instid1(VALU_DEP_1)
	v_fma_f64 v[14:15], -v[14:15], v[20:21], v[36:37]
	v_div_fmas_f64 v[14:15], v[14:15], v[16:17], v[20:21]
	s_delay_alu instid0(VALU_DEP_1) | instskip(NEXT) | instid1(VALU_DEP_1)
	v_div_fixup_f64 v[0:1], v[14:15], v[2:3], v[0:1]
	v_fma_f64 v[0:1], v[0:1], v[0:1], 1.0
	s_delay_alu instid0(VALU_DEP_1) | instskip(SKIP_1) | instid1(VALU_DEP_1)
	v_cmp_gt_f64_e32 vcc_lo, 0x10000000, v[0:1]
	v_cndmask_b32_e64 v14, 0, 0x100, vcc_lo
	v_ldexp_f64 v[0:1], v[0:1], v14
	s_delay_alu instid0(VALU_DEP_1) | instskip(SKIP_1) | instid1(TRANS32_DEP_1)
	v_rsq_f64_e32 v[14:15], v[0:1]
	v_nop
	v_mul_f64_e32 v[16:17], v[0:1], v[14:15]
	v_mul_f64_e32 v[14:15], 0.5, v[14:15]
	s_delay_alu instid0(VALU_DEP_1) | instskip(NEXT) | instid1(VALU_DEP_1)
	v_fma_f64 v[20:21], -v[14:15], v[16:17], 0.5
	v_fmac_f64_e32 v[16:17], v[16:17], v[20:21]
	v_fmac_f64_e32 v[14:15], v[14:15], v[20:21]
	s_delay_alu instid0(VALU_DEP_2) | instskip(NEXT) | instid1(VALU_DEP_1)
	v_fma_f64 v[20:21], -v[16:17], v[16:17], v[0:1]
	v_fmac_f64_e32 v[16:17], v[20:21], v[14:15]
	s_delay_alu instid0(VALU_DEP_1) | instskip(NEXT) | instid1(VALU_DEP_1)
	v_fma_f64 v[20:21], -v[16:17], v[16:17], v[0:1]
	v_fmac_f64_e32 v[16:17], v[20:21], v[14:15]
	v_cndmask_b32_e64 v14, 0, 0xffffff80, vcc_lo
	v_cmp_class_f64_e64 vcc_lo, v[0:1], 0x260
	s_delay_alu instid0(VALU_DEP_2) | instskip(NEXT) | instid1(VALU_DEP_1)
	v_ldexp_f64 v[14:15], v[16:17], v14
	v_dual_cndmask_b32 v1, v15, v1 :: v_dual_cndmask_b32 v0, v14, v0
	s_delay_alu instid0(VALU_DEP_1)
	v_mul_f64_e32 v[16:17], v[2:3], v[0:1]
.LBB128_15:                             ;   in Loop: Header=BB128_11 Depth=1
	s_or_b32 exec_lo, exec_lo, s13
                                        ; implicit-def: $vgpr0_vgpr1
                                        ; implicit-def: $vgpr2_vgpr3
.LBB128_16:                             ;   in Loop: Header=BB128_11 Depth=1
	s_and_not1_saveexec_b32 s4, s4
	s_cbranch_execz .LBB128_18
; %bb.17:                               ;   in Loop: Header=BB128_11 Depth=1
	v_div_scale_f64 v[14:15], null, v[0:1], v[0:1], v[2:3]
	v_div_scale_f64 v[36:37], vcc_lo, v[2:3], v[0:1], v[2:3]
	s_delay_alu instid0(VALU_DEP_2) | instskip(SKIP_1) | instid1(TRANS32_DEP_1)
	v_rcp_f64_e32 v[16:17], v[14:15]
	v_nop
	v_fma_f64 v[20:21], -v[14:15], v[16:17], 1.0
	s_delay_alu instid0(VALU_DEP_1) | instskip(NEXT) | instid1(VALU_DEP_1)
	v_fmac_f64_e32 v[16:17], v[16:17], v[20:21]
	v_fma_f64 v[20:21], -v[14:15], v[16:17], 1.0
	s_delay_alu instid0(VALU_DEP_1) | instskip(NEXT) | instid1(VALU_DEP_1)
	v_fmac_f64_e32 v[16:17], v[16:17], v[20:21]
	v_mul_f64_e32 v[20:21], v[36:37], v[16:17]
	s_delay_alu instid0(VALU_DEP_1) | instskip(NEXT) | instid1(VALU_DEP_1)
	v_fma_f64 v[14:15], -v[14:15], v[20:21], v[36:37]
	v_div_fmas_f64 v[14:15], v[14:15], v[16:17], v[20:21]
	s_delay_alu instid0(VALU_DEP_1) | instskip(NEXT) | instid1(VALU_DEP_1)
	v_div_fixup_f64 v[2:3], v[14:15], v[0:1], v[2:3]
	v_fma_f64 v[2:3], v[2:3], v[2:3], 1.0
	s_delay_alu instid0(VALU_DEP_1) | instskip(SKIP_1) | instid1(VALU_DEP_1)
	v_cmp_gt_f64_e32 vcc_lo, 0x10000000, v[2:3]
	v_cndmask_b32_e64 v14, 0, 0x100, vcc_lo
	v_ldexp_f64 v[2:3], v[2:3], v14
	s_delay_alu instid0(VALU_DEP_1) | instskip(SKIP_1) | instid1(TRANS32_DEP_1)
	v_rsq_f64_e32 v[14:15], v[2:3]
	v_nop
	v_mul_f64_e32 v[16:17], v[2:3], v[14:15]
	v_mul_f64_e32 v[14:15], 0.5, v[14:15]
	s_delay_alu instid0(VALU_DEP_1) | instskip(NEXT) | instid1(VALU_DEP_1)
	v_fma_f64 v[20:21], -v[14:15], v[16:17], 0.5
	v_fmac_f64_e32 v[16:17], v[16:17], v[20:21]
	v_fmac_f64_e32 v[14:15], v[14:15], v[20:21]
	s_delay_alu instid0(VALU_DEP_2) | instskip(NEXT) | instid1(VALU_DEP_1)
	v_fma_f64 v[20:21], -v[16:17], v[16:17], v[2:3]
	v_fmac_f64_e32 v[16:17], v[20:21], v[14:15]
	s_delay_alu instid0(VALU_DEP_1) | instskip(NEXT) | instid1(VALU_DEP_1)
	v_fma_f64 v[20:21], -v[16:17], v[16:17], v[2:3]
	v_fmac_f64_e32 v[16:17], v[20:21], v[14:15]
	v_cndmask_b32_e64 v14, 0, 0xffffff80, vcc_lo
	v_cmp_class_f64_e64 vcc_lo, v[2:3], 0x260
	s_delay_alu instid0(VALU_DEP_2) | instskip(NEXT) | instid1(VALU_DEP_1)
	v_ldexp_f64 v[14:15], v[16:17], v14
	v_dual_cndmask_b32 v3, v15, v3 :: v_dual_cndmask_b32 v2, v14, v2
	s_delay_alu instid0(VALU_DEP_1)
	v_mul_f64_e32 v[16:17], v[0:1], v[2:3]
.LBB128_18:                             ;   in Loop: Header=BB128_11 Depth=1
	s_or_b32 exec_lo, exec_lo, s4
	s_delay_alu instid0(VALU_DEP_1) | instskip(SKIP_2) | instid1(VALU_DEP_3)
	v_mul_f64_e32 v[0:1], v[16:17], v[16:17]
	v_mov_b64_e32 v[2:3], 0
	v_mov_b64_e32 v[14:15], 1.0
	v_cmp_nlt_f64_e32 vcc_lo, v[0:1], v[8:9]
	v_mov_b64_e32 v[0:1], 0
	s_and_saveexec_b32 s13, vcc_lo
	s_cbranch_execz .LBB128_36
; %bb.19:                               ;   in Loop: Header=BB128_11 Depth=1
	v_mul_lo_u32 v0, v23, s5
	v_add_nc_u32_e32 v2, v18, v24
	s_delay_alu instid0(VALU_DEP_1) | instskip(NEXT) | instid1(VALU_DEP_1)
	v_dual_ashrrev_i32 v3, 31, v2 :: v_dual_ashrrev_i32 v1, 31, v0
	v_lshl_add_u64 v[2:3], v[2:3], 4, s[6:7]
	s_delay_alu instid0(VALU_DEP_2)
	v_lshl_add_u64 v[0:1], v[0:1], 4, s[6:7]
	s_clause 0x1
	global_load_b64 v[14:15], v[0:1], off
	global_load_b64 v[18:19], v[2:3], off
	s_wait_xcnt 0x1
	v_add_f64_e32 v[0:1], v[16:17], v[16:17]
	s_delay_alu instid0(VALU_DEP_1) | instskip(SKIP_2) | instid1(VALU_DEP_1)
	v_cmp_class_f64_e64 s14, v[0:1], 0x204
	s_wait_loadcnt 0x0
	v_add_f64_e64 v[2:3], v[18:19], -v[14:15]
	v_max_num_f64_e64 v[14:15], |v[2:3]|, |v[0:1]|
	v_cmp_ngt_f64_e64 s4, 0, v[2:3]
	v_cmp_class_f64_e64 s15, v[2:3], 0x204
	s_delay_alu instid0(VALU_DEP_3) | instskip(NEXT) | instid1(VALU_DEP_1)
	v_frexp_exp_i32_f64_e32 v18, v[14:15]
	v_sub_nc_u32_e32 v19, 0, v18
	s_delay_alu instid0(VALU_DEP_1) | instskip(SKIP_1) | instid1(VALU_DEP_2)
	v_ldexp_f64 v[14:15], |v[0:1]|, v19
	v_ldexp_f64 v[20:21], |v[2:3]|, v19
	v_mul_f64_e32 v[14:15], v[14:15], v[14:15]
	s_delay_alu instid0(VALU_DEP_1) | instskip(NEXT) | instid1(VALU_DEP_1)
	v_fmac_f64_e32 v[14:15], v[20:21], v[20:21]
	v_rsq_f64_e32 v[20:21], v[14:15]
	v_cmp_eq_f64_e32 vcc_lo, 0, v[14:15]
	s_delay_alu instid0(TRANS32_DEP_1) | instskip(SKIP_1) | instid1(VALU_DEP_1)
	v_mul_f64_e32 v[36:37], v[14:15], v[20:21]
	v_mul_f64_e32 v[20:21], 0.5, v[20:21]
	v_fma_f64 v[38:39], -v[20:21], v[36:37], 0.5
	s_delay_alu instid0(VALU_DEP_1) | instskip(SKIP_1) | instid1(VALU_DEP_2)
	v_fmac_f64_e32 v[36:37], v[36:37], v[38:39]
	v_fmac_f64_e32 v[20:21], v[20:21], v[38:39]
	v_fma_f64 v[38:39], -v[36:37], v[36:37], v[14:15]
	s_delay_alu instid0(VALU_DEP_1) | instskip(NEXT) | instid1(VALU_DEP_1)
	v_fmac_f64_e32 v[36:37], v[38:39], v[20:21]
                                        ; implicit-def: $vgpr20_vgpr21
	v_dual_cndmask_b32 v15, v37, v15 :: v_dual_cndmask_b32 v14, v36, v14
	s_and_saveexec_b32 s22, s4
	s_delay_alu instid0(SALU_CYCLE_1)
	s_xor_b32 s4, exec_lo, s22
	s_cbranch_execz .LBB128_21
; %bb.20:                               ;   in Loop: Header=BB128_11 Depth=1
	s_delay_alu instid0(VALU_DEP_1) | instskip(SKIP_2) | instid1(VALU_DEP_2)
	v_ldexp_f64 v[14:15], v[14:15], v18
	v_cmp_o_f64_e32 vcc_lo, v[2:3], v[0:1]
	s_or_b32 s22, s14, s15
                                        ; implicit-def: $vgpr18
	v_cndmask_b32_e32 v14, 0, v14, vcc_lo
	s_delay_alu instid0(VALU_DEP_3) | instskip(NEXT) | instid1(VALU_DEP_2)
	v_cndmask_b32_e32 v15, 0x7ff80000, v15, vcc_lo
	v_cndmask_b32_e64 v20, v14, 0, s22
	s_delay_alu instid0(VALU_DEP_2)
	v_cndmask_b32_e64 v21, v15, 0x7ff00000, s22
                                        ; implicit-def: $vgpr14_vgpr15
.LBB128_21:                             ;   in Loop: Header=BB128_11 Depth=1
	s_and_not1_saveexec_b32 s4, s4
	s_cbranch_execz .LBB128_23
; %bb.22:                               ;   in Loop: Header=BB128_11 Depth=1
	v_ldexp_f64 v[14:15], -v[14:15], v18
	v_cmp_o_f64_e32 vcc_lo, v[0:1], v[0:1]
	s_or_b32 s14, s14, s15
	s_delay_alu instid0(VALU_DEP_2) | instskip(NEXT) | instid1(VALU_DEP_3)
	v_cndmask_b32_e32 v14, 0, v14, vcc_lo
	v_cndmask_b32_e32 v15, 0xfff80000, v15, vcc_lo
	s_delay_alu instid0(VALU_DEP_2) | instskip(NEXT) | instid1(VALU_DEP_2)
	v_cndmask_b32_e64 v20, v14, 0, s14
	v_cndmask_b32_e64 v21, v15, 0xfff00000, s14
.LBB128_23:                             ;   in Loop: Header=BB128_11 Depth=1
	s_or_b32 exec_lo, exec_lo, s4
	v_mov_b64_e32 v[18:19], 0
	v_mov_b64_e32 v[14:15], 1.0
	s_mov_b32 s4, exec_lo
	v_cmpx_neq_f64_e32 0, v[0:1]
	s_cbranch_execz .LBB128_31
; %bb.24:                               ;   in Loop: Header=BB128_11 Depth=1
	v_add_f64_e32 v[2:3], v[2:3], v[20:21]
	v_mov_b64_e32 v[14:15], 0
	v_mov_b64_e32 v[18:19], 1.0
	s_mov_b32 s14, exec_lo
	s_delay_alu instid0(VALU_DEP_3)
	v_cmpx_neq_f64_e32 0, v[2:3]
	s_cbranch_execz .LBB128_30
; %bb.25:                               ;   in Loop: Header=BB128_11 Depth=1
	v_cmp_ngt_f64_e64 s15, |v[0:1]|, |v[2:3]|
                                        ; implicit-def: $vgpr14_vgpr15
                                        ; implicit-def: $vgpr18_vgpr19
	s_and_saveexec_b32 s22, s15
	s_delay_alu instid0(SALU_CYCLE_1)
	s_xor_b32 s15, exec_lo, s22
	s_cbranch_execz .LBB128_27
; %bb.26:                               ;   in Loop: Header=BB128_11 Depth=1
	v_div_scale_f64 v[14:15], null, v[2:3], v[2:3], -v[0:1]
	v_div_scale_f64 v[36:37], vcc_lo, -v[0:1], v[2:3], -v[0:1]
	s_delay_alu instid0(VALU_DEP_2) | instskip(SKIP_1) | instid1(TRANS32_DEP_1)
	v_rcp_f64_e32 v[18:19], v[14:15]
	v_nop
	v_fma_f64 v[20:21], -v[14:15], v[18:19], 1.0
	s_delay_alu instid0(VALU_DEP_1) | instskip(NEXT) | instid1(VALU_DEP_1)
	v_fmac_f64_e32 v[18:19], v[18:19], v[20:21]
	v_fma_f64 v[20:21], -v[14:15], v[18:19], 1.0
	s_delay_alu instid0(VALU_DEP_1) | instskip(NEXT) | instid1(VALU_DEP_1)
	v_fmac_f64_e32 v[18:19], v[18:19], v[20:21]
	v_mul_f64_e32 v[20:21], v[36:37], v[18:19]
	s_delay_alu instid0(VALU_DEP_1) | instskip(NEXT) | instid1(VALU_DEP_1)
	v_fma_f64 v[14:15], -v[14:15], v[20:21], v[36:37]
	v_div_fmas_f64 v[14:15], v[14:15], v[18:19], v[20:21]
	s_delay_alu instid0(VALU_DEP_1) | instskip(NEXT) | instid1(VALU_DEP_1)
	v_div_fixup_f64 v[0:1], v[14:15], v[2:3], -v[0:1]
	v_fma_f64 v[2:3], v[0:1], v[0:1], 1.0
	s_delay_alu instid0(VALU_DEP_1) | instskip(SKIP_1) | instid1(VALU_DEP_1)
	v_cmp_gt_f64_e32 vcc_lo, 0x10000000, v[2:3]
	v_cndmask_b32_e64 v14, 0, 0x100, vcc_lo
	v_ldexp_f64 v[2:3], v[2:3], v14
	s_delay_alu instid0(VALU_DEP_1) | instskip(SKIP_1) | instid1(TRANS32_DEP_1)
	v_rsq_f64_e32 v[14:15], v[2:3]
	v_nop
	v_mul_f64_e32 v[18:19], v[2:3], v[14:15]
	v_mul_f64_e32 v[14:15], 0.5, v[14:15]
	s_delay_alu instid0(VALU_DEP_1) | instskip(NEXT) | instid1(VALU_DEP_1)
	v_fma_f64 v[20:21], -v[14:15], v[18:19], 0.5
	v_fmac_f64_e32 v[18:19], v[18:19], v[20:21]
	v_fmac_f64_e32 v[14:15], v[14:15], v[20:21]
	s_delay_alu instid0(VALU_DEP_2) | instskip(NEXT) | instid1(VALU_DEP_1)
	v_fma_f64 v[20:21], -v[18:19], v[18:19], v[2:3]
	v_fmac_f64_e32 v[18:19], v[20:21], v[14:15]
	s_delay_alu instid0(VALU_DEP_1) | instskip(NEXT) | instid1(VALU_DEP_1)
	v_fma_f64 v[20:21], -v[18:19], v[18:19], v[2:3]
	v_fmac_f64_e32 v[18:19], v[20:21], v[14:15]
	v_cndmask_b32_e64 v14, 0, 0xffffff80, vcc_lo
	v_cmp_class_f64_e64 vcc_lo, v[2:3], 0x260
	s_delay_alu instid0(VALU_DEP_2) | instskip(NEXT) | instid1(VALU_DEP_1)
	v_ldexp_f64 v[14:15], v[18:19], v14
	v_dual_cndmask_b32 v3, v15, v3 :: v_dual_cndmask_b32 v2, v14, v2
	s_delay_alu instid0(VALU_DEP_1) | instskip(NEXT) | instid1(VALU_DEP_1)
	v_div_scale_f64 v[14:15], null, v[2:3], v[2:3], 1.0
	v_rcp_f64_e32 v[18:19], v[14:15]
	v_nop
	s_delay_alu instid0(TRANS32_DEP_1) | instskip(NEXT) | instid1(VALU_DEP_1)
	v_fma_f64 v[20:21], -v[14:15], v[18:19], 1.0
	v_fmac_f64_e32 v[18:19], v[18:19], v[20:21]
	s_delay_alu instid0(VALU_DEP_1) | instskip(NEXT) | instid1(VALU_DEP_1)
	v_fma_f64 v[20:21], -v[14:15], v[18:19], 1.0
	v_fmac_f64_e32 v[18:19], v[18:19], v[20:21]
	v_div_scale_f64 v[20:21], vcc_lo, 1.0, v[2:3], 1.0
	s_delay_alu instid0(VALU_DEP_1) | instskip(NEXT) | instid1(VALU_DEP_1)
	v_mul_f64_e32 v[36:37], v[20:21], v[18:19]
	v_fma_f64 v[14:15], -v[14:15], v[36:37], v[20:21]
	s_delay_alu instid0(VALU_DEP_1) | instskip(NEXT) | instid1(VALU_DEP_1)
	v_div_fmas_f64 v[14:15], v[14:15], v[18:19], v[36:37]
	v_div_fixup_f64 v[14:15], v[14:15], v[2:3], 1.0
                                        ; implicit-def: $vgpr2_vgpr3
	s_delay_alu instid0(VALU_DEP_1)
	v_mul_f64_e32 v[18:19], v[0:1], v[14:15]
                                        ; implicit-def: $vgpr0_vgpr1
.LBB128_27:                             ;   in Loop: Header=BB128_11 Depth=1
	s_and_not1_saveexec_b32 s15, s15
	s_cbranch_execz .LBB128_29
; %bb.28:                               ;   in Loop: Header=BB128_11 Depth=1
	v_div_scale_f64 v[14:15], null, v[0:1], v[0:1], -v[2:3]
	v_div_scale_f64 v[36:37], vcc_lo, -v[2:3], v[0:1], -v[2:3]
	s_delay_alu instid0(VALU_DEP_2) | instskip(SKIP_1) | instid1(TRANS32_DEP_1)
	v_rcp_f64_e32 v[18:19], v[14:15]
	v_nop
	v_fma_f64 v[20:21], -v[14:15], v[18:19], 1.0
	s_delay_alu instid0(VALU_DEP_1) | instskip(NEXT) | instid1(VALU_DEP_1)
	v_fmac_f64_e32 v[18:19], v[18:19], v[20:21]
	v_fma_f64 v[20:21], -v[14:15], v[18:19], 1.0
	s_delay_alu instid0(VALU_DEP_1) | instskip(NEXT) | instid1(VALU_DEP_1)
	v_fmac_f64_e32 v[18:19], v[18:19], v[20:21]
	v_mul_f64_e32 v[20:21], v[36:37], v[18:19]
	s_delay_alu instid0(VALU_DEP_1) | instskip(NEXT) | instid1(VALU_DEP_1)
	v_fma_f64 v[14:15], -v[14:15], v[20:21], v[36:37]
	v_div_fmas_f64 v[14:15], v[14:15], v[18:19], v[20:21]
	s_delay_alu instid0(VALU_DEP_1) | instskip(NEXT) | instid1(VALU_DEP_1)
	v_div_fixup_f64 v[0:1], v[14:15], v[0:1], -v[2:3]
	v_fma_f64 v[2:3], v[0:1], v[0:1], 1.0
	s_delay_alu instid0(VALU_DEP_1) | instskip(SKIP_1) | instid1(VALU_DEP_1)
	v_cmp_gt_f64_e32 vcc_lo, 0x10000000, v[2:3]
	v_cndmask_b32_e64 v14, 0, 0x100, vcc_lo
	v_ldexp_f64 v[2:3], v[2:3], v14
	s_delay_alu instid0(VALU_DEP_1) | instskip(SKIP_1) | instid1(TRANS32_DEP_1)
	v_rsq_f64_e32 v[14:15], v[2:3]
	v_nop
	v_mul_f64_e32 v[18:19], v[2:3], v[14:15]
	v_mul_f64_e32 v[14:15], 0.5, v[14:15]
	s_delay_alu instid0(VALU_DEP_1) | instskip(NEXT) | instid1(VALU_DEP_1)
	v_fma_f64 v[20:21], -v[14:15], v[18:19], 0.5
	v_fmac_f64_e32 v[18:19], v[18:19], v[20:21]
	v_fmac_f64_e32 v[14:15], v[14:15], v[20:21]
	s_delay_alu instid0(VALU_DEP_2) | instskip(NEXT) | instid1(VALU_DEP_1)
	v_fma_f64 v[20:21], -v[18:19], v[18:19], v[2:3]
	v_fmac_f64_e32 v[18:19], v[20:21], v[14:15]
	s_delay_alu instid0(VALU_DEP_1) | instskip(NEXT) | instid1(VALU_DEP_1)
	v_fma_f64 v[20:21], -v[18:19], v[18:19], v[2:3]
	v_fmac_f64_e32 v[18:19], v[20:21], v[14:15]
	v_cndmask_b32_e64 v14, 0, 0xffffff80, vcc_lo
	v_cmp_class_f64_e64 vcc_lo, v[2:3], 0x260
	s_delay_alu instid0(VALU_DEP_2) | instskip(NEXT) | instid1(VALU_DEP_1)
	v_ldexp_f64 v[14:15], v[18:19], v14
	v_dual_cndmask_b32 v3, v15, v3 :: v_dual_cndmask_b32 v2, v14, v2
	s_delay_alu instid0(VALU_DEP_1) | instskip(NEXT) | instid1(VALU_DEP_1)
	v_div_scale_f64 v[14:15], null, v[2:3], v[2:3], 1.0
	v_rcp_f64_e32 v[18:19], v[14:15]
	v_nop
	s_delay_alu instid0(TRANS32_DEP_1) | instskip(NEXT) | instid1(VALU_DEP_1)
	v_fma_f64 v[20:21], -v[14:15], v[18:19], 1.0
	v_fmac_f64_e32 v[18:19], v[18:19], v[20:21]
	s_delay_alu instid0(VALU_DEP_1) | instskip(NEXT) | instid1(VALU_DEP_1)
	v_fma_f64 v[20:21], -v[14:15], v[18:19], 1.0
	v_fmac_f64_e32 v[18:19], v[18:19], v[20:21]
	v_div_scale_f64 v[20:21], vcc_lo, 1.0, v[2:3], 1.0
	s_delay_alu instid0(VALU_DEP_1) | instskip(NEXT) | instid1(VALU_DEP_1)
	v_mul_f64_e32 v[36:37], v[20:21], v[18:19]
	v_fma_f64 v[14:15], -v[14:15], v[36:37], v[20:21]
	s_delay_alu instid0(VALU_DEP_1) | instskip(NEXT) | instid1(VALU_DEP_1)
	v_div_fmas_f64 v[14:15], v[14:15], v[18:19], v[36:37]
	v_div_fixup_f64 v[18:19], v[14:15], v[2:3], 1.0
	s_delay_alu instid0(VALU_DEP_1)
	v_mul_f64_e32 v[14:15], v[0:1], v[18:19]
.LBB128_29:                             ;   in Loop: Header=BB128_11 Depth=1
	s_or_b32 exec_lo, exec_lo, s15
.LBB128_30:                             ;   in Loop: Header=BB128_11 Depth=1
	s_delay_alu instid0(SALU_CYCLE_1)
	s_or_b32 exec_lo, exec_lo, s14
.LBB128_31:                             ;   in Loop: Header=BB128_11 Depth=1
	s_delay_alu instid0(SALU_CYCLE_1) | instskip(NEXT) | instid1(VALU_DEP_1)
	s_or_b32 exec_lo, exec_lo, s4
	v_mul_f64_e32 v[4:5], v[4:5], v[18:19]
	v_mul_f64_e32 v[6:7], v[6:7], v[18:19]
	s_mov_b32 s4, exec_lo
                                        ; implicit-def: $vgpr2_vgpr3
	v_cmpx_lg_f64_e32 0, v[16:17]
	s_xor_b32 s4, exec_lo, s4
	s_cbranch_execz .LBB128_33
; %bb.32:                               ;   in Loop: Header=BB128_11 Depth=1
	v_div_scale_f64 v[0:1], null, v[16:17], v[16:17], 0
	v_div_scale_f64 v[20:21], vcc_lo, 0, v[16:17], 0
	s_delay_alu instid0(VALU_DEP_2) | instskip(SKIP_1) | instid1(TRANS32_DEP_1)
	v_rcp_f64_e32 v[2:3], v[0:1]
	v_nop
	v_fma_f64 v[18:19], -v[0:1], v[2:3], 1.0
	s_delay_alu instid0(VALU_DEP_1) | instskip(NEXT) | instid1(VALU_DEP_1)
	v_fmac_f64_e32 v[2:3], v[2:3], v[18:19]
	v_fma_f64 v[18:19], -v[0:1], v[2:3], 1.0
	s_delay_alu instid0(VALU_DEP_1) | instskip(NEXT) | instid1(VALU_DEP_1)
	v_fmac_f64_e32 v[2:3], v[2:3], v[18:19]
	v_mul_f64_e32 v[18:19], v[20:21], v[2:3]
	s_delay_alu instid0(VALU_DEP_1) | instskip(NEXT) | instid1(VALU_DEP_1)
	v_fma_f64 v[0:1], -v[0:1], v[18:19], v[20:21]
	v_div_fmas_f64 v[0:1], v[0:1], v[2:3], v[18:19]
	s_delay_alu instid0(VALU_DEP_1) | instskip(NEXT) | instid1(VALU_DEP_1)
	v_div_fixup_f64 v[0:1], v[0:1], v[16:17], 0
	v_fmac_f64_e32 v[16:17], 0, v[0:1]
	s_delay_alu instid0(VALU_DEP_1) | instskip(SKIP_1) | instid1(VALU_DEP_2)
	v_div_scale_f64 v[2:3], null, v[16:17], v[16:17], 1.0
	v_div_scale_f64 v[36:37], vcc_lo, 1.0, v[16:17], 1.0
	v_rcp_f64_e32 v[18:19], v[2:3]
	v_nop
	s_delay_alu instid0(TRANS32_DEP_1) | instskip(NEXT) | instid1(VALU_DEP_1)
	v_fma_f64 v[20:21], -v[2:3], v[18:19], 1.0
	v_fmac_f64_e32 v[18:19], v[18:19], v[20:21]
	s_delay_alu instid0(VALU_DEP_1) | instskip(NEXT) | instid1(VALU_DEP_1)
	v_fma_f64 v[20:21], -v[2:3], v[18:19], 1.0
	v_fmac_f64_e32 v[18:19], v[18:19], v[20:21]
	s_delay_alu instid0(VALU_DEP_1) | instskip(NEXT) | instid1(VALU_DEP_1)
	v_mul_f64_e32 v[20:21], v[36:37], v[18:19]
	v_fma_f64 v[2:3], -v[2:3], v[20:21], v[36:37]
	s_delay_alu instid0(VALU_DEP_1) | instskip(SKIP_2) | instid1(VALU_DEP_3)
	v_div_fmas_f64 v[2:3], v[2:3], v[18:19], v[20:21]
	v_fma_f64 v[18:19], v[0:1], v[6:7], v[4:5]
	v_fma_f64 v[4:5], -v[0:1], v[4:5], v[6:7]
                                        ; implicit-def: $vgpr6_vgpr7
	v_div_fixup_f64 v[2:3], v[2:3], v[16:17], 1.0
                                        ; implicit-def: $vgpr16_vgpr17
	s_delay_alu instid0(VALU_DEP_1) | instskip(NEXT) | instid1(VALU_DEP_3)
	v_mul_f64_e32 v[0:1], v[2:3], v[18:19]
	v_mul_f64_e32 v[2:3], v[2:3], v[4:5]
                                        ; implicit-def: $vgpr4_vgpr5
.LBB128_33:                             ;   in Loop: Header=BB128_11 Depth=1
	s_and_not1_saveexec_b32 s4, s4
	s_cbranch_execz .LBB128_35
; %bb.34:                               ;   in Loop: Header=BB128_11 Depth=1
	v_div_scale_f64 v[0:1], null, 0, 0, v[16:17]
	v_div_scale_f64 v[20:21], vcc_lo, v[16:17], 0, v[16:17]
	s_delay_alu instid0(VALU_DEP_2) | instskip(SKIP_1) | instid1(TRANS32_DEP_1)
	v_rcp_f64_e32 v[2:3], v[0:1]
	v_nop
	v_fma_f64 v[18:19], -v[0:1], v[2:3], 1.0
	s_delay_alu instid0(VALU_DEP_1) | instskip(NEXT) | instid1(VALU_DEP_1)
	v_fmac_f64_e32 v[2:3], v[2:3], v[18:19]
	v_fma_f64 v[18:19], -v[0:1], v[2:3], 1.0
	s_delay_alu instid0(VALU_DEP_1) | instskip(NEXT) | instid1(VALU_DEP_1)
	v_fmac_f64_e32 v[2:3], v[2:3], v[18:19]
	v_mul_f64_e32 v[18:19], v[20:21], v[2:3]
	s_delay_alu instid0(VALU_DEP_1) | instskip(NEXT) | instid1(VALU_DEP_1)
	v_fma_f64 v[0:1], -v[0:1], v[18:19], v[20:21]
	v_div_fmas_f64 v[0:1], v[0:1], v[2:3], v[18:19]
	s_delay_alu instid0(VALU_DEP_1) | instskip(NEXT) | instid1(VALU_DEP_1)
	v_div_fixup_f64 v[0:1], v[0:1], 0, v[16:17]
	v_fma_f64 v[2:3], v[16:17], v[0:1], 0
	s_delay_alu instid0(VALU_DEP_1) | instskip(SKIP_1) | instid1(VALU_DEP_2)
	v_div_scale_f64 v[16:17], null, v[2:3], v[2:3], 1.0
	v_div_scale_f64 v[36:37], vcc_lo, 1.0, v[2:3], 1.0
	v_rcp_f64_e32 v[18:19], v[16:17]
	v_nop
	s_delay_alu instid0(TRANS32_DEP_1) | instskip(NEXT) | instid1(VALU_DEP_1)
	v_fma_f64 v[20:21], -v[16:17], v[18:19], 1.0
	v_fmac_f64_e32 v[18:19], v[18:19], v[20:21]
	s_delay_alu instid0(VALU_DEP_1) | instskip(NEXT) | instid1(VALU_DEP_1)
	v_fma_f64 v[20:21], -v[16:17], v[18:19], 1.0
	v_fmac_f64_e32 v[18:19], v[18:19], v[20:21]
	s_delay_alu instid0(VALU_DEP_1) | instskip(NEXT) | instid1(VALU_DEP_1)
	v_mul_f64_e32 v[20:21], v[36:37], v[18:19]
	v_fma_f64 v[16:17], -v[16:17], v[20:21], v[36:37]
	s_delay_alu instid0(VALU_DEP_1) | instskip(SKIP_2) | instid1(VALU_DEP_3)
	v_div_fmas_f64 v[16:17], v[16:17], v[18:19], v[20:21]
	v_fma_f64 v[18:19], v[0:1], v[4:5], v[6:7]
	v_fma_f64 v[4:5], v[0:1], v[6:7], -v[4:5]
	v_div_fixup_f64 v[2:3], v[16:17], v[2:3], 1.0
	s_delay_alu instid0(VALU_DEP_1) | instskip(NEXT) | instid1(VALU_DEP_3)
	v_mul_f64_e32 v[0:1], v[2:3], v[18:19]
	v_mul_f64_e32 v[2:3], v[2:3], v[4:5]
.LBB128_35:                             ;   in Loop: Header=BB128_11 Depth=1
	s_or_b32 exec_lo, exec_lo, s4
.LBB128_36:                             ;   in Loop: Header=BB128_11 Depth=1
	s_delay_alu instid0(SALU_CYCLE_1)
	s_or_b32 exec_lo, exec_lo, s13
	ds_store_b64 v27, v[14:15]
	ds_store_2addr_b64 v28, v[0:1], v[2:3] offset1:1
.LBB128_37:                             ;   in Loop: Header=BB128_11 Depth=1
	s_or_b32 exec_lo, exec_lo, s10
	s_and_b32 s1, s1, s3
	s_wait_storecnt_dscnt 0x0
	s_barrier_signal -1
	s_barrier_wait -1
	s_and_saveexec_b32 s3, s1
	s_cbranch_execz .LBB128_45
; %bb.38:                               ;   in Loop: Header=BB128_11 Depth=1
	ds_load_b64 v[14:15], v27
	ds_load_2addr_b64 v[0:3], v28 offset1:1
	s_and_not1_b32 vcc_lo, exec_lo, s20
	s_cbranch_vccnz .LBB128_42
; %bb.39:                               ;   in Loop: Header=BB128_11 Depth=1
	v_subrev_nc_u32_e32 v5, s19, v24
	v_subrev_nc_u32_e32 v4, s19, v23
	s_delay_alu instid0(VALU_DEP_1)
	v_dual_add_nc_u32 v44, v5, v29 :: v_dual_add_nc_u32 v45, v4, v29
	s_clause 0x1
	global_load_b128 v[10:13], v44, s[16:17] scale_offset
	global_load_b128 v[16:19], v45, s[16:17] scale_offset
	s_wait_loadcnt_dscnt 0x100
	v_mul_f64_e32 v[36:37], v[2:3], v[12:13]
	v_mul_f64_e32 v[6:7], v[2:3], v[10:11]
	s_wait_loadcnt 0x0
	v_mul_f64_e32 v[20:21], v[0:1], v[16:17]
	v_mul_f64_e32 v[42:43], v[0:1], v[18:19]
	s_delay_alu instid0(VALU_DEP_4) | instskip(NEXT) | instid1(VALU_DEP_4)
	v_fmac_f64_e32 v[36:37], v[0:1], v[10:11]
	v_fma_f64 v[38:39], v[0:1], v[12:13], -v[6:7]
	s_delay_alu instid0(VALU_DEP_4) | instskip(NEXT) | instid1(VALU_DEP_4)
	v_fma_f64 v[40:41], v[2:3], v[18:19], -v[20:21]
	v_fma_f64 v[42:43], v[16:17], -v[2:3], -v[42:43]
	s_delay_alu instid0(VALU_DEP_4) | instskip(NEXT) | instid1(VALU_DEP_4)
	v_fmac_f64_e32 v[36:37], v[14:15], v[16:17]
	v_fmac_f64_e32 v[38:39], v[14:15], v[18:19]
	s_delay_alu instid0(VALU_DEP_4) | instskip(NEXT) | instid1(VALU_DEP_4)
	v_fmac_f64_e32 v[40:41], v[14:15], v[10:11]
	v_fmac_f64_e32 v[42:43], v[14:15], v[12:13]
	s_clause 0x1
	global_store_b128 v45, v[36:39], s[16:17] scale_offset
	global_store_b128 v44, v[40:43], s[16:17] scale_offset
	s_wait_xcnt 0x0
	s_and_saveexec_b32 s4, s0
	s_cbranch_execz .LBB128_41
; %bb.40:                               ;   in Loop: Header=BB128_11 Depth=1
	v_dual_add_nc_u32 v40, v5, v32 :: v_dual_add_nc_u32 v41, v4, v32
	s_clause 0x1
	global_load_b128 v[4:7], v40, s[16:17] scale_offset
	global_load_b128 v[10:13], v41, s[16:17] scale_offset
	s_wait_loadcnt 0x1
	v_mul_f64_e32 v[16:17], v[2:3], v[6:7]
	v_mul_f64_e32 v[18:19], v[2:3], v[4:5]
	s_wait_loadcnt 0x0
	v_mul_f64_e32 v[20:21], v[0:1], v[10:11]
	v_mul_f64_e32 v[38:39], v[0:1], v[12:13]
	s_delay_alu instid0(VALU_DEP_4) | instskip(NEXT) | instid1(VALU_DEP_4)
	v_fmac_f64_e32 v[16:17], v[0:1], v[4:5]
	v_fma_f64 v[18:19], v[0:1], v[6:7], -v[18:19]
	s_delay_alu instid0(VALU_DEP_4) | instskip(NEXT) | instid1(VALU_DEP_4)
	v_fma_f64 v[36:37], v[2:3], v[12:13], -v[20:21]
	v_fma_f64 v[38:39], v[10:11], -v[2:3], -v[38:39]
	s_delay_alu instid0(VALU_DEP_4) | instskip(NEXT) | instid1(VALU_DEP_4)
	v_fmac_f64_e32 v[16:17], v[14:15], v[10:11]
	v_fmac_f64_e32 v[18:19], v[14:15], v[12:13]
	s_delay_alu instid0(VALU_DEP_4) | instskip(NEXT) | instid1(VALU_DEP_4)
	v_fmac_f64_e32 v[36:37], v[14:15], v[4:5]
	v_fmac_f64_e32 v[38:39], v[14:15], v[6:7]
	s_clause 0x1
	global_store_b128 v41, v[16:19], s[16:17] scale_offset
	global_store_b128 v40, v[36:39], s[16:17] scale_offset
.LBB128_41:                             ;   in Loop: Header=BB128_11 Depth=1
	s_wait_xcnt 0x0
	s_or_b32 exec_lo, exec_lo, s4
.LBB128_42:                             ;   in Loop: Header=BB128_11 Depth=1
	v_mad_u32 v6, v24, s11, v25
	v_mad_u32 v4, v23, s11, v25
	s_clause 0x1
	global_load_b128 v[10:13], v6, s[6:7] scale_offset
	global_load_b128 v[16:19], v4, s[6:7] scale_offset
	s_wait_loadcnt_dscnt 0x100
	v_mul_f64_e32 v[36:37], v[2:3], v[12:13]
	v_mul_f64_e32 v[20:21], v[2:3], v[10:11]
	s_wait_loadcnt 0x0
	v_mul_f64_e32 v[40:41], v[0:1], v[16:17]
	v_mul_f64_e32 v[42:43], v[0:1], v[18:19]
	s_delay_alu instid0(VALU_DEP_4) | instskip(NEXT) | instid1(VALU_DEP_4)
	v_fmac_f64_e32 v[36:37], v[0:1], v[10:11]
	v_fma_f64 v[38:39], v[0:1], v[12:13], -v[20:21]
	s_delay_alu instid0(VALU_DEP_4) | instskip(NEXT) | instid1(VALU_DEP_4)
	v_fma_f64 v[40:41], v[2:3], v[18:19], -v[40:41]
	v_fma_f64 v[42:43], v[16:17], -v[2:3], -v[42:43]
	s_delay_alu instid0(VALU_DEP_4) | instskip(NEXT) | instid1(VALU_DEP_4)
	v_fmac_f64_e32 v[36:37], v[14:15], v[16:17]
	v_fmac_f64_e32 v[38:39], v[14:15], v[18:19]
	s_delay_alu instid0(VALU_DEP_4) | instskip(NEXT) | instid1(VALU_DEP_4)
	v_fmac_f64_e32 v[40:41], v[14:15], v[10:11]
	v_fmac_f64_e32 v[42:43], v[14:15], v[12:13]
	s_clause 0x1
	global_store_b128 v4, v[36:39], s[6:7] scale_offset
	global_store_b128 v6, v[40:43], s[6:7] scale_offset
	s_wait_xcnt 0x0
	s_and_saveexec_b32 s4, s0
	s_cbranch_execz .LBB128_44
; %bb.43:                               ;   in Loop: Header=BB128_11 Depth=1
	v_dual_ashrrev_i32 v7, 31, v6 :: v_dual_ashrrev_i32 v5, 31, v4
	s_delay_alu instid0(VALU_DEP_1) | instskip(NEXT) | instid1(VALU_DEP_2)
	v_lshl_add_u64 v[20:21], v[6:7], 4, s[6:7]
	v_lshl_add_u64 v[40:41], v[4:5], 4, s[6:7]
	s_clause 0x1
	global_load_b128 v[4:7], v[20:21], off offset:16
	global_load_b128 v[10:13], v[40:41], off offset:16
	s_wait_loadcnt 0x1
	v_mul_f64_e32 v[16:17], v[2:3], v[6:7]
	v_mul_f64_e32 v[18:19], v[2:3], v[4:5]
	s_wait_loadcnt 0x0
	v_mul_f64_e32 v[36:37], v[0:1], v[10:11]
	v_mul_f64_e32 v[38:39], v[0:1], v[12:13]
	s_delay_alu instid0(VALU_DEP_4) | instskip(NEXT) | instid1(VALU_DEP_4)
	v_fmac_f64_e32 v[16:17], v[0:1], v[4:5]
	v_fma_f64 v[18:19], v[0:1], v[6:7], -v[18:19]
	s_delay_alu instid0(VALU_DEP_4) | instskip(NEXT) | instid1(VALU_DEP_4)
	v_fma_f64 v[36:37], v[2:3], v[12:13], -v[36:37]
	v_fma_f64 v[38:39], v[10:11], -v[2:3], -v[38:39]
	s_delay_alu instid0(VALU_DEP_4) | instskip(NEXT) | instid1(VALU_DEP_4)
	v_fmac_f64_e32 v[16:17], v[14:15], v[10:11]
	v_fmac_f64_e32 v[18:19], v[14:15], v[12:13]
	s_delay_alu instid0(VALU_DEP_4) | instskip(NEXT) | instid1(VALU_DEP_4)
	v_fmac_f64_e32 v[36:37], v[14:15], v[4:5]
	v_fmac_f64_e32 v[38:39], v[14:15], v[6:7]
	s_clause 0x1
	global_store_b128 v[40:41], v[16:19], off offset:16
	global_store_b128 v[20:21], v[36:39], off offset:16
.LBB128_44:                             ;   in Loop: Header=BB128_11 Depth=1
	s_wait_xcnt 0x0
	s_or_b32 exec_lo, exec_lo, s4
	v_mov_b64_e32 v[12:13], v[0:1]
	v_xor_b32_e32 v11, 0x80000000, v3
	v_mov_b32_e32 v10, v2
.LBB128_45:                             ;   in Loop: Header=BB128_11 Depth=1
	s_or_b32 exec_lo, exec_lo, s3
	s_wait_storecnt 0x0
	s_barrier_signal -1
	s_barrier_wait -1
	s_and_saveexec_b32 s3, s1
	s_cbranch_execz .LBB128_48
; %bb.46:                               ;   in Loop: Header=BB128_11 Depth=1
	v_dual_add_nc_u32 v44, v24, v26 :: v_dual_add_nc_u32 v45, v23, v26
	s_clause 0x1
	global_load_b128 v[4:7], v44, s[6:7] scale_offset
	global_load_b128 v[16:19], v45, s[6:7] scale_offset
	s_wait_loadcnt 0x1
	v_mul_f64_e32 v[20:21], v[2:3], v[6:7]
	v_mul_f64_e32 v[38:39], v[0:1], v[6:7]
	s_wait_loadcnt 0x0
	v_mul_f64_e32 v[40:41], v[12:13], v[16:17]
	v_mul_f64_e32 v[42:43], v[12:13], v[18:19]
	s_delay_alu instid0(VALU_DEP_4) | instskip(NEXT) | instid1(VALU_DEP_4)
	v_fma_f64 v[36:37], v[0:1], v[4:5], -v[20:21]
	v_fmac_f64_e32 v[38:39], v[2:3], v[4:5]
	s_delay_alu instid0(VALU_DEP_4) | instskip(NEXT) | instid1(VALU_DEP_4)
	v_fma_f64 v[40:41], v[10:11], v[18:19], -v[40:41]
	v_fma_f64 v[42:43], v[16:17], -v[10:11], -v[42:43]
	s_delay_alu instid0(VALU_DEP_4) | instskip(NEXT) | instid1(VALU_DEP_4)
	v_fmac_f64_e32 v[36:37], v[14:15], v[16:17]
	v_fmac_f64_e32 v[38:39], v[14:15], v[18:19]
	s_delay_alu instid0(VALU_DEP_4) | instskip(NEXT) | instid1(VALU_DEP_4)
	v_fmac_f64_e32 v[40:41], v[14:15], v[4:5]
	v_fmac_f64_e32 v[42:43], v[14:15], v[6:7]
	s_clause 0x1
	global_store_b128 v45, v[36:39], s[6:7] scale_offset
	global_store_b128 v44, v[40:43], s[6:7] scale_offset
	s_wait_xcnt 0x0
	s_and_b32 exec_lo, exec_lo, s0
	s_cbranch_execz .LBB128_48
; %bb.47:                               ;   in Loop: Header=BB128_11 Depth=1
	v_dual_add_nc_u32 v44, v24, v33 :: v_dual_add_nc_u32 v45, v23, v33
	s_clause 0x1
	global_load_b128 v[4:7], v44, s[6:7] scale_offset
	global_load_b128 v[16:19], v45, s[6:7] scale_offset
	s_wait_loadcnt 0x1
	v_mul_f64_e32 v[20:21], v[2:3], v[6:7]
	v_mul_f64_e32 v[38:39], v[0:1], v[6:7]
	s_wait_loadcnt 0x0
	v_mul_f64_e32 v[40:41], v[12:13], v[16:17]
	v_mul_f64_e32 v[42:43], v[12:13], v[18:19]
	s_delay_alu instid0(VALU_DEP_4) | instskip(NEXT) | instid1(VALU_DEP_4)
	v_fma_f64 v[36:37], v[0:1], v[4:5], -v[20:21]
	v_fmac_f64_e32 v[38:39], v[2:3], v[4:5]
	s_delay_alu instid0(VALU_DEP_4) | instskip(NEXT) | instid1(VALU_DEP_4)
	v_fma_f64 v[40:41], v[10:11], v[18:19], -v[40:41]
	v_fma_f64 v[42:43], v[16:17], -v[10:11], -v[42:43]
	s_delay_alu instid0(VALU_DEP_4) | instskip(NEXT) | instid1(VALU_DEP_4)
	v_fmac_f64_e32 v[36:37], v[14:15], v[16:17]
	v_fmac_f64_e32 v[38:39], v[14:15], v[18:19]
	s_delay_alu instid0(VALU_DEP_4) | instskip(NEXT) | instid1(VALU_DEP_4)
	v_fmac_f64_e32 v[40:41], v[14:15], v[4:5]
	v_fmac_f64_e32 v[42:43], v[14:15], v[6:7]
	s_clause 0x1
	global_store_b128 v45, v[36:39], s[6:7] scale_offset
	global_store_b128 v44, v[40:43], s[6:7] scale_offset
.LBB128_48:                             ;   in Loop: Header=BB128_11 Depth=1
	s_wait_xcnt 0x0
	s_or_b32 exec_lo, exec_lo, s3
	s_wait_storecnt 0x0
	s_barrier_signal -1
	s_barrier_wait -1
	s_and_saveexec_b32 s1, s9
	s_cbranch_execz .LBB128_50
; %bb.49:                               ;   in Loop: Header=BB128_11 Depth=1
	v_mad_u32 v16, v24, s11, v23
	v_mad_u32 v17, v23, s11, v24
	s_mov_b32 s13, s12
	s_mov_b32 s14, s12
	;; [unrolled: 1-line block ×3, first 2 shown]
	v_mov_b64_e32 v[4:5], s[12:13]
	v_mov_b64_e32 v[6:7], s[14:15]
	s_clause 0x1
	global_store_b128 v16, v[4:7], s[6:7] scale_offset
	global_store_b128 v17, v[4:7], s[6:7] scale_offset
.LBB128_50:                             ;   in Loop: Header=BB128_11 Depth=1
	s_wait_xcnt 0x0
	s_or_b32 exec_lo, exec_lo, s1
	s_delay_alu instid0(SALU_CYCLE_1)
	s_mov_b32 s1, exec_lo
	v_cmpx_lt_i32_e32 0, v22
	s_cbranch_execz .LBB128_56
; %bb.51:                               ;   in Loop: Header=BB128_11 Depth=1
	s_mov_b32 s3, exec_lo
                                        ; implicit-def: $vgpr23
	v_cmpx_ne_u32_e32 1, v22
	s_xor_b32 s3, exec_lo, s3
; %bb.52:                               ;   in Loop: Header=BB128_11 Depth=1
	ds_load_b32 v23, v34
; %bb.53:                               ;   in Loop: Header=BB128_11 Depth=1
	s_and_not1_saveexec_b32 s3, s3
	s_cbranch_execz .LBB128_55
; %bb.54:                               ;   in Loop: Header=BB128_11 Depth=1
	v_mov_b32_e32 v4, s21
	s_wait_dscnt 0x0
	ds_load_b32 v23, v4
.LBB128_55:                             ;   in Loop: Header=BB128_11 Depth=1
	s_or_b32 exec_lo, exec_lo, s3
.LBB128_56:                             ;   in Loop: Header=BB128_11 Depth=1
	s_delay_alu instid0(SALU_CYCLE_1)
	s_or_b32 exec_lo, exec_lo, s1
	ds_load_b32 v24, v35
	s_wait_storecnt_dscnt 0x0
	s_barrier_signal -1
	s_barrier_wait -1
	s_and_saveexec_b32 s1, s2
	s_cbranch_execz .LBB128_10
; %bb.57:                               ;   in Loop: Header=BB128_11 Depth=1
	ds_store_b32 v31, v23
	ds_store_b32 v30, v24
	s_branch .LBB128_10
.LBB128_58:
	s_endpgm
	.section	.rodata,"a",@progbits
	.p2align	6, 0x0
	.amdhsa_kernel _ZN9rocsolver6v33100L17syevj_diag_kernelI19rocblas_complex_numIdEdPS3_EEviT1_iilT0_PT_Pi
		.amdhsa_group_segment_fixed_size 0
		.amdhsa_private_segment_fixed_size 0
		.amdhsa_kernarg_size 312
		.amdhsa_user_sgpr_count 2
		.amdhsa_user_sgpr_dispatch_ptr 0
		.amdhsa_user_sgpr_queue_ptr 0
		.amdhsa_user_sgpr_kernarg_segment_ptr 1
		.amdhsa_user_sgpr_dispatch_id 0
		.amdhsa_user_sgpr_kernarg_preload_length 0
		.amdhsa_user_sgpr_kernarg_preload_offset 0
		.amdhsa_user_sgpr_private_segment_size 0
		.amdhsa_wavefront_size32 1
		.amdhsa_uses_dynamic_stack 0
		.amdhsa_enable_private_segment 0
		.amdhsa_system_sgpr_workgroup_id_x 1
		.amdhsa_system_sgpr_workgroup_id_y 0
		.amdhsa_system_sgpr_workgroup_id_z 1
		.amdhsa_system_sgpr_workgroup_info 0
		.amdhsa_system_vgpr_workitem_id 1
		.amdhsa_next_free_vgpr 46
		.amdhsa_next_free_sgpr 24
		.amdhsa_named_barrier_count 0
		.amdhsa_reserve_vcc 1
		.amdhsa_float_round_mode_32 0
		.amdhsa_float_round_mode_16_64 0
		.amdhsa_float_denorm_mode_32 3
		.amdhsa_float_denorm_mode_16_64 3
		.amdhsa_fp16_overflow 0
		.amdhsa_memory_ordered 1
		.amdhsa_forward_progress 1
		.amdhsa_inst_pref_size 36
		.amdhsa_round_robin_scheduling 0
		.amdhsa_exception_fp_ieee_invalid_op 0
		.amdhsa_exception_fp_denorm_src 0
		.amdhsa_exception_fp_ieee_div_zero 0
		.amdhsa_exception_fp_ieee_overflow 0
		.amdhsa_exception_fp_ieee_underflow 0
		.amdhsa_exception_fp_ieee_inexact 0
		.amdhsa_exception_int_div_zero 0
	.end_amdhsa_kernel
	.section	.text._ZN9rocsolver6v33100L17syevj_diag_kernelI19rocblas_complex_numIdEdPS3_EEviT1_iilT0_PT_Pi,"axG",@progbits,_ZN9rocsolver6v33100L17syevj_diag_kernelI19rocblas_complex_numIdEdPS3_EEviT1_iilT0_PT_Pi,comdat
.Lfunc_end128:
	.size	_ZN9rocsolver6v33100L17syevj_diag_kernelI19rocblas_complex_numIdEdPS3_EEviT1_iilT0_PT_Pi, .Lfunc_end128-_ZN9rocsolver6v33100L17syevj_diag_kernelI19rocblas_complex_numIdEdPS3_EEviT1_iilT0_PT_Pi
                                        ; -- End function
	.set _ZN9rocsolver6v33100L17syevj_diag_kernelI19rocblas_complex_numIdEdPS3_EEviT1_iilT0_PT_Pi.num_vgpr, 46
	.set _ZN9rocsolver6v33100L17syevj_diag_kernelI19rocblas_complex_numIdEdPS3_EEviT1_iilT0_PT_Pi.num_agpr, 0
	.set _ZN9rocsolver6v33100L17syevj_diag_kernelI19rocblas_complex_numIdEdPS3_EEviT1_iilT0_PT_Pi.numbered_sgpr, 24
	.set _ZN9rocsolver6v33100L17syevj_diag_kernelI19rocblas_complex_numIdEdPS3_EEviT1_iilT0_PT_Pi.num_named_barrier, 0
	.set _ZN9rocsolver6v33100L17syevj_diag_kernelI19rocblas_complex_numIdEdPS3_EEviT1_iilT0_PT_Pi.private_seg_size, 0
	.set _ZN9rocsolver6v33100L17syevj_diag_kernelI19rocblas_complex_numIdEdPS3_EEviT1_iilT0_PT_Pi.uses_vcc, 1
	.set _ZN9rocsolver6v33100L17syevj_diag_kernelI19rocblas_complex_numIdEdPS3_EEviT1_iilT0_PT_Pi.uses_flat_scratch, 0
	.set _ZN9rocsolver6v33100L17syevj_diag_kernelI19rocblas_complex_numIdEdPS3_EEviT1_iilT0_PT_Pi.has_dyn_sized_stack, 0
	.set _ZN9rocsolver6v33100L17syevj_diag_kernelI19rocblas_complex_numIdEdPS3_EEviT1_iilT0_PT_Pi.has_recursion, 0
	.set _ZN9rocsolver6v33100L17syevj_diag_kernelI19rocblas_complex_numIdEdPS3_EEviT1_iilT0_PT_Pi.has_indirect_call, 0
	.section	.AMDGPU.csdata,"",@progbits
; Kernel info:
; codeLenInByte = 4600
; TotalNumSgprs: 26
; NumVgprs: 46
; ScratchSize: 0
; MemoryBound: 0
; FloatMode: 240
; IeeeMode: 1
; LDSByteSize: 0 bytes/workgroup (compile time only)
; SGPRBlocks: 0
; VGPRBlocks: 2
; NumSGPRsForWavesPerEU: 26
; NumVGPRsForWavesPerEU: 46
; NamedBarCnt: 0
; Occupancy: 16
; WaveLimiterHint : 0
; COMPUTE_PGM_RSRC2:SCRATCH_EN: 0
; COMPUTE_PGM_RSRC2:USER_SGPR: 2
; COMPUTE_PGM_RSRC2:TRAP_HANDLER: 0
; COMPUTE_PGM_RSRC2:TGID_X_EN: 1
; COMPUTE_PGM_RSRC2:TGID_Y_EN: 0
; COMPUTE_PGM_RSRC2:TGID_Z_EN: 1
; COMPUTE_PGM_RSRC2:TIDIG_COMP_CNT: 1
	.section	.text._ZN9rocsolver6v33100L21syevj_diag_rotate_orgILb0E19rocblas_complex_numIdEdPS3_EEvbiT2_iilPT0_Pi,"axG",@progbits,_ZN9rocsolver6v33100L21syevj_diag_rotate_orgILb0E19rocblas_complex_numIdEdPS3_EEvbiT2_iilPT0_Pi,comdat
	.globl	_ZN9rocsolver6v33100L21syevj_diag_rotate_orgILb0E19rocblas_complex_numIdEdPS3_EEvbiT2_iilPT0_Pi ; -- Begin function _ZN9rocsolver6v33100L21syevj_diag_rotate_orgILb0E19rocblas_complex_numIdEdPS3_EEvbiT2_iilPT0_Pi
	.p2align	8
	.type	_ZN9rocsolver6v33100L21syevj_diag_rotate_orgILb0E19rocblas_complex_numIdEdPS3_EEvbiT2_iilPT0_Pi,@function
_ZN9rocsolver6v33100L21syevj_diag_rotate_orgILb0E19rocblas_complex_numIdEdPS3_EEvbiT2_iilPT0_Pi: ; @_ZN9rocsolver6v33100L21syevj_diag_rotate_orgILb0E19rocblas_complex_numIdEdPS3_EEvbiT2_iilPT0_Pi
; %bb.0:
	s_clause 0x1
	s_load_b64 s[2:3], s[0:1], 0x0
	s_load_b64 s[4:5], s[0:1], 0x28
	s_wait_kmcnt 0x0
	s_bitcmp1_b32 s2, 0
	s_getreg_b32 s2, hwreg(HW_REG_IB_STS2, 6, 4)
	s_cselect_b32 s6, -1, 0
	s_bfe_u32 s8, ttmp6, 0x40014
	s_bfe_u32 s11, ttmp6, 0x40010
	;; [unrolled: 1-line block ×3, first 2 shown]
	s_lshr_b32 s7, ttmp7, 16
	s_and_b32 s10, ttmp7, 0xffff
	s_add_co_i32 s8, s8, 1
	s_add_co_i32 s11, s11, 1
	;; [unrolled: 1-line block ×3, first 2 shown]
	s_bfe_u32 s9, ttmp6, 0x40008
	s_bfe_u32 s12, ttmp6, 0x40004
	s_and_b32 s13, ttmp6, 15
	s_mul_i32 s8, s7, s8
	s_mul_i32 s11, s10, s11
	s_mul_i32 s14, ttmp9, s14
	s_add_co_i32 s9, s9, s8
	s_add_co_i32 s8, s12, s11
	;; [unrolled: 1-line block ×3, first 2 shown]
	s_cmp_eq_u32 s2, 0
	s_cselect_b32 s12, s7, s9
	s_cselect_b32 s16, ttmp9, s13
	s_load_b32 s2, s[4:5], s12 offset:0x4 scale_offset
	s_cselect_b32 s15, s10, s8
	s_mov_b32 s13, 0
	s_wait_kmcnt 0x0
	s_cmp_lg_u32 s2, 0
	s_cselect_b32 s2, -1, 0
	s_cmp_eq_u32 s16, s15
	s_cselect_b32 s4, -1, 0
	s_delay_alu instid0(SALU_CYCLE_1) | instskip(NEXT) | instid1(SALU_CYCLE_1)
	s_and_b32 s4, s4, s6
	s_or_b32 s2, s4, s2
	s_delay_alu instid0(SALU_CYCLE_1)
	s_and_b32 vcc_lo, exec_lo, s2
	s_cbranch_vccnz .LBB129_7
; %bb.1:
	s_load_b32 s2, s[0:1], 0x3c
	v_bfe_u32 v1, v0, 10, 10
	v_and_b32_e32 v0, 0x3ff, v0
	s_mov_b32 s4, exec_lo
	s_wait_kmcnt 0x0
	s_and_b32 s17, s2, 0xffff
	s_delay_alu instid0(SALU_CYCLE_1) | instskip(SKIP_1) | instid1(SALU_CYCLE_1)
	v_mad_u32 v6, s15, s17, v1
	s_mul_i32 s2, s16, s17
	v_add_nc_u32_e32 v7, s2, v0
	s_delay_alu instid0(VALU_DEP_1) | instskip(NEXT) | instid1(VALU_DEP_1)
	v_max_i32_e32 v2, v7, v6
	v_cmpx_gt_i32_e64 s3, v2
	s_cbranch_execz .LBB129_7
; %bb.2:
	s_load_b256 s[4:11], s[0:1], 0x8
	s_sub_co_i32 s2, s3, s2
	s_delay_alu instid0(SALU_CYCLE_1)
	s_min_i32 s14, s2, s17
	s_wait_kmcnt 0x0
	s_mul_u64 s[2:3], s[8:9], s[12:13]
	s_ashr_i32 s9, s6, 31
	s_lshl_b64 s[2:3], s[2:3], 4
	s_mov_b32 s8, s6
	s_add_nc_u64 s[2:3], s[4:5], s[2:3]
	s_lshl_b64 s[4:5], s[8:9], 4
	s_cmp_lt_i32 s14, 1
	s_add_nc_u64 s[2:3], s[2:3], s[4:5]
	s_cbranch_scc1 .LBB129_5
; %bb.3:
	s_add_nc_u64 s[0:1], s[0:1], 48
	v_dual_mov_b32 v3, 0 :: v_dual_lshlrev_b32 v2, 4, v0
	s_load_b32 s0, s[0:1], 0x0
	s_wait_kmcnt 0x0
	s_mul_i32 s0, s0, s12
	s_delay_alu instid0(SALU_CYCLE_1)
	s_add_co_i32 s0, s0, s16
	s_mul_i32 s16, s16, s7
	s_mul_i32 s0, s0, s17
	s_add_co_i32 s15, s15, s16
	s_mul_i32 s0, s0, s17
	v_mad_u32 v8, s15, s17, v1
	s_ashr_i32 s1, s0, 31
	v_mov_b64_e32 v[0:1], 0
	s_lshl_b64 s[0:1], s[0:1], 4
	s_delay_alu instid0(SALU_CYCLE_1) | instskip(NEXT) | instid1(SALU_CYCLE_1)
	s_add_nc_u64 s[0:1], s[10:11], s[0:1]
	v_add_nc_u64_e32 v[4:5], s[0:1], v[2:3]
	v_mov_b64_e32 v[2:3], 0
	s_mov_b32 s1, 0
	s_lshl_b32 s0, s17, 4
	s_delay_alu instid0(VALU_DEP_2)
	v_add_nc_u64_e32 v[4:5], 8, v[4:5]
.LBB129_4:                              ; =>This Inner Loop Header: Depth=1
	global_load_b128 v[10:13], v8, s[2:3] scale_offset
	global_load_b128 v[14:17], v[4:5], off offset:-8
	s_wait_xcnt 0x0
	v_add_nc_u64_e32 v[4:5], s[0:1], v[4:5]
	s_add_co_i32 s14, s14, -1
	v_add_nc_u32_e32 v8, s7, v8
	s_cmp_lg_u32 s14, 0
	s_wait_loadcnt 0x0
	v_mul_f64_e32 v[18:19], v[12:13], v[16:17]
	v_mul_f64_e32 v[16:17], v[10:11], v[16:17]
	s_delay_alu instid0(VALU_DEP_2) | instskip(NEXT) | instid1(VALU_DEP_2)
	v_fma_f64 v[10:11], v[10:11], v[14:15], -v[18:19]
	v_fmac_f64_e32 v[16:17], v[12:13], v[14:15]
	s_delay_alu instid0(VALU_DEP_2) | instskip(NEXT) | instid1(VALU_DEP_2)
	v_add_f64_e32 v[0:1], v[0:1], v[10:11]
	v_add_f64_e32 v[2:3], v[2:3], v[16:17]
	s_cbranch_scc1 .LBB129_4
	s_branch .LBB129_6
.LBB129_5:
	v_mov_b64_e32 v[2:3], 0
	v_mov_b64_e32 v[0:1], 0
.LBB129_6:
	v_mad_u32 v4, v7, s7, v6
	s_barrier_signal -1
	s_barrier_wait -1
	global_store_b128 v4, v[0:3], s[2:3] scale_offset
.LBB129_7:
	s_endpgm
	.section	.rodata,"a",@progbits
	.p2align	6, 0x0
	.amdhsa_kernel _ZN9rocsolver6v33100L21syevj_diag_rotate_orgILb0E19rocblas_complex_numIdEdPS3_EEvbiT2_iilPT0_Pi
		.amdhsa_group_segment_fixed_size 0
		.amdhsa_private_segment_fixed_size 0
		.amdhsa_kernarg_size 304
		.amdhsa_user_sgpr_count 2
		.amdhsa_user_sgpr_dispatch_ptr 0
		.amdhsa_user_sgpr_queue_ptr 0
		.amdhsa_user_sgpr_kernarg_segment_ptr 1
		.amdhsa_user_sgpr_dispatch_id 0
		.amdhsa_user_sgpr_kernarg_preload_length 0
		.amdhsa_user_sgpr_kernarg_preload_offset 0
		.amdhsa_user_sgpr_private_segment_size 0
		.amdhsa_wavefront_size32 1
		.amdhsa_uses_dynamic_stack 0
		.amdhsa_enable_private_segment 0
		.amdhsa_system_sgpr_workgroup_id_x 1
		.amdhsa_system_sgpr_workgroup_id_y 1
		.amdhsa_system_sgpr_workgroup_id_z 1
		.amdhsa_system_sgpr_workgroup_info 0
		.amdhsa_system_vgpr_workitem_id 1
		.amdhsa_next_free_vgpr 20
		.amdhsa_next_free_sgpr 18
		.amdhsa_named_barrier_count 0
		.amdhsa_reserve_vcc 1
		.amdhsa_float_round_mode_32 0
		.amdhsa_float_round_mode_16_64 0
		.amdhsa_float_denorm_mode_32 3
		.amdhsa_float_denorm_mode_16_64 3
		.amdhsa_fp16_overflow 0
		.amdhsa_memory_ordered 1
		.amdhsa_forward_progress 1
		.amdhsa_inst_pref_size 5
		.amdhsa_round_robin_scheduling 0
		.amdhsa_exception_fp_ieee_invalid_op 0
		.amdhsa_exception_fp_denorm_src 0
		.amdhsa_exception_fp_ieee_div_zero 0
		.amdhsa_exception_fp_ieee_overflow 0
		.amdhsa_exception_fp_ieee_underflow 0
		.amdhsa_exception_fp_ieee_inexact 0
		.amdhsa_exception_int_div_zero 0
	.end_amdhsa_kernel
	.section	.text._ZN9rocsolver6v33100L21syevj_diag_rotate_orgILb0E19rocblas_complex_numIdEdPS3_EEvbiT2_iilPT0_Pi,"axG",@progbits,_ZN9rocsolver6v33100L21syevj_diag_rotate_orgILb0E19rocblas_complex_numIdEdPS3_EEvbiT2_iilPT0_Pi,comdat
.Lfunc_end129:
	.size	_ZN9rocsolver6v33100L21syevj_diag_rotate_orgILb0E19rocblas_complex_numIdEdPS3_EEvbiT2_iilPT0_Pi, .Lfunc_end129-_ZN9rocsolver6v33100L21syevj_diag_rotate_orgILb0E19rocblas_complex_numIdEdPS3_EEvbiT2_iilPT0_Pi
                                        ; -- End function
	.set _ZN9rocsolver6v33100L21syevj_diag_rotate_orgILb0E19rocblas_complex_numIdEdPS3_EEvbiT2_iilPT0_Pi.num_vgpr, 20
	.set _ZN9rocsolver6v33100L21syevj_diag_rotate_orgILb0E19rocblas_complex_numIdEdPS3_EEvbiT2_iilPT0_Pi.num_agpr, 0
	.set _ZN9rocsolver6v33100L21syevj_diag_rotate_orgILb0E19rocblas_complex_numIdEdPS3_EEvbiT2_iilPT0_Pi.numbered_sgpr, 18
	.set _ZN9rocsolver6v33100L21syevj_diag_rotate_orgILb0E19rocblas_complex_numIdEdPS3_EEvbiT2_iilPT0_Pi.num_named_barrier, 0
	.set _ZN9rocsolver6v33100L21syevj_diag_rotate_orgILb0E19rocblas_complex_numIdEdPS3_EEvbiT2_iilPT0_Pi.private_seg_size, 0
	.set _ZN9rocsolver6v33100L21syevj_diag_rotate_orgILb0E19rocblas_complex_numIdEdPS3_EEvbiT2_iilPT0_Pi.uses_vcc, 1
	.set _ZN9rocsolver6v33100L21syevj_diag_rotate_orgILb0E19rocblas_complex_numIdEdPS3_EEvbiT2_iilPT0_Pi.uses_flat_scratch, 0
	.set _ZN9rocsolver6v33100L21syevj_diag_rotate_orgILb0E19rocblas_complex_numIdEdPS3_EEvbiT2_iilPT0_Pi.has_dyn_sized_stack, 0
	.set _ZN9rocsolver6v33100L21syevj_diag_rotate_orgILb0E19rocblas_complex_numIdEdPS3_EEvbiT2_iilPT0_Pi.has_recursion, 0
	.set _ZN9rocsolver6v33100L21syevj_diag_rotate_orgILb0E19rocblas_complex_numIdEdPS3_EEvbiT2_iilPT0_Pi.has_indirect_call, 0
	.section	.AMDGPU.csdata,"",@progbits
; Kernel info:
; codeLenInByte = 576
; TotalNumSgprs: 20
; NumVgprs: 20
; ScratchSize: 0
; MemoryBound: 0
; FloatMode: 240
; IeeeMode: 1
; LDSByteSize: 0 bytes/workgroup (compile time only)
; SGPRBlocks: 0
; VGPRBlocks: 1
; NumSGPRsForWavesPerEU: 20
; NumVGPRsForWavesPerEU: 20
; NamedBarCnt: 0
; Occupancy: 16
; WaveLimiterHint : 0
; COMPUTE_PGM_RSRC2:SCRATCH_EN: 0
; COMPUTE_PGM_RSRC2:USER_SGPR: 2
; COMPUTE_PGM_RSRC2:TRAP_HANDLER: 0
; COMPUTE_PGM_RSRC2:TGID_X_EN: 1
; COMPUTE_PGM_RSRC2:TGID_Y_EN: 1
; COMPUTE_PGM_RSRC2:TGID_Z_EN: 1
; COMPUTE_PGM_RSRC2:TIDIG_COMP_CNT: 1
	.section	.text._ZN9rocsolver6v33100L21syevj_diag_rotate_orgILb1E19rocblas_complex_numIdEdPS3_EEvbiT2_iilPT0_Pi,"axG",@progbits,_ZN9rocsolver6v33100L21syevj_diag_rotate_orgILb1E19rocblas_complex_numIdEdPS3_EEvbiT2_iilPT0_Pi,comdat
	.globl	_ZN9rocsolver6v33100L21syevj_diag_rotate_orgILb1E19rocblas_complex_numIdEdPS3_EEvbiT2_iilPT0_Pi ; -- Begin function _ZN9rocsolver6v33100L21syevj_diag_rotate_orgILb1E19rocblas_complex_numIdEdPS3_EEvbiT2_iilPT0_Pi
	.p2align	8
	.type	_ZN9rocsolver6v33100L21syevj_diag_rotate_orgILb1E19rocblas_complex_numIdEdPS3_EEvbiT2_iilPT0_Pi,@function
_ZN9rocsolver6v33100L21syevj_diag_rotate_orgILb1E19rocblas_complex_numIdEdPS3_EEvbiT2_iilPT0_Pi: ; @_ZN9rocsolver6v33100L21syevj_diag_rotate_orgILb1E19rocblas_complex_numIdEdPS3_EEvbiT2_iilPT0_Pi
; %bb.0:
	s_clause 0x1
	s_load_b64 s[2:3], s[0:1], 0x0
	s_load_b64 s[4:5], s[0:1], 0x28
	s_wait_kmcnt 0x0
	s_bitcmp1_b32 s2, 0
	s_getreg_b32 s2, hwreg(HW_REG_IB_STS2, 6, 4)
	s_cselect_b32 s6, -1, 0
	s_bfe_u32 s8, ttmp6, 0x40014
	s_bfe_u32 s11, ttmp6, 0x40010
	;; [unrolled: 1-line block ×3, first 2 shown]
	s_lshr_b32 s7, ttmp7, 16
	s_and_b32 s10, ttmp7, 0xffff
	s_add_co_i32 s8, s8, 1
	s_add_co_i32 s11, s11, 1
	;; [unrolled: 1-line block ×3, first 2 shown]
	s_bfe_u32 s9, ttmp6, 0x40008
	s_bfe_u32 s12, ttmp6, 0x40004
	s_and_b32 s13, ttmp6, 15
	s_mul_i32 s8, s7, s8
	s_mul_i32 s11, s10, s11
	s_mul_i32 s14, ttmp9, s14
	s_add_co_i32 s9, s9, s8
	s_add_co_i32 s8, s12, s11
	;; [unrolled: 1-line block ×3, first 2 shown]
	s_cmp_eq_u32 s2, 0
	s_cselect_b32 s12, s7, s9
	s_cselect_b32 s16, ttmp9, s13
	s_load_b32 s4, s[4:5], s12 offset:0x4 scale_offset
	s_cselect_b32 s2, s10, s8
	s_mov_b32 s13, 0
	s_wait_kmcnt 0x0
	s_cmp_lg_u32 s4, 0
	s_cselect_b32 s4, -1, 0
	s_cmp_eq_u32 s16, s2
	s_cselect_b32 s5, -1, 0
	s_delay_alu instid0(SALU_CYCLE_1) | instskip(NEXT) | instid1(SALU_CYCLE_1)
	s_and_b32 s5, s5, s6
	s_or_b32 s4, s5, s4
	s_delay_alu instid0(SALU_CYCLE_1)
	s_and_b32 vcc_lo, exec_lo, s4
	s_cbranch_vccnz .LBB130_7
; %bb.1:
	s_load_b32 s4, s[0:1], 0x3c
	v_bfe_u32 v1, v0, 10, 10
	v_and_b32_e32 v0, 0x3ff, v0
	s_wait_kmcnt 0x0
	s_and_b32 s14, s4, 0xffff
	s_delay_alu instid0(VALU_DEP_2) | instid1(SALU_CYCLE_1)
	v_mad_u32 v1, s2, s14, v1
	s_mul_i32 s15, s16, s14
	s_mov_b32 s2, exec_lo
	v_add_nc_u32_e32 v6, s15, v0
	s_delay_alu instid0(VALU_DEP_1) | instskip(NEXT) | instid1(VALU_DEP_1)
	v_max_i32_e32 v2, v6, v1
	v_cmpx_gt_i32_e64 s3, v2
	s_cbranch_execz .LBB130_7
; %bb.2:
	s_load_b256 s[4:11], s[0:1], 0x8
	s_sub_co_i32 s2, s3, s15
	s_wait_kmcnt 0x0
	v_mul_lo_u32 v7, v1, s7
	s_min_i32 s7, s2, s14
	s_mul_u64 s[2:3], s[8:9], s[12:13]
	s_ashr_i32 s9, s6, 31
	s_lshl_b64 s[2:3], s[2:3], 4
	s_mov_b32 s8, s6
	s_add_nc_u64 s[2:3], s[4:5], s[2:3]
	s_lshl_b64 s[4:5], s[8:9], 4
	s_cmp_lt_i32 s7, 1
	s_add_nc_u64 s[2:3], s[2:3], s[4:5]
	s_cbranch_scc1 .LBB130_5
; %bb.3:
	s_add_nc_u64 s[0:1], s[0:1], 48
	v_dual_mov_b32 v1, 0 :: v_dual_lshlrev_b32 v0, 4, v0
	s_load_b32 s0, s[0:1], 0x0
	v_mov_b64_e32 v[2:3], 0
	v_add_nc_u32_e32 v8, s15, v7
	s_wait_kmcnt 0x0
	s_mul_i32 s0, s0, s12
	s_delay_alu instid0(SALU_CYCLE_1) | instskip(NEXT) | instid1(SALU_CYCLE_1)
	s_add_co_i32 s0, s0, s16
	s_mul_i32 s0, s0, s14
	s_delay_alu instid0(SALU_CYCLE_1) | instskip(NEXT) | instid1(SALU_CYCLE_1)
	s_mul_i32 s0, s0, s14
	s_ashr_i32 s1, s0, 31
	s_delay_alu instid0(SALU_CYCLE_1) | instskip(NEXT) | instid1(SALU_CYCLE_1)
	s_lshl_b64 s[0:1], s[0:1], 4
	s_add_nc_u64 s[0:1], s[10:11], s[0:1]
	s_delay_alu instid0(SALU_CYCLE_1) | instskip(SKIP_2) | instid1(VALU_DEP_1)
	v_add_nc_u64_e32 v[0:1], s[0:1], v[0:1]
	s_mov_b32 s1, 0
	s_lshl_b32 s0, s14, 4
	v_add_nc_u64_e32 v[4:5], 8, v[0:1]
	v_mov_b64_e32 v[0:1], 0
.LBB130_4:                              ; =>This Inner Loop Header: Depth=1
	global_load_b128 v[10:13], v[4:5], off offset:-8
	global_load_b128 v[14:17], v8, s[2:3] scale_offset
	s_wait_xcnt 0x1
	v_add_nc_u64_e32 v[4:5], s[0:1], v[4:5]
	s_add_co_i32 s7, s7, -1
	s_wait_xcnt 0x0
	v_add_nc_u32_e32 v8, 1, v8
	s_cmp_lg_u32 s7, 0
	s_wait_loadcnt 0x0
	v_mul_f64_e32 v[18:19], v[12:13], v[16:17]
	v_mul_f64_e32 v[12:13], v[12:13], v[14:15]
	s_delay_alu instid0(VALU_DEP_2) | instskip(NEXT) | instid1(VALU_DEP_2)
	v_fmac_f64_e32 v[18:19], v[10:11], v[14:15]
	v_fma_f64 v[10:11], v[10:11], v[16:17], -v[12:13]
	s_delay_alu instid0(VALU_DEP_2) | instskip(NEXT) | instid1(VALU_DEP_2)
	v_add_f64_e32 v[0:1], v[0:1], v[18:19]
	v_add_f64_e32 v[2:3], v[2:3], v[10:11]
	s_cbranch_scc1 .LBB130_4
	s_branch .LBB130_6
.LBB130_5:
	v_mov_b64_e32 v[2:3], 0
	v_mov_b64_e32 v[0:1], 0
.LBB130_6:
	v_add_nc_u32_e32 v4, v7, v6
	s_barrier_signal -1
	s_barrier_wait -1
	global_store_b128 v4, v[0:3], s[2:3] scale_offset
.LBB130_7:
	s_endpgm
	.section	.rodata,"a",@progbits
	.p2align	6, 0x0
	.amdhsa_kernel _ZN9rocsolver6v33100L21syevj_diag_rotate_orgILb1E19rocblas_complex_numIdEdPS3_EEvbiT2_iilPT0_Pi
		.amdhsa_group_segment_fixed_size 0
		.amdhsa_private_segment_fixed_size 0
		.amdhsa_kernarg_size 304
		.amdhsa_user_sgpr_count 2
		.amdhsa_user_sgpr_dispatch_ptr 0
		.amdhsa_user_sgpr_queue_ptr 0
		.amdhsa_user_sgpr_kernarg_segment_ptr 1
		.amdhsa_user_sgpr_dispatch_id 0
		.amdhsa_user_sgpr_kernarg_preload_length 0
		.amdhsa_user_sgpr_kernarg_preload_offset 0
		.amdhsa_user_sgpr_private_segment_size 0
		.amdhsa_wavefront_size32 1
		.amdhsa_uses_dynamic_stack 0
		.amdhsa_enable_private_segment 0
		.amdhsa_system_sgpr_workgroup_id_x 1
		.amdhsa_system_sgpr_workgroup_id_y 1
		.amdhsa_system_sgpr_workgroup_id_z 1
		.amdhsa_system_sgpr_workgroup_info 0
		.amdhsa_system_vgpr_workitem_id 1
		.amdhsa_next_free_vgpr 20
		.amdhsa_next_free_sgpr 17
		.amdhsa_named_barrier_count 0
		.amdhsa_reserve_vcc 1
		.amdhsa_float_round_mode_32 0
		.amdhsa_float_round_mode_16_64 0
		.amdhsa_float_denorm_mode_32 3
		.amdhsa_float_denorm_mode_16_64 3
		.amdhsa_fp16_overflow 0
		.amdhsa_memory_ordered 1
		.amdhsa_forward_progress 1
		.amdhsa_inst_pref_size 5
		.amdhsa_round_robin_scheduling 0
		.amdhsa_exception_fp_ieee_invalid_op 0
		.amdhsa_exception_fp_denorm_src 0
		.amdhsa_exception_fp_ieee_div_zero 0
		.amdhsa_exception_fp_ieee_overflow 0
		.amdhsa_exception_fp_ieee_underflow 0
		.amdhsa_exception_fp_ieee_inexact 0
		.amdhsa_exception_int_div_zero 0
	.end_amdhsa_kernel
	.section	.text._ZN9rocsolver6v33100L21syevj_diag_rotate_orgILb1E19rocblas_complex_numIdEdPS3_EEvbiT2_iilPT0_Pi,"axG",@progbits,_ZN9rocsolver6v33100L21syevj_diag_rotate_orgILb1E19rocblas_complex_numIdEdPS3_EEvbiT2_iilPT0_Pi,comdat
.Lfunc_end130:
	.size	_ZN9rocsolver6v33100L21syevj_diag_rotate_orgILb1E19rocblas_complex_numIdEdPS3_EEvbiT2_iilPT0_Pi, .Lfunc_end130-_ZN9rocsolver6v33100L21syevj_diag_rotate_orgILb1E19rocblas_complex_numIdEdPS3_EEvbiT2_iilPT0_Pi
                                        ; -- End function
	.set _ZN9rocsolver6v33100L21syevj_diag_rotate_orgILb1E19rocblas_complex_numIdEdPS3_EEvbiT2_iilPT0_Pi.num_vgpr, 20
	.set _ZN9rocsolver6v33100L21syevj_diag_rotate_orgILb1E19rocblas_complex_numIdEdPS3_EEvbiT2_iilPT0_Pi.num_agpr, 0
	.set _ZN9rocsolver6v33100L21syevj_diag_rotate_orgILb1E19rocblas_complex_numIdEdPS3_EEvbiT2_iilPT0_Pi.numbered_sgpr, 17
	.set _ZN9rocsolver6v33100L21syevj_diag_rotate_orgILb1E19rocblas_complex_numIdEdPS3_EEvbiT2_iilPT0_Pi.num_named_barrier, 0
	.set _ZN9rocsolver6v33100L21syevj_diag_rotate_orgILb1E19rocblas_complex_numIdEdPS3_EEvbiT2_iilPT0_Pi.private_seg_size, 0
	.set _ZN9rocsolver6v33100L21syevj_diag_rotate_orgILb1E19rocblas_complex_numIdEdPS3_EEvbiT2_iilPT0_Pi.uses_vcc, 1
	.set _ZN9rocsolver6v33100L21syevj_diag_rotate_orgILb1E19rocblas_complex_numIdEdPS3_EEvbiT2_iilPT0_Pi.uses_flat_scratch, 0
	.set _ZN9rocsolver6v33100L21syevj_diag_rotate_orgILb1E19rocblas_complex_numIdEdPS3_EEvbiT2_iilPT0_Pi.has_dyn_sized_stack, 0
	.set _ZN9rocsolver6v33100L21syevj_diag_rotate_orgILb1E19rocblas_complex_numIdEdPS3_EEvbiT2_iilPT0_Pi.has_recursion, 0
	.set _ZN9rocsolver6v33100L21syevj_diag_rotate_orgILb1E19rocblas_complex_numIdEdPS3_EEvbiT2_iilPT0_Pi.has_indirect_call, 0
	.section	.AMDGPU.csdata,"",@progbits
; Kernel info:
; codeLenInByte = 572
; TotalNumSgprs: 19
; NumVgprs: 20
; ScratchSize: 0
; MemoryBound: 0
; FloatMode: 240
; IeeeMode: 1
; LDSByteSize: 0 bytes/workgroup (compile time only)
; SGPRBlocks: 0
; VGPRBlocks: 1
; NumSGPRsForWavesPerEU: 19
; NumVGPRsForWavesPerEU: 20
; NamedBarCnt: 0
; Occupancy: 16
; WaveLimiterHint : 0
; COMPUTE_PGM_RSRC2:SCRATCH_EN: 0
; COMPUTE_PGM_RSRC2:USER_SGPR: 2
; COMPUTE_PGM_RSRC2:TRAP_HANDLER: 0
; COMPUTE_PGM_RSRC2:TGID_X_EN: 1
; COMPUTE_PGM_RSRC2:TGID_Y_EN: 1
; COMPUTE_PGM_RSRC2:TGID_Z_EN: 1
; COMPUTE_PGM_RSRC2:TIDIG_COMP_CNT: 1
	.section	.text._ZN9rocsolver6v33100L17syevj_diag_rotateILb0E19rocblas_complex_numIdEdPS3_EEvbiiT2_iilPT0_Pii,"axG",@progbits,_ZN9rocsolver6v33100L17syevj_diag_rotateILb0E19rocblas_complex_numIdEdPS3_EEvbiiT2_iilPT0_Pii,comdat
	.globl	_ZN9rocsolver6v33100L17syevj_diag_rotateILb0E19rocblas_complex_numIdEdPS3_EEvbiiT2_iilPT0_Pii ; -- Begin function _ZN9rocsolver6v33100L17syevj_diag_rotateILb0E19rocblas_complex_numIdEdPS3_EEvbiiT2_iilPT0_Pii
	.p2align	8
	.type	_ZN9rocsolver6v33100L17syevj_diag_rotateILb0E19rocblas_complex_numIdEdPS3_EEvbiiT2_iilPT0_Pii,@function
_ZN9rocsolver6v33100L17syevj_diag_rotateILb0E19rocblas_complex_numIdEdPS3_EEvbiiT2_iilPT0_Pii: ; @_ZN9rocsolver6v33100L17syevj_diag_rotateILb0E19rocblas_complex_numIdEdPS3_EEvbiiT2_iilPT0_Pii
; %bb.0:
	s_load_b96 s[24:26], s[0:1], 0x0
	s_mov_b64 s[22:23], s[0:1]
	v_mov_b32_e32 v41, v0
	s_mov_b32 s29, 0
	s_mov_b32 s32, 0
	s_wait_kmcnt 0x0
	s_abs_i32 s21, s25
	s_mul_i32 s27, s25, s25
	s_cvt_f32_u32 s0, s21
	s_cmp_lt_u32 s27, 0x1001
	s_delay_alu instid0(SALU_CYCLE_2) | instskip(SKIP_2) | instid1(TRANS32_DEP_1)
	v_rcp_iflag_f32_e32 v0, s0
	s_mov_b32 s0, -1
	v_nop
	v_readfirstlane_b32 s28, v0
	s_cbranch_scc1 .LBB131_2
; %bb.1:
	s_get_pc_i64 s[0:1]
	s_add_nc_u64 s[0:1], s[0:1], __PRETTY_FUNCTION__._ZN9rocsolver6v33100L17syevj_diag_rotateILb0E19rocblas_complex_numIdEdPS3_EEvbiiT2_iilPT0_Pii@rel64+4
	s_add_nc_u64 s[8:9], s[22:23], 64
	v_dual_mov_b32 v0, s0 :: v_dual_mov_b32 v1, s1
	s_get_pc_i64 s[2:3]
	s_add_nc_u64 s[2:3], s[2:3], __assert_fail@rel64+4
	s_delay_alu instid0(SALU_CYCLE_1)
	s_swap_pc_i64 s[30:31], s[2:3]
	; divergent unreachable
	s_mov_b32 s0, 0
.LBB131_2:
	s_delay_alu instid0(SALU_CYCLE_1)
	s_and_not1_b32 vcc_lo, exec_lo, s0
	s_cbranch_vccnz .LBB131_36
; %bb.3:
	s_load_b32 s30, s[22:23], 0x38
	s_bfe_u32 s0, ttmp6, 0x40014
	s_lshr_b32 s1, ttmp7, 16
	s_add_co_i32 s0, s0, 1
	s_bfe_u32 s3, ttmp6, 0x40008
	s_mul_i32 s2, s1, s0
	s_getreg_b32 s0, hwreg(HW_REG_IB_STS2, 6, 4)
	s_add_co_i32 s3, s3, s2
	s_cmp_eq_u32 s0, 0
	s_cselect_b32 s16, s1, s3
	s_mov_b32 s3, 0
	s_wait_kmcnt 0x0
	s_cmp_ge_u32 s16, s30
	s_cbranch_scc1 .LBB131_36
; %bb.4:
	s_mul_f32 s1, s28, 0x4f7ffffe
	s_clause 0x1
	s_load_b128 s[12:15], s[22:23], 0x40
	s_load_b64 s[18:19], s[22:23], 0x30
	s_sub_co_i32 s2, 0, s21
	s_cvt_u32_f32 s1, s1
	s_add_co_i32 s4, s26, -1
	s_ashr_i32 s17, s25, 31
	s_abs_i32 s28, s4
	s_mul_i32 s2, s2, s1
	s_ashr_i32 s20, s4, 31
	s_mul_hi_u32 s2, s1, s2
	s_mov_b32 s5, s29
	s_add_co_i32 s4, s1, s2
	s_cmp_lt_u32 s27, 0x801
	s_mul_u64 s[34:35], s[28:29], s[4:5]
	s_cselect_b32 s31, -1, 0
	s_bitcmp1_b32 s24, 0
	v_bfe_u32 v9, v41, 10, 10
	s_cselect_b32 s24, -1, 0
	s_bfe_u32 s1, ttmp6, 0x40010
	s_bfe_u32 s4, ttmp6, 0x4000c
	s_and_b32 s2, ttmp7, 0xffff
	s_add_co_i32 s1, s1, 1
	s_add_co_i32 s4, s4, 1
	s_mul_i32 s1, s2, s1
	s_bfe_u32 s5, ttmp6, 0x40004
	s_and_b32 s6, ttmp6, 15
	s_mul_i32 s4, ttmp9, s4
	s_wait_kmcnt 0x0
	s_lshr_b32 s29, s15, 16
	s_and_b32 s15, s15, 0xffff
	s_add_co_i32 s1, s5, s1
	s_add_co_i32 s33, s6, s4
	s_load_b256 s[4:11], s[22:23], 0x10
	s_cmp_eq_u32 s0, 0
	s_mul_i32 s0, s35, s21
	s_cselect_b32 s33, ttmp9, s33
	s_cselect_b32 s34, s2, s1
	s_sub_co_i32 s0, s28, s0
	s_xor_b32 s1, s20, s17
	s_add_co_i32 s2, s35, 1
	s_sub_co_i32 s17, s0, s21
	s_cmp_ge_u32 s0, s21
	v_mul_lo_u32 v0, v9, s25
	s_cselect_b32 s2, s2, s35
	s_cselect_b32 s0, s17, s0
	s_add_co_i32 s17, s2, 1
	s_cmp_ge_u32 s0, s21
	v_and_b32_e32 v8, 0x3ff, v41
	s_cselect_b32 s0, s17, s2
	s_mov_b64 s[36:37], src_shared_base
	s_xor_b32 s0, s0, s1
	s_delay_alu instid0(VALU_DEP_1)
	v_dual_mov_b32 v5, 0 :: v_dual_lshlrev_b32 v1, 4, v8
	s_sub_co_i32 s28, s0, s1
	s_lshl_b32 s0, s27, 4
	s_add_co_i32 s35, s28, 1
	s_add_co_i32 s36, s0, 0
	s_wait_kmcnt 0x0
	s_ashr_i32 s23, s6, 31
	v_mad_u32_u24 v10, v9, s15, v8
	v_dual_lshlrev_b32 v0, 4, v0 :: v_dual_add_nc_u32 v13, 0, v1
	s_cmp_lt_u32 s33, s35
	s_mul_i32 s0, s28, s25
	s_cselect_b32 s38, -1, 0
	s_sub_co_i32 s26, s26, s0
	s_mov_b32 s22, s6
	s_cmp_lt_u32 s34, s35
	v_cmp_gt_u32_e64 s0, s27, v10
	v_lshl_add_u32 v11, v10, 4, s36
	v_add3_u32 v12, v0, v1, 0
	s_mul_i32 s39, s29, s15
	s_cselect_b32 s40, -1, 0
	s_ashr_i32 s21, s7, 31
	s_mov_b32 s20, s7
	s_lshl_b64 s[6:7], s[22:23], 4
	s_mul_i32 s1, s25, s29
	s_add_nc_u64 s[4:5], s[4:5], s[6:7]
	s_lshl_b32 s41, s39, 4
	s_lshl_b32 s42, s1, 4
	;; [unrolled: 1-line block ×3, first 2 shown]
	s_mul_i32 s44, s34, s25
	s_mul_i32 s45, s13, s25
	s_lshl_b32 s46, s25, 4
	s_branch .LBB131_6
.LBB131_5:                              ;   in Loop: Header=BB131_6 Depth=1
	s_add_co_i32 s16, s16, s14
	s_delay_alu instid0(SALU_CYCLE_1)
	s_cmp_lt_u32 s16, s30
	s_cbranch_scc0 .LBB131_36
.LBB131_6:                              ; =>This Loop Header: Depth=1
                                        ;     Child Loop BB131_10 Depth 2
                                        ;       Child Loop BB131_13 Depth 3
                                        ;       Child Loop BB131_19 Depth 3
                                        ;         Child Loop BB131_23 Depth 4
                                        ;           Child Loop BB131_25 Depth 5
                                        ;         Child Loop BB131_29 Depth 4
                                        ;           Child Loop BB131_33 Depth 5
                                        ;             Child Loop BB131_35 Depth 6
	s_wait_xcnt 0x0
	v_mov_b32_e32 v0, s16
	global_load_b32 v0, v0, s[18:19] offset:4 scale_offset
	s_wait_loadcnt 0x0
	v_cmp_ne_u32_e32 vcc_lo, 0, v0
	s_cbranch_vccnz .LBB131_5
; %bb.7:                                ;   in Loop: Header=BB131_6 Depth=1
	s_and_not1_b32 vcc_lo, exec_lo, s38
	s_cbranch_vccnz .LBB131_5
; %bb.8:                                ;   in Loop: Header=BB131_6 Depth=1
	s_mov_b32 s17, s3
	s_mov_b32 s47, s33
	s_mul_u64 s[6:7], s[8:9], s[16:17]
	s_mul_i32 s17, s16, s35
	s_lshl_b64 s[6:7], s[6:7], 4
	s_delay_alu instid0(SALU_CYCLE_1)
	s_add_nc_u64 s[6:7], s[4:5], s[6:7]
	s_branch .LBB131_10
.LBB131_9:                              ;   in Loop: Header=BB131_10 Depth=2
	s_add_co_i32 s47, s47, s12
	s_delay_alu instid0(SALU_CYCLE_1)
	s_cmp_ge_u32 s47, s35
	s_cbranch_scc1 .LBB131_5
.LBB131_10:                             ;   Parent Loop BB131_6 Depth=1
                                        ; =>  This Loop Header: Depth=2
                                        ;       Child Loop BB131_13 Depth 3
                                        ;       Child Loop BB131_19 Depth 3
                                        ;         Child Loop BB131_23 Depth 4
                                        ;           Child Loop BB131_25 Depth 5
                                        ;         Child Loop BB131_29 Depth 4
                                        ;           Child Loop BB131_33 Depth 5
                                        ;             Child Loop BB131_35 Depth 6
	s_add_co_i32 s1, s47, s17
	s_and_not1_b32 vcc_lo, exec_lo, s31
	s_mul_i32 s2, s1, s27
	s_delay_alu instid0(SALU_CYCLE_1) | instskip(NEXT) | instid1(SALU_CYCLE_1)
	s_lshl_b64 s[22:23], s[2:3], 4
	s_add_nc_u64 s[22:23], s[10:11], s[22:23]
	s_cbranch_vccnz .LBB131_15
; %bb.11:                               ;   in Loop: Header=BB131_10 Depth=2
	s_wait_storecnt 0x0
	s_barrier_signal -1
	s_barrier_wait -1
	s_wait_xcnt 0x0
	s_and_saveexec_b32 s1, s0
	s_cbranch_execz .LBB131_14
; %bb.12:                               ;   in Loop: Header=BB131_10 Depth=2
	v_dual_mov_b32 v0, v11 :: v_dual_mov_b32 v1, v10
	s_mov_b32 s2, 0
.LBB131_13:                             ;   Parent Loop BB131_6 Depth=1
                                        ;     Parent Loop BB131_10 Depth=2
                                        ; =>    This Inner Loop Header: Depth=3
	global_load_b128 v[14:17], v1, s[22:23] scale_offset
	s_wait_xcnt 0x0
	v_add_nc_u32_e32 v1, s39, v1
	s_wait_loadcnt 0x0
	ds_store_2addr_b64 v0, v[14:15], v[16:17] offset1:1
	v_add_nc_u32_e32 v0, s41, v0
	v_cmp_le_u32_e32 vcc_lo, s27, v1
	s_or_b32 s2, vcc_lo, s2
	s_delay_alu instid0(SALU_CYCLE_1)
	s_and_not1_b32 exec_lo, exec_lo, s2
	s_cbranch_execnz .LBB131_13
.LBB131_14:                             ;   in Loop: Header=BB131_10 Depth=2
	s_or_b32 exec_lo, exec_lo, s1
	s_wait_dscnt 0x0
	s_barrier_signal -1
	s_barrier_wait -1
.LBB131_15:                             ;   in Loop: Header=BB131_10 Depth=2
	s_and_not1_b32 vcc_lo, exec_lo, s40
	s_cbranch_vccnz .LBB131_9
; %bb.16:                               ;   in Loop: Header=BB131_10 Depth=2
	s_and_b32 s1, s31, exec_lo
	s_cselect_b32 s23, s37, s23
	s_cselect_b32 s22, s36, s22
	s_cmp_eq_u32 s47, s28
	s_mul_i32 s50, s47, s25
	s_cselect_b32 s48, s26, s25
	s_mov_b32 s51, s44
	v_cmp_gt_u32_e64 s1, s48, v9
	s_cmp_gt_i32 s48, 0
	s_mov_b32 s52, s34
	s_cselect_b32 s49, -1, 0
	s_branch .LBB131_19
.LBB131_17:                             ;   in Loop: Header=BB131_19 Depth=3
	s_or_b32 exec_lo, exec_lo, s54
	s_wait_storecnt 0x0
	s_barrier_signal -1
	s_barrier_wait -1
.LBB131_18:                             ;   in Loop: Header=BB131_19 Depth=3
	s_add_co_i32 s52, s52, s13
	s_add_co_i32 s51, s51, s45
	s_cmp_ge_u32 s52, s35
	s_cbranch_scc1 .LBB131_9
.LBB131_19:                             ;   Parent Loop BB131_6 Depth=1
                                        ;     Parent Loop BB131_10 Depth=2
                                        ; =>    This Loop Header: Depth=3
                                        ;         Child Loop BB131_23 Depth 4
                                        ;           Child Loop BB131_25 Depth 5
                                        ;         Child Loop BB131_29 Depth 4
                                        ;           Child Loop BB131_33 Depth 5
                                        ;             Child Loop BB131_35 Depth 6
	s_cmp_eq_u32 s47, s52
	s_cselect_b32 s2, -1, 0
	s_delay_alu instid0(SALU_CYCLE_1) | instskip(NEXT) | instid1(SALU_CYCLE_1)
	s_and_b32 s2, s24, s2
	s_and_b32 vcc_lo, exec_lo, s2
	s_cbranch_vccnz .LBB131_18
; %bb.20:                               ;   in Loop: Header=BB131_19 Depth=3
	s_cmp_eq_u32 s52, s28
	s_wait_storecnt 0x0
	s_cselect_b32 s53, s26, s25
	s_barrier_signal -1
	s_barrier_wait -1
	s_wait_xcnt 0x0
	s_and_saveexec_b32 s54, s1
	s_cbranch_execz .LBB131_26
; %bb.21:                               ;   in Loop: Header=BB131_19 Depth=3
	v_dual_mov_b32 v2, v12 :: v_dual_mov_b32 v3, v9
	s_mov_b32 s55, 0
	v_cmp_gt_u32_e32 vcc_lo, s53, v8
	s_branch .LBB131_23
.LBB131_22:                             ;   in Loop: Header=BB131_23 Depth=4
	s_or_b32 exec_lo, exec_lo, s56
	v_dual_add_nc_u32 v3, s29, v3 :: v_dual_add_nc_u32 v2, s42, v2
	s_delay_alu instid0(VALU_DEP_1) | instskip(SKIP_1) | instid1(SALU_CYCLE_1)
	v_cmp_le_u32_e64 s2, s48, v3
	s_or_b32 s55, s2, s55
	s_and_not1_b32 exec_lo, exec_lo, s55
	s_cbranch_execz .LBB131_26
.LBB131_23:                             ;   Parent Loop BB131_6 Depth=1
                                        ;     Parent Loop BB131_10 Depth=2
                                        ;       Parent Loop BB131_19 Depth=3
                                        ; =>      This Loop Header: Depth=4
                                        ;           Child Loop BB131_25 Depth 5
	s_and_saveexec_b32 s56, vcc_lo
	s_cbranch_execz .LBB131_22
; %bb.24:                               ;   in Loop: Header=BB131_23 Depth=4
	v_dual_add_nc_u32 v4, s50, v3 :: v_dual_mov_b32 v6, v2
	v_mov_b32_e32 v7, v8
	s_mov_b32 s57, 0
	s_delay_alu instid0(VALU_DEP_2) | instskip(NEXT) | instid1(VALU_DEP_1)
	v_mul_u64_e32 v[0:1], s[20:21], v[4:5]
	v_lshl_add_u64 v[0:1], v[0:1], 4, s[6:7]
.LBB131_25:                             ;   Parent Loop BB131_6 Depth=1
                                        ;     Parent Loop BB131_10 Depth=2
                                        ;       Parent Loop BB131_19 Depth=3
                                        ;         Parent Loop BB131_23 Depth=4
                                        ; =>        This Inner Loop Header: Depth=5
	s_delay_alu instid0(VALU_DEP_3) | instskip(NEXT) | instid1(VALU_DEP_1)
	v_dual_add_nc_u32 v4, s51, v7 :: v_dual_add_nc_u32 v7, s15, v7
	v_lshl_add_u64 v[14:15], v[4:5], 4, v[0:1]
	s_delay_alu instid0(VALU_DEP_2)
	v_cmp_le_u32_e64 s2, s53, v7
	global_load_b128 v[14:17], v[14:15], off
	s_or_b32 s57, s2, s57
	s_wait_loadcnt 0x0
	ds_store_2addr_b64 v6, v[14:15], v[16:17] offset1:1
	v_add_nc_u32_e32 v6, s43, v6
	s_wait_xcnt 0x0
	s_and_not1_b32 exec_lo, exec_lo, s57
	s_cbranch_execnz .LBB131_25
	s_branch .LBB131_22
.LBB131_26:                             ;   in Loop: Header=BB131_19 Depth=3
	s_or_b32 exec_lo, exec_lo, s54
	s_wait_dscnt 0x0
	s_barrier_signal -1
	s_barrier_wait -1
	s_and_saveexec_b32 s54, s1
	s_cbranch_execz .LBB131_17
; %bb.27:                               ;   in Loop: Header=BB131_19 Depth=3
	v_cmp_gt_u32_e64 s2, s53, v8
	v_mov_b32_e32 v14, v9
	s_mul_i32 s55, s52, s25
	s_mov_b32 s56, 0
	s_branch .LBB131_29
.LBB131_28:                             ;   in Loop: Header=BB131_29 Depth=4
	s_or_b32 exec_lo, exec_lo, s57
	v_add_nc_u32_e32 v14, s29, v14
	s_delay_alu instid0(VALU_DEP_1) | instskip(SKIP_1) | instid1(SALU_CYCLE_1)
	v_cmp_le_u32_e32 vcc_lo, s48, v14
	s_or_b32 s56, vcc_lo, s56
	s_and_not1_b32 exec_lo, exec_lo, s56
	s_cbranch_execz .LBB131_17
.LBB131_29:                             ;   Parent Loop BB131_6 Depth=1
                                        ;     Parent Loop BB131_10 Depth=2
                                        ;       Parent Loop BB131_19 Depth=3
                                        ; =>      This Loop Header: Depth=4
                                        ;           Child Loop BB131_33 Depth 5
                                        ;             Child Loop BB131_35 Depth 6
	s_and_saveexec_b32 s57, s2
	s_cbranch_execz .LBB131_28
; %bb.30:                               ;   in Loop: Header=BB131_29 Depth=4
	v_dual_mov_b32 v15, v13 :: v_dual_add_nc_u32 v4, s50, v14
	v_mov_b32_e32 v16, v8
	s_mov_b32 s58, 0
	s_delay_alu instid0(VALU_DEP_2) | instskip(NEXT) | instid1(VALU_DEP_1)
	v_mul_u64_e32 v[0:1], s[20:21], v[4:5]
	v_lshl_add_u64 v[6:7], v[0:1], 4, s[6:7]
	s_branch .LBB131_33
.LBB131_31:                             ;   in Loop: Header=BB131_33 Depth=5
	s_delay_alu instid0(VALU_DEP_1)
	v_mov_b64_e32 v[0:1], v[2:3]
.LBB131_32:                             ;   in Loop: Header=BB131_33 Depth=5
	v_dual_add_nc_u32 v4, s55, v16 :: v_dual_add_nc_u32 v16, s15, v16
	v_add_nc_u32_e32 v15, s43, v15
	s_delay_alu instid0(VALU_DEP_2) | instskip(NEXT) | instid1(VALU_DEP_3)
	v_lshl_add_u64 v[18:19], v[4:5], 4, v[6:7]
	v_cmp_le_u32_e32 vcc_lo, s53, v16
	global_store_b128 v[18:19], v[0:3], off
	s_or_b32 s58, vcc_lo, s58
	s_wait_xcnt 0x0
	s_and_not1_b32 exec_lo, exec_lo, s58
	s_cbranch_execz .LBB131_28
.LBB131_33:                             ;   Parent Loop BB131_6 Depth=1
                                        ;     Parent Loop BB131_10 Depth=2
                                        ;       Parent Loop BB131_19 Depth=3
                                        ;         Parent Loop BB131_29 Depth=4
                                        ; =>        This Loop Header: Depth=5
                                        ;             Child Loop BB131_35 Depth 6
	v_mov_b64_e32 v[2:3], 0
	s_and_not1_b32 vcc_lo, exec_lo, s49
	s_cbranch_vccnz .LBB131_31
; %bb.34:                               ;   in Loop: Header=BB131_33 Depth=5
	s_delay_alu instid0(VALU_DEP_1)
	v_mov_b64_e32 v[0:1], v[2:3]
	v_dual_mov_b32 v4, v14 :: v_dual_mov_b32 v17, v15
	s_mov_b32 s59, s48
.LBB131_35:                             ;   Parent Loop BB131_6 Depth=1
                                        ;     Parent Loop BB131_10 Depth=2
                                        ;       Parent Loop BB131_19 Depth=3
                                        ;         Parent Loop BB131_29 Depth=4
                                        ;           Parent Loop BB131_33 Depth=5
                                        ; =>          This Inner Loop Header: Depth=6
	flat_load_b128 v[18:21], v4, s[22:23] scale_offset
	ds_load_2addr_b64 v[22:25], v17 offset1:1
	s_add_co_i32 s59, s59, -1
	v_add_nc_u32_e32 v17, s46, v17
	s_cmp_eq_u32 s59, 0
	s_wait_xcnt 0x0
	v_add_nc_u32_e32 v4, s25, v4
	s_wait_loadcnt_dscnt 0x0
	v_mul_f64_e32 v[26:27], v[24:25], v[20:21]
	v_mul_f64_e32 v[20:21], v[22:23], v[20:21]
	s_delay_alu instid0(VALU_DEP_2) | instskip(NEXT) | instid1(VALU_DEP_2)
	v_fma_f64 v[22:23], v[22:23], v[18:19], -v[26:27]
	v_fmac_f64_e32 v[20:21], v[24:25], v[18:19]
	s_delay_alu instid0(VALU_DEP_2) | instskip(NEXT) | instid1(VALU_DEP_2)
	v_add_f64_e32 v[0:1], v[0:1], v[22:23]
	v_add_f64_e32 v[2:3], v[2:3], v[20:21]
	s_cbranch_scc0 .LBB131_35
	s_branch .LBB131_32
.LBB131_36:
	s_endpgm
	.section	.rodata,"a",@progbits
	.p2align	6, 0x0
	.amdhsa_kernel _ZN9rocsolver6v33100L17syevj_diag_rotateILb0E19rocblas_complex_numIdEdPS3_EEvbiiT2_iilPT0_Pii
		.amdhsa_group_segment_fixed_size 0
		.amdhsa_private_segment_fixed_size 64
		.amdhsa_kernarg_size 320
		.amdhsa_user_sgpr_count 2
		.amdhsa_user_sgpr_dispatch_ptr 0
		.amdhsa_user_sgpr_queue_ptr 0
		.amdhsa_user_sgpr_kernarg_segment_ptr 1
		.amdhsa_user_sgpr_dispatch_id 0
		.amdhsa_user_sgpr_kernarg_preload_length 0
		.amdhsa_user_sgpr_kernarg_preload_offset 0
		.amdhsa_user_sgpr_private_segment_size 0
		.amdhsa_wavefront_size32 1
		.amdhsa_uses_dynamic_stack 0
		.amdhsa_enable_private_segment 1
		.amdhsa_system_sgpr_workgroup_id_x 1
		.amdhsa_system_sgpr_workgroup_id_y 1
		.amdhsa_system_sgpr_workgroup_id_z 1
		.amdhsa_system_sgpr_workgroup_info 0
		.amdhsa_system_vgpr_workitem_id 1
		.amdhsa_next_free_vgpr 49
		.amdhsa_next_free_sgpr 60
		.amdhsa_named_barrier_count 0
		.amdhsa_reserve_vcc 1
		.amdhsa_float_round_mode_32 0
		.amdhsa_float_round_mode_16_64 0
		.amdhsa_float_denorm_mode_32 3
		.amdhsa_float_denorm_mode_16_64 3
		.amdhsa_fp16_overflow 0
		.amdhsa_memory_ordered 1
		.amdhsa_forward_progress 1
		.amdhsa_inst_pref_size 12
		.amdhsa_round_robin_scheduling 0
		.amdhsa_exception_fp_ieee_invalid_op 0
		.amdhsa_exception_fp_denorm_src 0
		.amdhsa_exception_fp_ieee_div_zero 0
		.amdhsa_exception_fp_ieee_overflow 0
		.amdhsa_exception_fp_ieee_underflow 0
		.amdhsa_exception_fp_ieee_inexact 0
		.amdhsa_exception_int_div_zero 0
	.end_amdhsa_kernel
	.section	.text._ZN9rocsolver6v33100L17syevj_diag_rotateILb0E19rocblas_complex_numIdEdPS3_EEvbiiT2_iilPT0_Pii,"axG",@progbits,_ZN9rocsolver6v33100L17syevj_diag_rotateILb0E19rocblas_complex_numIdEdPS3_EEvbiiT2_iilPT0_Pii,comdat
.Lfunc_end131:
	.size	_ZN9rocsolver6v33100L17syevj_diag_rotateILb0E19rocblas_complex_numIdEdPS3_EEvbiiT2_iilPT0_Pii, .Lfunc_end131-_ZN9rocsolver6v33100L17syevj_diag_rotateILb0E19rocblas_complex_numIdEdPS3_EEvbiiT2_iilPT0_Pii
                                        ; -- End function
	.set _ZN9rocsolver6v33100L17syevj_diag_rotateILb0E19rocblas_complex_numIdEdPS3_EEvbiiT2_iilPT0_Pii.num_vgpr, max(42, .L__assert_fail.num_vgpr)
	.set _ZN9rocsolver6v33100L17syevj_diag_rotateILb0E19rocblas_complex_numIdEdPS3_EEvbiiT2_iilPT0_Pii.num_agpr, max(0, .L__assert_fail.num_agpr)
	.set _ZN9rocsolver6v33100L17syevj_diag_rotateILb0E19rocblas_complex_numIdEdPS3_EEvbiiT2_iilPT0_Pii.numbered_sgpr, max(60, .L__assert_fail.numbered_sgpr)
	.set _ZN9rocsolver6v33100L17syevj_diag_rotateILb0E19rocblas_complex_numIdEdPS3_EEvbiiT2_iilPT0_Pii.num_named_barrier, max(0, .L__assert_fail.num_named_barrier)
	.set _ZN9rocsolver6v33100L17syevj_diag_rotateILb0E19rocblas_complex_numIdEdPS3_EEvbiiT2_iilPT0_Pii.private_seg_size, 0+max(.L__assert_fail.private_seg_size)
	.set _ZN9rocsolver6v33100L17syevj_diag_rotateILb0E19rocblas_complex_numIdEdPS3_EEvbiiT2_iilPT0_Pii.uses_vcc, or(1, .L__assert_fail.uses_vcc)
	.set _ZN9rocsolver6v33100L17syevj_diag_rotateILb0E19rocblas_complex_numIdEdPS3_EEvbiiT2_iilPT0_Pii.uses_flat_scratch, or(0, .L__assert_fail.uses_flat_scratch)
	.set _ZN9rocsolver6v33100L17syevj_diag_rotateILb0E19rocblas_complex_numIdEdPS3_EEvbiiT2_iilPT0_Pii.has_dyn_sized_stack, or(0, .L__assert_fail.has_dyn_sized_stack)
	.set _ZN9rocsolver6v33100L17syevj_diag_rotateILb0E19rocblas_complex_numIdEdPS3_EEvbiiT2_iilPT0_Pii.has_recursion, or(0, .L__assert_fail.has_recursion)
	.set _ZN9rocsolver6v33100L17syevj_diag_rotateILb0E19rocblas_complex_numIdEdPS3_EEvbiiT2_iilPT0_Pii.has_indirect_call, or(0, .L__assert_fail.has_indirect_call)
	.section	.AMDGPU.csdata,"",@progbits
; Kernel info:
; codeLenInByte = 1524
; TotalNumSgprs: 62
; NumVgprs: 49
; ScratchSize: 64
; MemoryBound: 0
; FloatMode: 240
; IeeeMode: 1
; LDSByteSize: 0 bytes/workgroup (compile time only)
; SGPRBlocks: 0
; VGPRBlocks: 3
; NumSGPRsForWavesPerEU: 62
; NumVGPRsForWavesPerEU: 49
; NamedBarCnt: 0
; Occupancy: 16
; WaveLimiterHint : 1
; COMPUTE_PGM_RSRC2:SCRATCH_EN: 1
; COMPUTE_PGM_RSRC2:USER_SGPR: 2
; COMPUTE_PGM_RSRC2:TRAP_HANDLER: 0
; COMPUTE_PGM_RSRC2:TGID_X_EN: 1
; COMPUTE_PGM_RSRC2:TGID_Y_EN: 1
; COMPUTE_PGM_RSRC2:TGID_Z_EN: 1
; COMPUTE_PGM_RSRC2:TIDIG_COMP_CNT: 1
	.section	.text._ZN9rocsolver6v33100L17syevj_diag_rotateILb1E19rocblas_complex_numIdEdPS3_EEvbiiT2_iilPT0_Pii,"axG",@progbits,_ZN9rocsolver6v33100L17syevj_diag_rotateILb1E19rocblas_complex_numIdEdPS3_EEvbiiT2_iilPT0_Pii,comdat
	.globl	_ZN9rocsolver6v33100L17syevj_diag_rotateILb1E19rocblas_complex_numIdEdPS3_EEvbiiT2_iilPT0_Pii ; -- Begin function _ZN9rocsolver6v33100L17syevj_diag_rotateILb1E19rocblas_complex_numIdEdPS3_EEvbiiT2_iilPT0_Pii
	.p2align	8
	.type	_ZN9rocsolver6v33100L17syevj_diag_rotateILb1E19rocblas_complex_numIdEdPS3_EEvbiiT2_iilPT0_Pii,@function
_ZN9rocsolver6v33100L17syevj_diag_rotateILb1E19rocblas_complex_numIdEdPS3_EEvbiiT2_iilPT0_Pii: ; @_ZN9rocsolver6v33100L17syevj_diag_rotateILb1E19rocblas_complex_numIdEdPS3_EEvbiiT2_iilPT0_Pii
; %bb.0:
	s_load_b96 s[24:26], s[0:1], 0x0
	s_mov_b64 s[22:23], s[0:1]
	v_mov_b32_e32 v41, v0
	s_mov_b32 s29, 0
	s_mov_b32 s32, 0
	s_wait_kmcnt 0x0
	s_abs_i32 s21, s25
	s_mul_i32 s27, s25, s25
	s_cvt_f32_u32 s0, s21
	s_cmp_lt_u32 s27, 0x1001
	s_delay_alu instid0(SALU_CYCLE_2) | instskip(SKIP_2) | instid1(TRANS32_DEP_1)
	v_rcp_iflag_f32_e32 v0, s0
	s_mov_b32 s0, -1
	v_nop
	v_readfirstlane_b32 s28, v0
	s_cbranch_scc1 .LBB132_2
; %bb.1:
	s_get_pc_i64 s[0:1]
	s_add_nc_u64 s[0:1], s[0:1], __PRETTY_FUNCTION__._ZN9rocsolver6v33100L17syevj_diag_rotateILb1E19rocblas_complex_numIdEdPS3_EEvbiiT2_iilPT0_Pii@rel64+4
	s_add_nc_u64 s[8:9], s[22:23], 64
	v_dual_mov_b32 v0, s0 :: v_dual_mov_b32 v1, s1
	s_get_pc_i64 s[2:3]
	s_add_nc_u64 s[2:3], s[2:3], __assert_fail@rel64+4
	s_delay_alu instid0(SALU_CYCLE_1)
	s_swap_pc_i64 s[30:31], s[2:3]
	; divergent unreachable
	s_mov_b32 s0, 0
.LBB132_2:
	s_delay_alu instid0(SALU_CYCLE_1)
	s_and_not1_b32 vcc_lo, exec_lo, s0
	s_cbranch_vccnz .LBB132_36
; %bb.3:
	s_load_b32 s30, s[22:23], 0x38
	s_bfe_u32 s0, ttmp6, 0x40014
	s_lshr_b32 s1, ttmp7, 16
	s_add_co_i32 s0, s0, 1
	s_bfe_u32 s3, ttmp6, 0x40008
	s_mul_i32 s2, s1, s0
	s_getreg_b32 s0, hwreg(HW_REG_IB_STS2, 6, 4)
	s_add_co_i32 s3, s3, s2
	s_cmp_eq_u32 s0, 0
	s_cselect_b32 s16, s1, s3
	s_mov_b32 s3, 0
	s_wait_kmcnt 0x0
	s_cmp_ge_u32 s16, s30
	s_cbranch_scc1 .LBB132_36
; %bb.4:
	s_mul_f32 s1, s28, 0x4f7ffffe
	s_clause 0x1
	s_load_b128 s[12:15], s[22:23], 0x40
	s_load_b64 s[18:19], s[22:23], 0x30
	s_sub_co_i32 s2, 0, s21
	s_cvt_u32_f32 s1, s1
	s_add_co_i32 s4, s26, -1
	s_ashr_i32 s17, s25, 31
	s_abs_i32 s28, s4
	s_mul_i32 s2, s2, s1
	s_ashr_i32 s20, s4, 31
	s_mul_hi_u32 s2, s1, s2
	s_mov_b32 s5, s29
	s_add_co_i32 s4, s1, s2
	s_cmp_lt_u32 s27, 0x801
	s_mul_u64 s[34:35], s[28:29], s[4:5]
	s_cselect_b32 s31, -1, 0
	s_bitcmp1_b32 s24, 0
	v_bfe_u32 v9, v41, 10, 10
	s_cselect_b32 s24, -1, 0
	s_bfe_u32 s1, ttmp6, 0x40010
	s_bfe_u32 s4, ttmp6, 0x4000c
	s_and_b32 s2, ttmp7, 0xffff
	s_add_co_i32 s1, s1, 1
	s_add_co_i32 s4, s4, 1
	s_mul_i32 s1, s2, s1
	s_bfe_u32 s5, ttmp6, 0x40004
	s_and_b32 s6, ttmp6, 15
	s_mul_i32 s4, ttmp9, s4
	s_wait_kmcnt 0x0
	s_lshr_b32 s29, s15, 16
	s_and_b32 s15, s15, 0xffff
	s_add_co_i32 s1, s5, s1
	s_add_co_i32 s33, s6, s4
	s_load_b256 s[4:11], s[22:23], 0x10
	s_cmp_eq_u32 s0, 0
	s_mul_i32 s0, s35, s21
	s_cselect_b32 s33, ttmp9, s33
	s_cselect_b32 s34, s2, s1
	s_sub_co_i32 s0, s28, s0
	s_xor_b32 s1, s20, s17
	s_add_co_i32 s2, s35, 1
	s_sub_co_i32 s17, s0, s21
	s_cmp_ge_u32 s0, s21
	v_mul_lo_u32 v0, v9, s25
	s_cselect_b32 s2, s2, s35
	s_cselect_b32 s0, s17, s0
	s_add_co_i32 s17, s2, 1
	s_cmp_ge_u32 s0, s21
	v_and_b32_e32 v8, 0x3ff, v41
	s_cselect_b32 s0, s17, s2
	s_mov_b64 s[36:37], src_shared_base
	s_xor_b32 s0, s0, s1
	v_mov_b32_e32 v5, 0
	s_sub_co_i32 s28, s0, s1
	s_lshl_b32 s0, s27, 4
	s_add_co_i32 s35, s28, 1
	s_add_co_i32 s36, s0, 0
	s_wait_kmcnt 0x0
	s_ashr_i32 s23, s6, 31
	v_mad_u32_u24 v10, v9, s15, v8
	v_lshlrev_b32_e32 v0, 4, v0
	v_lshlrev_b32_e32 v1, 4, v8
	s_cmp_lt_u32 s33, s35
	s_mul_i32 s0, s28, s25
	s_cselect_b32 s38, -1, 0
	s_sub_co_i32 s26, s26, s0
	s_mov_b32 s22, s6
	s_cmp_lt_u32 s34, s35
	v_cmp_gt_u32_e64 s0, s27, v10
	v_lshl_add_u32 v11, v10, 4, s36
	v_add3_u32 v12, v0, v1, 0
	v_add_nc_u32_e32 v13, 0, v0
	s_mul_i32 s39, s29, s15
	s_cselect_b32 s40, -1, 0
	s_ashr_i32 s21, s7, 31
	s_mov_b32 s20, s7
	s_lshl_b64 s[6:7], s[22:23], 4
	s_mul_i32 s1, s25, s29
	s_add_nc_u64 s[4:5], s[4:5], s[6:7]
	s_lshl_b32 s41, s39, 4
	s_lshl_b32 s42, s1, 4
	;; [unrolled: 1-line block ×3, first 2 shown]
	s_mul_i32 s44, s33, s25
	s_mul_i32 s45, s12, s25
	s_branch .LBB132_6
.LBB132_5:                              ;   in Loop: Header=BB132_6 Depth=1
	s_add_co_i32 s16, s16, s14
	s_delay_alu instid0(SALU_CYCLE_1)
	s_cmp_lt_u32 s16, s30
	s_cbranch_scc0 .LBB132_36
.LBB132_6:                              ; =>This Loop Header: Depth=1
                                        ;     Child Loop BB132_10 Depth 2
                                        ;       Child Loop BB132_13 Depth 3
                                        ;       Child Loop BB132_19 Depth 3
                                        ;         Child Loop BB132_23 Depth 4
                                        ;           Child Loop BB132_25 Depth 5
                                        ;         Child Loop BB132_29 Depth 4
                                        ;           Child Loop BB132_33 Depth 5
                                        ;             Child Loop BB132_35 Depth 6
	s_wait_xcnt 0x0
	v_mov_b32_e32 v0, s16
	global_load_b32 v0, v0, s[18:19] offset:4 scale_offset
	s_wait_loadcnt 0x0
	v_cmp_ne_u32_e32 vcc_lo, 0, v0
	s_cbranch_vccnz .LBB132_5
; %bb.7:                                ;   in Loop: Header=BB132_6 Depth=1
	s_and_not1_b32 vcc_lo, exec_lo, s38
	s_cbranch_vccnz .LBB132_5
; %bb.8:                                ;   in Loop: Header=BB132_6 Depth=1
	s_mov_b32 s17, s3
	s_mov_b32 s46, s44
	s_mul_u64 s[6:7], s[8:9], s[16:17]
	s_mul_i32 s17, s16, s35
	s_lshl_b64 s[6:7], s[6:7], 4
	s_mov_b32 s47, s33
	s_add_nc_u64 s[6:7], s[4:5], s[6:7]
	s_branch .LBB132_10
.LBB132_9:                              ;   in Loop: Header=BB132_10 Depth=2
	s_add_co_i32 s47, s47, s12
	s_add_co_i32 s46, s46, s45
	s_cmp_ge_u32 s47, s35
	s_cbranch_scc1 .LBB132_5
.LBB132_10:                             ;   Parent Loop BB132_6 Depth=1
                                        ; =>  This Loop Header: Depth=2
                                        ;       Child Loop BB132_13 Depth 3
                                        ;       Child Loop BB132_19 Depth 3
                                        ;         Child Loop BB132_23 Depth 4
                                        ;           Child Loop BB132_25 Depth 5
                                        ;         Child Loop BB132_29 Depth 4
                                        ;           Child Loop BB132_33 Depth 5
                                        ;             Child Loop BB132_35 Depth 6
	s_add_co_i32 s1, s47, s17
	s_and_not1_b32 vcc_lo, exec_lo, s31
	s_mul_i32 s2, s1, s27
	s_delay_alu instid0(SALU_CYCLE_1) | instskip(NEXT) | instid1(SALU_CYCLE_1)
	s_lshl_b64 s[22:23], s[2:3], 4
	s_add_nc_u64 s[22:23], s[10:11], s[22:23]
	s_cbranch_vccnz .LBB132_15
; %bb.11:                               ;   in Loop: Header=BB132_10 Depth=2
	s_wait_storecnt 0x0
	s_barrier_signal -1
	s_barrier_wait -1
	s_wait_xcnt 0x0
	s_and_saveexec_b32 s1, s0
	s_cbranch_execz .LBB132_14
; %bb.12:                               ;   in Loop: Header=BB132_10 Depth=2
	v_dual_mov_b32 v0, v11 :: v_dual_mov_b32 v1, v10
	s_mov_b32 s2, 0
.LBB132_13:                             ;   Parent Loop BB132_6 Depth=1
                                        ;     Parent Loop BB132_10 Depth=2
                                        ; =>    This Inner Loop Header: Depth=3
	global_load_b128 v[14:17], v1, s[22:23] scale_offset
	s_wait_xcnt 0x0
	v_add_nc_u32_e32 v1, s39, v1
	s_wait_loadcnt 0x0
	ds_store_2addr_b64 v0, v[14:15], v[16:17] offset1:1
	v_add_nc_u32_e32 v0, s41, v0
	v_cmp_le_u32_e32 vcc_lo, s27, v1
	s_or_b32 s2, vcc_lo, s2
	s_delay_alu instid0(SALU_CYCLE_1)
	s_and_not1_b32 exec_lo, exec_lo, s2
	s_cbranch_execnz .LBB132_13
.LBB132_14:                             ;   in Loop: Header=BB132_10 Depth=2
	s_or_b32 exec_lo, exec_lo, s1
	s_wait_dscnt 0x0
	s_barrier_signal -1
	s_barrier_wait -1
.LBB132_15:                             ;   in Loop: Header=BB132_10 Depth=2
	s_and_not1_b32 vcc_lo, exec_lo, s40
	s_cbranch_vccnz .LBB132_9
; %bb.16:                               ;   in Loop: Header=BB132_10 Depth=2
	s_and_b32 s1, s31, exec_lo
	s_cselect_b32 s23, s37, s23
	s_cselect_b32 s22, s36, s22
	s_cmp_eq_u32 s47, s28
	s_mul_i32 s50, s47, s25
	s_cselect_b32 s48, s26, s25
	s_mov_b32 s51, s34
	v_cmp_gt_u32_e64 s1, s48, v8
	s_cmp_gt_i32 s48, 0
	s_cselect_b32 s49, -1, 0
	s_branch .LBB132_19
.LBB132_17:                             ;   in Loop: Header=BB132_19 Depth=3
	s_or_b32 exec_lo, exec_lo, s2
	s_wait_storecnt 0x0
	s_barrier_signal -1
	s_barrier_wait -1
.LBB132_18:                             ;   in Loop: Header=BB132_19 Depth=3
	s_add_co_i32 s51, s51, s13
	s_delay_alu instid0(SALU_CYCLE_1)
	s_cmp_ge_u32 s51, s35
	s_cbranch_scc1 .LBB132_9
.LBB132_19:                             ;   Parent Loop BB132_6 Depth=1
                                        ;     Parent Loop BB132_10 Depth=2
                                        ; =>    This Loop Header: Depth=3
                                        ;         Child Loop BB132_23 Depth 4
                                        ;           Child Loop BB132_25 Depth 5
                                        ;         Child Loop BB132_29 Depth 4
                                        ;           Child Loop BB132_33 Depth 5
                                        ;             Child Loop BB132_35 Depth 6
	s_cmp_eq_u32 s47, s51
	s_cselect_b32 s2, -1, 0
	s_delay_alu instid0(SALU_CYCLE_1) | instskip(NEXT) | instid1(SALU_CYCLE_1)
	s_and_b32 s2, s24, s2
	s_and_b32 vcc_lo, exec_lo, s2
	s_cbranch_vccnz .LBB132_18
; %bb.20:                               ;   in Loop: Header=BB132_19 Depth=3
	s_cmp_eq_u32 s51, s28
	s_mul_i32 s53, s51, s25
	s_cselect_b32 s52, s26, s25
	s_wait_storecnt 0x0
	v_cmp_gt_u32_e32 vcc_lo, s52, v9
	s_barrier_signal -1
	s_barrier_wait -1
	s_wait_xcnt 0x0
	s_and_saveexec_b32 s54, vcc_lo
	s_cbranch_execz .LBB132_26
; %bb.21:                               ;   in Loop: Header=BB132_19 Depth=3
	v_dual_mov_b32 v2, v12 :: v_dual_mov_b32 v3, v9
	s_mov_b32 s55, 0
	s_branch .LBB132_23
.LBB132_22:                             ;   in Loop: Header=BB132_23 Depth=4
	s_or_b32 exec_lo, exec_lo, s56
	v_dual_add_nc_u32 v3, s29, v3 :: v_dual_add_nc_u32 v2, s42, v2
	s_delay_alu instid0(VALU_DEP_1) | instskip(SKIP_1) | instid1(SALU_CYCLE_1)
	v_cmp_le_u32_e64 s2, s52, v3
	s_or_b32 s55, s2, s55
	s_and_not1_b32 exec_lo, exec_lo, s55
	s_cbranch_execz .LBB132_26
.LBB132_23:                             ;   Parent Loop BB132_6 Depth=1
                                        ;     Parent Loop BB132_10 Depth=2
                                        ;       Parent Loop BB132_19 Depth=3
                                        ; =>      This Loop Header: Depth=4
                                        ;           Child Loop BB132_25 Depth 5
	s_and_saveexec_b32 s56, s1
	s_cbranch_execz .LBB132_22
; %bb.24:                               ;   in Loop: Header=BB132_23 Depth=4
	v_dual_add_nc_u32 v4, s53, v3 :: v_dual_mov_b32 v6, v2
	v_mov_b32_e32 v7, v8
	s_mov_b32 s57, 0
	s_delay_alu instid0(VALU_DEP_2) | instskip(NEXT) | instid1(VALU_DEP_1)
	v_mul_u64_e32 v[0:1], s[20:21], v[4:5]
	v_lshl_add_u64 v[0:1], v[0:1], 4, s[6:7]
.LBB132_25:                             ;   Parent Loop BB132_6 Depth=1
                                        ;     Parent Loop BB132_10 Depth=2
                                        ;       Parent Loop BB132_19 Depth=3
                                        ;         Parent Loop BB132_23 Depth=4
                                        ; =>        This Inner Loop Header: Depth=5
	s_delay_alu instid0(VALU_DEP_3) | instskip(NEXT) | instid1(VALU_DEP_1)
	v_dual_add_nc_u32 v4, s46, v7 :: v_dual_add_nc_u32 v7, s15, v7
	v_lshl_add_u64 v[14:15], v[4:5], 4, v[0:1]
	s_delay_alu instid0(VALU_DEP_2)
	v_cmp_le_u32_e64 s2, s48, v7
	global_load_b128 v[14:17], v[14:15], off
	s_or_b32 s57, s2, s57
	s_wait_loadcnt 0x0
	ds_store_2addr_b64 v6, v[14:15], v[16:17] offset1:1
	v_add_nc_u32_e32 v6, s43, v6
	s_wait_xcnt 0x0
	s_and_not1_b32 exec_lo, exec_lo, s57
	s_cbranch_execnz .LBB132_25
	s_branch .LBB132_22
.LBB132_26:                             ;   in Loop: Header=BB132_19 Depth=3
	s_or_b32 exec_lo, exec_lo, s54
	s_wait_dscnt 0x0
	s_barrier_signal -1
	s_barrier_wait -1
	s_and_saveexec_b32 s2, vcc_lo
	s_cbranch_execz .LBB132_17
; %bb.27:                               ;   in Loop: Header=BB132_19 Depth=3
	v_dual_mov_b32 v14, v13 :: v_dual_mov_b32 v15, v9
	s_mov_b32 s54, 0
	s_branch .LBB132_29
.LBB132_28:                             ;   in Loop: Header=BB132_29 Depth=4
	s_or_b32 exec_lo, exec_lo, s55
	v_dual_add_nc_u32 v15, s29, v15 :: v_dual_add_nc_u32 v14, s42, v14
	s_delay_alu instid0(VALU_DEP_1) | instskip(SKIP_1) | instid1(SALU_CYCLE_1)
	v_cmp_le_u32_e32 vcc_lo, s52, v15
	s_or_b32 s54, vcc_lo, s54
	s_and_not1_b32 exec_lo, exec_lo, s54
	s_cbranch_execz .LBB132_17
.LBB132_29:                             ;   Parent Loop BB132_6 Depth=1
                                        ;     Parent Loop BB132_10 Depth=2
                                        ;       Parent Loop BB132_19 Depth=3
                                        ; =>      This Loop Header: Depth=4
                                        ;           Child Loop BB132_33 Depth 5
                                        ;             Child Loop BB132_35 Depth 6
	s_and_saveexec_b32 s55, s1
	s_cbranch_execz .LBB132_28
; %bb.30:                               ;   in Loop: Header=BB132_29 Depth=4
	v_dual_add_nc_u32 v4, s53, v15 :: v_dual_mov_b32 v16, v8
	s_mov_b32 s56, 0
	s_delay_alu instid0(VALU_DEP_1) | instskip(NEXT) | instid1(VALU_DEP_1)
	v_mul_u64_e32 v[0:1], s[20:21], v[4:5]
	v_lshl_add_u64 v[6:7], v[0:1], 4, s[6:7]
	s_branch .LBB132_33
.LBB132_31:                             ;   in Loop: Header=BB132_33 Depth=5
	s_delay_alu instid0(VALU_DEP_1)
	v_mov_b64_e32 v[0:1], v[2:3]
.LBB132_32:                             ;   in Loop: Header=BB132_33 Depth=5
	v_dual_add_nc_u32 v4, s50, v16 :: v_dual_add_nc_u32 v16, s15, v16
	s_delay_alu instid0(VALU_DEP_1) | instskip(NEXT) | instid1(VALU_DEP_2)
	v_lshl_add_u64 v[18:19], v[4:5], 4, v[6:7]
	v_cmp_le_u32_e32 vcc_lo, s48, v16
	global_store_b128 v[18:19], v[0:3], off
	s_or_b32 s56, vcc_lo, s56
	s_wait_xcnt 0x0
	s_and_not1_b32 exec_lo, exec_lo, s56
	s_cbranch_execz .LBB132_28
.LBB132_33:                             ;   Parent Loop BB132_6 Depth=1
                                        ;     Parent Loop BB132_10 Depth=2
                                        ;       Parent Loop BB132_19 Depth=3
                                        ;         Parent Loop BB132_29 Depth=4
                                        ; =>        This Loop Header: Depth=5
                                        ;             Child Loop BB132_35 Depth 6
	v_mov_b64_e32 v[2:3], 0
	s_and_not1_b32 vcc_lo, exec_lo, s49
	s_cbranch_vccnz .LBB132_31
; %bb.34:                               ;   in Loop: Header=BB132_33 Depth=5
	s_delay_alu instid0(VALU_DEP_1)
	v_mov_b64_e32 v[0:1], v[2:3]
	v_dual_mov_b32 v4, v16 :: v_dual_mov_b32 v17, v14
	s_mov_b32 s57, s48
.LBB132_35:                             ;   Parent Loop BB132_6 Depth=1
                                        ;     Parent Loop BB132_10 Depth=2
                                        ;       Parent Loop BB132_19 Depth=3
                                        ;         Parent Loop BB132_29 Depth=4
                                        ;           Parent Loop BB132_33 Depth=5
                                        ; =>          This Inner Loop Header: Depth=6
	flat_load_b128 v[18:21], v4, s[22:23] scale_offset
	ds_load_2addr_b64 v[22:25], v17 offset1:1
	s_add_co_i32 s57, s57, -1
	v_add_nc_u32_e32 v17, 16, v17
	s_cmp_eq_u32 s57, 0
	s_wait_xcnt 0x0
	v_add_nc_u32_e32 v4, s25, v4
	s_wait_loadcnt_dscnt 0x0
	v_mul_f64_e32 v[26:27], v[20:21], v[24:25]
	v_mul_f64_e32 v[20:21], v[20:21], v[22:23]
	s_delay_alu instid0(VALU_DEP_2) | instskip(NEXT) | instid1(VALU_DEP_2)
	v_fmac_f64_e32 v[26:27], v[18:19], v[22:23]
	v_fma_f64 v[18:19], v[18:19], v[24:25], -v[20:21]
	s_delay_alu instid0(VALU_DEP_2) | instskip(NEXT) | instid1(VALU_DEP_2)
	v_add_f64_e32 v[0:1], v[0:1], v[26:27]
	v_add_f64_e32 v[2:3], v[2:3], v[18:19]
	s_cbranch_scc0 .LBB132_35
	s_branch .LBB132_32
.LBB132_36:
	s_endpgm
	.section	.rodata,"a",@progbits
	.p2align	6, 0x0
	.amdhsa_kernel _ZN9rocsolver6v33100L17syevj_diag_rotateILb1E19rocblas_complex_numIdEdPS3_EEvbiiT2_iilPT0_Pii
		.amdhsa_group_segment_fixed_size 0
		.amdhsa_private_segment_fixed_size 64
		.amdhsa_kernarg_size 320
		.amdhsa_user_sgpr_count 2
		.amdhsa_user_sgpr_dispatch_ptr 0
		.amdhsa_user_sgpr_queue_ptr 0
		.amdhsa_user_sgpr_kernarg_segment_ptr 1
		.amdhsa_user_sgpr_dispatch_id 0
		.amdhsa_user_sgpr_kernarg_preload_length 0
		.amdhsa_user_sgpr_kernarg_preload_offset 0
		.amdhsa_user_sgpr_private_segment_size 0
		.amdhsa_wavefront_size32 1
		.amdhsa_uses_dynamic_stack 0
		.amdhsa_enable_private_segment 1
		.amdhsa_system_sgpr_workgroup_id_x 1
		.amdhsa_system_sgpr_workgroup_id_y 1
		.amdhsa_system_sgpr_workgroup_id_z 1
		.amdhsa_system_sgpr_workgroup_info 0
		.amdhsa_system_vgpr_workitem_id 1
		.amdhsa_next_free_vgpr 49
		.amdhsa_next_free_sgpr 58
		.amdhsa_named_barrier_count 0
		.amdhsa_reserve_vcc 1
		.amdhsa_float_round_mode_32 0
		.amdhsa_float_round_mode_16_64 0
		.amdhsa_float_denorm_mode_32 3
		.amdhsa_float_denorm_mode_16_64 3
		.amdhsa_fp16_overflow 0
		.amdhsa_memory_ordered 1
		.amdhsa_forward_progress 1
		.amdhsa_inst_pref_size 12
		.amdhsa_round_robin_scheduling 0
		.amdhsa_exception_fp_ieee_invalid_op 0
		.amdhsa_exception_fp_denorm_src 0
		.amdhsa_exception_fp_ieee_div_zero 0
		.amdhsa_exception_fp_ieee_overflow 0
		.amdhsa_exception_fp_ieee_underflow 0
		.amdhsa_exception_fp_ieee_inexact 0
		.amdhsa_exception_int_div_zero 0
	.end_amdhsa_kernel
	.section	.text._ZN9rocsolver6v33100L17syevj_diag_rotateILb1E19rocblas_complex_numIdEdPS3_EEvbiiT2_iilPT0_Pii,"axG",@progbits,_ZN9rocsolver6v33100L17syevj_diag_rotateILb1E19rocblas_complex_numIdEdPS3_EEvbiiT2_iilPT0_Pii,comdat
.Lfunc_end132:
	.size	_ZN9rocsolver6v33100L17syevj_diag_rotateILb1E19rocblas_complex_numIdEdPS3_EEvbiiT2_iilPT0_Pii, .Lfunc_end132-_ZN9rocsolver6v33100L17syevj_diag_rotateILb1E19rocblas_complex_numIdEdPS3_EEvbiiT2_iilPT0_Pii
                                        ; -- End function
	.set _ZN9rocsolver6v33100L17syevj_diag_rotateILb1E19rocblas_complex_numIdEdPS3_EEvbiiT2_iilPT0_Pii.num_vgpr, max(42, .L__assert_fail.num_vgpr)
	.set _ZN9rocsolver6v33100L17syevj_diag_rotateILb1E19rocblas_complex_numIdEdPS3_EEvbiiT2_iilPT0_Pii.num_agpr, max(0, .L__assert_fail.num_agpr)
	.set _ZN9rocsolver6v33100L17syevj_diag_rotateILb1E19rocblas_complex_numIdEdPS3_EEvbiiT2_iilPT0_Pii.numbered_sgpr, max(58, .L__assert_fail.numbered_sgpr)
	.set _ZN9rocsolver6v33100L17syevj_diag_rotateILb1E19rocblas_complex_numIdEdPS3_EEvbiiT2_iilPT0_Pii.num_named_barrier, max(0, .L__assert_fail.num_named_barrier)
	.set _ZN9rocsolver6v33100L17syevj_diag_rotateILb1E19rocblas_complex_numIdEdPS3_EEvbiiT2_iilPT0_Pii.private_seg_size, 0+max(.L__assert_fail.private_seg_size)
	.set _ZN9rocsolver6v33100L17syevj_diag_rotateILb1E19rocblas_complex_numIdEdPS3_EEvbiiT2_iilPT0_Pii.uses_vcc, or(1, .L__assert_fail.uses_vcc)
	.set _ZN9rocsolver6v33100L17syevj_diag_rotateILb1E19rocblas_complex_numIdEdPS3_EEvbiiT2_iilPT0_Pii.uses_flat_scratch, or(0, .L__assert_fail.uses_flat_scratch)
	.set _ZN9rocsolver6v33100L17syevj_diag_rotateILb1E19rocblas_complex_numIdEdPS3_EEvbiiT2_iilPT0_Pii.has_dyn_sized_stack, or(0, .L__assert_fail.has_dyn_sized_stack)
	.set _ZN9rocsolver6v33100L17syevj_diag_rotateILb1E19rocblas_complex_numIdEdPS3_EEvbiiT2_iilPT0_Pii.has_recursion, or(0, .L__assert_fail.has_recursion)
	.set _ZN9rocsolver6v33100L17syevj_diag_rotateILb1E19rocblas_complex_numIdEdPS3_EEvbiiT2_iilPT0_Pii.has_indirect_call, or(0, .L__assert_fail.has_indirect_call)
	.section	.AMDGPU.csdata,"",@progbits
; Kernel info:
; codeLenInByte = 1504
; TotalNumSgprs: 60
; NumVgprs: 49
; ScratchSize: 64
; MemoryBound: 0
; FloatMode: 240
; IeeeMode: 1
; LDSByteSize: 0 bytes/workgroup (compile time only)
; SGPRBlocks: 0
; VGPRBlocks: 3
; NumSGPRsForWavesPerEU: 60
; NumVGPRsForWavesPerEU: 49
; NamedBarCnt: 0
; Occupancy: 16
; WaveLimiterHint : 1
; COMPUTE_PGM_RSRC2:SCRATCH_EN: 1
; COMPUTE_PGM_RSRC2:USER_SGPR: 2
; COMPUTE_PGM_RSRC2:TRAP_HANDLER: 0
; COMPUTE_PGM_RSRC2:TGID_X_EN: 1
; COMPUTE_PGM_RSRC2:TGID_Y_EN: 1
; COMPUTE_PGM_RSRC2:TGID_Z_EN: 1
; COMPUTE_PGM_RSRC2:TIDIG_COMP_CNT: 1
	.section	.text._ZN9rocsolver6v33100L21syevj_offd_kernel_orgI19rocblas_complex_numIdEdPS3_EEviiT1_iilT0_PT_PiS9_S9_,"axG",@progbits,_ZN9rocsolver6v33100L21syevj_offd_kernel_orgI19rocblas_complex_numIdEdPS3_EEviiT1_iilT0_PT_PiS9_S9_,comdat
	.globl	_ZN9rocsolver6v33100L21syevj_offd_kernel_orgI19rocblas_complex_numIdEdPS3_EEviiT1_iilT0_PT_PiS9_S9_ ; -- Begin function _ZN9rocsolver6v33100L21syevj_offd_kernel_orgI19rocblas_complex_numIdEdPS3_EEviiT1_iilT0_PT_PiS9_S9_
	.p2align	8
	.type	_ZN9rocsolver6v33100L21syevj_offd_kernel_orgI19rocblas_complex_numIdEdPS3_EEviiT1_iilT0_PT_PiS9_S9_,@function
_ZN9rocsolver6v33100L21syevj_offd_kernel_orgI19rocblas_complex_numIdEdPS3_EEviiT1_iilT0_PT_PiS9_S9_: ; @_ZN9rocsolver6v33100L21syevj_offd_kernel_orgI19rocblas_complex_numIdEdPS3_EEviiT1_iilT0_PT_PiS9_S9_
; %bb.0:
	s_load_b128 s[12:15], s[0:1], 0x38
	s_bfe_u32 s2, ttmp6, 0x40014
	s_lshr_b32 s3, ttmp7, 16
	s_add_co_i32 s2, s2, 1
	s_bfe_u32 s4, ttmp6, 0x40008
	s_mul_i32 s2, s3, s2
	s_getreg_b32 s16, hwreg(HW_REG_IB_STS2, 6, 4)
	s_add_co_i32 s4, s4, s2
	s_cmp_eq_u32 s16, 0
	s_cselect_b32 s2, s3, s4
	s_wait_kmcnt 0x0
	s_load_b32 s3, s[14:15], s2 offset:0x4 scale_offset
	s_wait_kmcnt 0x0
	s_cmp_lg_u32 s3, 0
	s_mov_b32 s3, 0
	s_cbranch_scc1 .LBB133_49
; %bb.1:
	s_load_b256 s[4:11], s[0:1], 0x18
	s_bfe_u32 s14, ttmp6, 0x4000c
	s_and_b32 s15, ttmp6, 15
	s_add_co_i32 s14, s14, 1
	s_delay_alu instid0(SALU_CYCLE_1) | instskip(NEXT) | instid1(SALU_CYCLE_1)
	s_mul_i32 s14, ttmp9, s14
	s_add_co_i32 s15, s15, s14
	s_cmp_eq_u32 s16, 0
	s_cselect_b32 s14, ttmp9, s15
	s_wait_kmcnt 0x0
	s_load_b32 s15, s[10:11], s14 offset:0x0 scale_offset
	s_load_b32 s18, s[12:13], s14 offset:0x0 scale_offset
	s_load_b64 s[16:17], s[0:1], 0x0
	s_wait_kmcnt 0x0
	s_max_i32 s10, s15, s18
	s_delay_alu instid0(SALU_CYCLE_1)
	s_cmp_ge_i32 s10, s16
	s_cbranch_scc1 .LBB133_49
; %bb.2:
	s_load_b32 s11, s[0:1], 0x54
	v_bfe_u32 v1, v0, 10, 10
	s_min_i32 s12, s15, s18
	s_wait_kmcnt 0x0
	s_and_b32 s16, s11, 0xffff
	s_delay_alu instid0(SALU_CYCLE_1) | instskip(SKIP_2) | instid1(VALU_DEP_1)
	s_mul_i32 s11, s12, s16
	s_mov_b32 s12, exec_lo
	v_add_nc_u32_e32 v40, s11, v1
	v_cmpx_gt_i32_e64 s17, v40
	s_cbranch_execz .LBB133_49
; %bb.3:
	s_cmp_eq_u64 s[8:9], 0
	s_mov_b64 s[18:19], 0
	s_cbranch_scc1 .LBB133_5
; %bb.4:
	s_add_nc_u64 s[12:13], s[0:1], 0x48
	s_load_b32 s12, s[12:13], 0x0
	s_wait_kmcnt 0x0
	s_mul_i32 s12, s12, s2
	s_delay_alu instid0(SALU_CYCLE_1) | instskip(NEXT) | instid1(SALU_CYCLE_1)
	s_add_co_i32 s12, s12, s14
	s_mul_i32 s12, s12, s16
	s_delay_alu instid0(SALU_CYCLE_1) | instskip(NEXT) | instid1(SALU_CYCLE_1)
	s_mul_i32 s12, s12, s16
	s_lshl_b32 s12, s12, 2
	s_delay_alu instid0(SALU_CYCLE_1) | instskip(NEXT) | instid1(SALU_CYCLE_1)
	s_ashr_i32 s13, s12, 31
	s_lshl_b64 s[12:13], s[12:13], 4
	s_delay_alu instid0(SALU_CYCLE_1)
	s_add_nc_u64 s[18:19], s[8:9], s[12:13]
.LBB133_5:
	v_and_b32_e32 v8, 0x3ff, v0
	v_add_nc_u32_e32 v4, s16, v1
	s_lshl_b32 s9, s16, 1
	s_cmp_lg_u64 s[18:19], 0
	s_cselect_b32 s22, -1, 0
	v_mad_u32_u24 v2, s9, v1, v8
	v_mad_u32_u24 v0, v4, s9, v8
	s_cmp_eq_u64 s[18:19], 0
	s_cbranch_scc1 .LBB133_7
; %bb.6:
	s_mov_b32 s12, 0
	v_dual_mov_b32 v10, 0 :: v_dual_add_nc_u32 v3, s16, v8
	v_cmp_eq_u32_e32 vcc_lo, v8, v1
	s_mov_b32 s14, s12
	s_mov_b32 s15, s12
	;; [unrolled: 1-line block ×3, first 2 shown]
	v_mov_b64_e32 v[16:17], s[14:15]
	v_mov_b64_e32 v[14:15], s[12:13]
	v_cndmask_b32_e64 v11, 0, 0x3ff00000, vcc_lo
	v_dual_mov_b32 v12, v10 :: v_dual_mov_b32 v13, v10
	v_mad_u32_u24 v5, s9, v1, v3
	v_mad_u32_u24 v3, v4, s9, v3
	s_clause 0x3
	global_store_b128 v2, v[10:13], s[18:19] scale_offset
	global_store_b128 v0, v[14:17], s[18:19] scale_offset
	;; [unrolled: 1-line block ×4, first 2 shown]
.LBB133_7:
	s_cmp_eq_u32 s16, 0
	s_mov_b32 s8, 0
	s_cbranch_scc1 .LBB133_49
; %bb.8:
	v_div_scale_f64 v[6:7], null, s[6:7], s[6:7], 0x100000
	s_mov_b64 s[12:13], 0x10000000000000
	s_mov_b32 s21, s8
	s_wait_xcnt 0x1
	v_div_scale_f64 v[14:15], vcc_lo, s[12:13], s[6:7], s[12:13]
	s_load_b128 s[12:15], s[0:1], 0x8
	s_wait_xcnt 0x0
	s_cvt_f32_u32 s0, s16
	v_mul_u32_u24_e32 v48, s9, v4
	s_lshl_b32 s23, s16, 3
	v_mul_u32_u24_e32 v47, s9, v1
	v_rcp_iflag_f32_e32 v3, s0
	s_mul_u64 s[0:1], s[4:5], s[2:3]
	s_mul_i32 s5, s10, s16
	s_sub_co_i32 s4, 0, s16
	s_lshl_b64 s[0:1], s[0:1], 4
	v_lshl_add_u32 v45, v8, 3, 0
                                        ; implicit-def: $vgpr32_vgpr33
                                        ; implicit-def: $vgpr28_vgpr29
                                        ; implicit-def: $vgpr30_vgpr31
	v_add_nc_u32_e32 v41, s11, v8
	v_readfirstlane_b32 s2, v3
	v_dual_mov_b32 v3, 0 :: v_dual_add_nc_u32 v43, s5, v1
	v_lshlrev_b32_e32 v5, 4, v8
	s_mul_f32 s2, s2, 0x4f7ffffe
	s_delay_alu instid0(VALU_DEP_2)
	v_mov_b32_e32 v9, v3
	v_lshl_add_u64 v[16:17], v[2:3], 4, s[18:19]
	s_wait_kmcnt 0x0
	s_ashr_i32 s3, s14, 31
	s_cvt_u32_f32 s10, s2
	s_mov_b32 s2, s14
	s_add_nc_u64 s[0:1], s[12:13], s[0:1]
	s_lshl_b64 s[2:3], s[2:3], 4
	s_mul_i32 s4, s4, s10
	v_rcp_f64_e32 v[10:11], v[6:7]
	s_add_nc_u64 s[12:13], s[0:1], s[2:3]
	s_mul_hi_u32 s0, s10, s4
	v_mul_lo_u32 v42, v41, s15
	s_add_co_i32 s20, s10, s0
	v_mul_lo_u32 v44, v43, s15
	v_cmp_eq_u32_e64 s0, 0, v1
	v_add3_u32 v46, 0, s23, v5
	v_cmp_gt_i32_e64 s1, s17, v41
	v_cmp_gt_i32_e64 s2, s17, v43
	v_dual_mov_b32 v1, v3 :: v_dual_add_nc_u32 v2, v42, v40
	s_delay_alu instid0(VALU_DEP_1) | instskip(SKIP_1) | instid1(VALU_DEP_1)
	v_lshl_add_u64 v[18:19], v[0:1], 4, s[18:19]
	v_add_nc_u32_e32 v26, v44, v41
	v_ashrrev_i32_e32 v27, 31, v26
	s_delay_alu instid0(VALU_DEP_1) | instskip(NEXT) | instid1(TRANS32_DEP_1)
	v_lshl_add_u64 v[26:27], v[26:27], 4, s[12:13]
	v_fma_f64 v[12:13], -v[6:7], v[10:11], 1.0
	s_delay_alu instid0(VALU_DEP_1) | instskip(NEXT) | instid1(VALU_DEP_1)
	v_fmac_f64_e32 v[10:11], v[10:11], v[12:13]
	v_fma_f64 v[12:13], -v[6:7], v[10:11], 1.0
	s_delay_alu instid0(VALU_DEP_1) | instskip(NEXT) | instid1(VALU_DEP_1)
	v_fmac_f64_e32 v[10:11], v[10:11], v[12:13]
	v_mul_f64_e32 v[12:13], v[14:15], v[10:11]
	s_delay_alu instid0(VALU_DEP_1) | instskip(SKIP_1) | instid1(VALU_DEP_1)
	v_fma_f64 v[6:7], -v[6:7], v[12:13], v[14:15]
	v_add_nc_u32_e32 v14, v42, v41
	v_ashrrev_i32_e32 v15, 31, v14
	s_delay_alu instid0(VALU_DEP_1) | instskip(NEXT) | instid1(VALU_DEP_4)
	v_lshl_add_u64 v[14:15], v[14:15], 4, s[12:13]
	v_div_fmas_f64 v[6:7], v[6:7], v[10:11], v[12:13]
	v_mul_u64_e32 v[12:13], s[20:21], v[8:9]
	v_mul_lo_u32 v9, v40, s15
	v_add_nc_u32_e32 v4, v42, v43
	s_delay_alu instid0(VALU_DEP_4) | instskip(NEXT) | instid1(VALU_DEP_3)
	v_div_fixup_f64 v[10:11], v[6:7], s[6:7], 0x100000
	v_dual_add_nc_u32 v6, v9, v41 :: v_dual_ashrrev_i32 v3, 31, v2
	s_delay_alu instid0(VALU_DEP_3) | instskip(SKIP_2) | instid1(VALU_DEP_2)
	v_ashrrev_i32_e32 v5, 31, v4
	s_and_b32 s6, s0, s1
	s_mov_b32 s7, s16
	v_ashrrev_i32_e32 v7, 31, v6
	v_lshl_add_u64 v[20:21], v[2:3], 4, s[12:13]
	v_lshl_add_u64 v[22:23], v[4:5], 4, s[12:13]
                                        ; implicit-def: $vgpr2_vgpr3
	s_delay_alu instid0(VALU_DEP_3)
	v_lshl_add_u64 v[24:25], v[6:7], 4, s[12:13]
	s_branch .LBB133_10
.LBB133_9:                              ;   in Loop: Header=BB133_10 Depth=1
	s_wait_xcnt 0x0
	s_or_b32 exec_lo, exec_lo, s3
	v_add_nc_u64_e32 v[12:13], s[20:21], v[12:13]
	v_add_nc_u32_e32 v8, 1, v8
	s_add_co_i32 s7, s7, -1
	s_delay_alu instid0(SALU_CYCLE_1)
	s_cmp_lg_u32 s7, 0
	s_cbranch_scc0 .LBB133_49
.LBB133_10:                             ; =>This Inner Loop Header: Depth=1
	s_delay_alu instid0(VALU_DEP_2) | instskip(SKIP_1) | instid1(VALU_DEP_1)
	v_mul_lo_u32 v4, s16, v13
	v_not_b32_e32 v5, v13
	v_mad_u32 v5, s16, v5, v8
	s_delay_alu instid0(VALU_DEP_3) | instskip(NEXT) | instid1(VALU_DEP_1)
	v_sub_nc_u32_e32 v4, v8, v4
	v_cmp_le_u32_e32 vcc_lo, s16, v4
	s_delay_alu instid0(VALU_DEP_3) | instskip(NEXT) | instid1(VALU_DEP_1)
	v_cndmask_b32_e32 v4, v4, v5, vcc_lo
	v_subrev_nc_u32_e32 v5, s16, v4
	v_cmp_le_u32_e32 vcc_lo, s16, v4
	s_delay_alu instid0(VALU_DEP_2) | instskip(NEXT) | instid1(VALU_DEP_1)
	v_cndmask_b32_e32 v51, v4, v5, vcc_lo
	v_add_nc_u32_e32 v49, s5, v51
	s_delay_alu instid0(VALU_DEP_1) | instskip(SKIP_2) | instid1(SALU_CYCLE_1)
	v_mul_lo_u32 v50, v49, s15
	v_cmp_gt_i32_e64 s3, s17, v49
	s_and_b32 s4, s6, s3
	s_and_saveexec_b32 s9, s4
	s_cbranch_execz .LBB133_36
; %bb.11:                               ;   in Loop: Header=BB133_10 Depth=1
	v_add_nc_u32_e32 v0, v50, v41
	s_mov_b32 s4, exec_lo
                                        ; implicit-def: $vgpr34_vgpr35
	global_load_b128 v[4:7], v0, s[12:13] scale_offset
	s_wait_loadcnt 0x0
	v_cmp_gt_f64_e32 vcc_lo, 0, v[4:5]
	v_xor_b32_e32 v1, 0x80000000, v5
	s_wait_xcnt 0x0
	v_mov_b32_e32 v0, v4
	v_xor_b32_e32 v2, 0x80000000, v7
	s_delay_alu instid0(VALU_DEP_3) | instskip(SKIP_1) | instid1(VALU_DEP_3)
	v_cndmask_b32_e32 v1, v5, v1, vcc_lo
	v_cmp_gt_f64_e32 vcc_lo, 0, v[6:7]
	v_dual_cndmask_b32 v3, v7, v2 :: v_dual_mov_b32 v2, v6
	s_delay_alu instid0(VALU_DEP_1)
	v_cmpx_ngt_f64_e32 v[0:1], v[2:3]
	s_xor_b32 s4, exec_lo, s4
	s_cbranch_execz .LBB133_15
; %bb.12:                               ;   in Loop: Header=BB133_10 Depth=1
	v_mov_b64_e32 v[34:35], 0
	s_mov_b32 s10, exec_lo
	v_cmpx_neq_f64_e32 0, v[6:7]
	s_cbranch_execz .LBB133_14
; %bb.13:                               ;   in Loop: Header=BB133_10 Depth=1
	v_div_scale_f64 v[32:33], null, v[2:3], v[2:3], v[0:1]
	v_div_scale_f64 v[38:39], vcc_lo, v[0:1], v[2:3], v[0:1]
	s_delay_alu instid0(VALU_DEP_2) | instskip(SKIP_1) | instid1(TRANS32_DEP_1)
	v_rcp_f64_e32 v[34:35], v[32:33]
	v_nop
	v_fma_f64 v[36:37], -v[32:33], v[34:35], 1.0
	s_delay_alu instid0(VALU_DEP_1) | instskip(NEXT) | instid1(VALU_DEP_1)
	v_fmac_f64_e32 v[34:35], v[34:35], v[36:37]
	v_fma_f64 v[36:37], -v[32:33], v[34:35], 1.0
	s_delay_alu instid0(VALU_DEP_1) | instskip(NEXT) | instid1(VALU_DEP_1)
	v_fmac_f64_e32 v[34:35], v[34:35], v[36:37]
	v_mul_f64_e32 v[36:37], v[38:39], v[34:35]
	s_delay_alu instid0(VALU_DEP_1) | instskip(NEXT) | instid1(VALU_DEP_1)
	v_fma_f64 v[32:33], -v[32:33], v[36:37], v[38:39]
	v_div_fmas_f64 v[32:33], v[32:33], v[34:35], v[36:37]
	s_delay_alu instid0(VALU_DEP_1) | instskip(NEXT) | instid1(VALU_DEP_1)
	v_div_fixup_f64 v[0:1], v[32:33], v[2:3], v[0:1]
	v_fma_f64 v[0:1], v[0:1], v[0:1], 1.0
	s_delay_alu instid0(VALU_DEP_1) | instskip(SKIP_1) | instid1(VALU_DEP_1)
	v_cmp_gt_f64_e32 vcc_lo, 0x10000000, v[0:1]
	v_cndmask_b32_e64 v32, 0, 0x100, vcc_lo
	v_ldexp_f64 v[0:1], v[0:1], v32
	s_delay_alu instid0(VALU_DEP_1) | instskip(SKIP_1) | instid1(TRANS32_DEP_1)
	v_rsq_f64_e32 v[32:33], v[0:1]
	v_nop
	v_mul_f64_e32 v[34:35], v[0:1], v[32:33]
	v_mul_f64_e32 v[32:33], 0.5, v[32:33]
	s_delay_alu instid0(VALU_DEP_1) | instskip(NEXT) | instid1(VALU_DEP_1)
	v_fma_f64 v[36:37], -v[32:33], v[34:35], 0.5
	v_fmac_f64_e32 v[34:35], v[34:35], v[36:37]
	v_fmac_f64_e32 v[32:33], v[32:33], v[36:37]
	s_delay_alu instid0(VALU_DEP_2) | instskip(NEXT) | instid1(VALU_DEP_1)
	v_fma_f64 v[36:37], -v[34:35], v[34:35], v[0:1]
	v_fmac_f64_e32 v[34:35], v[36:37], v[32:33]
	s_delay_alu instid0(VALU_DEP_1) | instskip(NEXT) | instid1(VALU_DEP_1)
	v_fma_f64 v[36:37], -v[34:35], v[34:35], v[0:1]
	v_fmac_f64_e32 v[34:35], v[36:37], v[32:33]
	v_cndmask_b32_e64 v32, 0, 0xffffff80, vcc_lo
	v_cmp_class_f64_e64 vcc_lo, v[0:1], 0x260
	s_delay_alu instid0(VALU_DEP_2) | instskip(NEXT) | instid1(VALU_DEP_1)
	v_ldexp_f64 v[32:33], v[34:35], v32
	v_dual_cndmask_b32 v1, v33, v1 :: v_dual_cndmask_b32 v0, v32, v0
	s_delay_alu instid0(VALU_DEP_1)
	v_mul_f64_e32 v[34:35], v[2:3], v[0:1]
.LBB133_14:                             ;   in Loop: Header=BB133_10 Depth=1
	s_or_b32 exec_lo, exec_lo, s10
                                        ; implicit-def: $vgpr0_vgpr1
                                        ; implicit-def: $vgpr2_vgpr3
.LBB133_15:                             ;   in Loop: Header=BB133_10 Depth=1
	s_and_not1_saveexec_b32 s4, s4
	s_cbranch_execz .LBB133_17
; %bb.16:                               ;   in Loop: Header=BB133_10 Depth=1
	v_div_scale_f64 v[32:33], null, v[0:1], v[0:1], v[2:3]
	v_div_scale_f64 v[38:39], vcc_lo, v[2:3], v[0:1], v[2:3]
	s_delay_alu instid0(VALU_DEP_2) | instskip(SKIP_1) | instid1(TRANS32_DEP_1)
	v_rcp_f64_e32 v[34:35], v[32:33]
	v_nop
	v_fma_f64 v[36:37], -v[32:33], v[34:35], 1.0
	s_delay_alu instid0(VALU_DEP_1) | instskip(NEXT) | instid1(VALU_DEP_1)
	v_fmac_f64_e32 v[34:35], v[34:35], v[36:37]
	v_fma_f64 v[36:37], -v[32:33], v[34:35], 1.0
	s_delay_alu instid0(VALU_DEP_1) | instskip(NEXT) | instid1(VALU_DEP_1)
	v_fmac_f64_e32 v[34:35], v[34:35], v[36:37]
	v_mul_f64_e32 v[36:37], v[38:39], v[34:35]
	s_delay_alu instid0(VALU_DEP_1) | instskip(NEXT) | instid1(VALU_DEP_1)
	v_fma_f64 v[32:33], -v[32:33], v[36:37], v[38:39]
	v_div_fmas_f64 v[32:33], v[32:33], v[34:35], v[36:37]
	s_delay_alu instid0(VALU_DEP_1) | instskip(NEXT) | instid1(VALU_DEP_1)
	v_div_fixup_f64 v[2:3], v[32:33], v[0:1], v[2:3]
	v_fma_f64 v[2:3], v[2:3], v[2:3], 1.0
	s_delay_alu instid0(VALU_DEP_1) | instskip(SKIP_1) | instid1(VALU_DEP_1)
	v_cmp_gt_f64_e32 vcc_lo, 0x10000000, v[2:3]
	v_cndmask_b32_e64 v32, 0, 0x100, vcc_lo
	v_ldexp_f64 v[2:3], v[2:3], v32
	s_delay_alu instid0(VALU_DEP_1) | instskip(SKIP_1) | instid1(TRANS32_DEP_1)
	v_rsq_f64_e32 v[32:33], v[2:3]
	v_nop
	v_mul_f64_e32 v[34:35], v[2:3], v[32:33]
	v_mul_f64_e32 v[32:33], 0.5, v[32:33]
	s_delay_alu instid0(VALU_DEP_1) | instskip(NEXT) | instid1(VALU_DEP_1)
	v_fma_f64 v[36:37], -v[32:33], v[34:35], 0.5
	v_fmac_f64_e32 v[34:35], v[34:35], v[36:37]
	v_fmac_f64_e32 v[32:33], v[32:33], v[36:37]
	s_delay_alu instid0(VALU_DEP_2) | instskip(NEXT) | instid1(VALU_DEP_1)
	v_fma_f64 v[36:37], -v[34:35], v[34:35], v[2:3]
	v_fmac_f64_e32 v[34:35], v[36:37], v[32:33]
	s_delay_alu instid0(VALU_DEP_1) | instskip(NEXT) | instid1(VALU_DEP_1)
	v_fma_f64 v[36:37], -v[34:35], v[34:35], v[2:3]
	v_fmac_f64_e32 v[34:35], v[36:37], v[32:33]
	v_cndmask_b32_e64 v32, 0, 0xffffff80, vcc_lo
	v_cmp_class_f64_e64 vcc_lo, v[2:3], 0x260
	s_delay_alu instid0(VALU_DEP_2) | instskip(NEXT) | instid1(VALU_DEP_1)
	v_ldexp_f64 v[32:33], v[34:35], v32
	v_dual_cndmask_b32 v3, v33, v3 :: v_dual_cndmask_b32 v2, v32, v2
	s_delay_alu instid0(VALU_DEP_1)
	v_mul_f64_e32 v[34:35], v[0:1], v[2:3]
.LBB133_17:                             ;   in Loop: Header=BB133_10 Depth=1
	s_or_b32 exec_lo, exec_lo, s4
	s_delay_alu instid0(VALU_DEP_1) | instskip(SKIP_2) | instid1(VALU_DEP_3)
	v_mul_f64_e32 v[0:1], v[34:35], v[34:35]
	v_mov_b64_e32 v[2:3], 0
	v_mov_b64_e32 v[32:33], 1.0
	v_cmp_nlt_f64_e32 vcc_lo, v[0:1], v[10:11]
	v_mov_b64_e32 v[0:1], 0
	s_and_saveexec_b32 s10, vcc_lo
	s_cbranch_execz .LBB133_35
; %bb.18:                               ;   in Loop: Header=BB133_10 Depth=1
	v_add_nc_u32_e32 v0, v50, v49
	s_delay_alu instid0(VALU_DEP_1) | instskip(NEXT) | instid1(VALU_DEP_1)
	v_ashrrev_i32_e32 v1, 31, v0
	v_lshl_add_u64 v[0:1], v[0:1], 4, s[12:13]
	s_clause 0x1
	global_load_b64 v[2:3], v[14:15], off
	global_load_b64 v[32:33], v[0:1], off
	s_wait_xcnt 0x0
	v_add_f64_e32 v[0:1], v[34:35], v[34:35]
	s_wait_loadcnt 0x0
	v_add_f64_e64 v[2:3], v[32:33], -v[2:3]
	s_delay_alu instid0(VALU_DEP_1) | instskip(SKIP_2) | instid1(VALU_DEP_3)
	v_max_num_f64_e64 v[32:33], |v[2:3]|, |v[0:1]|
	v_cmp_ngt_f64_e64 s4, 0, v[2:3]
	v_cmp_class_f64_e64 s14, v[2:3], 0x204
	v_frexp_exp_i32_f64_e32 v36, v[32:33]
	s_delay_alu instid0(VALU_DEP_1) | instskip(SKIP_1) | instid1(VALU_DEP_2)
	v_sub_nc_u32_e32 v37, 0, v36
	v_cmp_class_f64_e64 s11, v[0:1], 0x204
	v_ldexp_f64 v[32:33], |v[0:1]|, v37
	v_ldexp_f64 v[38:39], |v[2:3]|, v37
	s_delay_alu instid0(VALU_DEP_2) | instskip(NEXT) | instid1(VALU_DEP_1)
	v_mul_f64_e32 v[32:33], v[32:33], v[32:33]
	v_fmac_f64_e32 v[32:33], v[38:39], v[38:39]
	s_delay_alu instid0(VALU_DEP_1) | instskip(SKIP_1) | instid1(TRANS32_DEP_1)
	v_rsq_f64_e32 v[38:39], v[32:33]
	v_cmp_eq_f64_e32 vcc_lo, 0, v[32:33]
	v_mul_f64_e32 v[52:53], v[32:33], v[38:39]
	v_mul_f64_e32 v[38:39], 0.5, v[38:39]
	s_delay_alu instid0(VALU_DEP_1) | instskip(NEXT) | instid1(VALU_DEP_1)
	v_fma_f64 v[54:55], -v[38:39], v[52:53], 0.5
	v_fmac_f64_e32 v[52:53], v[52:53], v[54:55]
	v_fmac_f64_e32 v[38:39], v[38:39], v[54:55]
	s_delay_alu instid0(VALU_DEP_2) | instskip(NEXT) | instid1(VALU_DEP_1)
	v_fma_f64 v[54:55], -v[52:53], v[52:53], v[32:33]
	v_fmac_f64_e32 v[52:53], v[54:55], v[38:39]
                                        ; implicit-def: $vgpr38_vgpr39
	s_delay_alu instid0(VALU_DEP_1) | instskip(SKIP_1) | instid1(SALU_CYCLE_1)
	v_dual_cndmask_b32 v33, v53, v33 :: v_dual_cndmask_b32 v32, v52, v32
	s_and_saveexec_b32 s23, s4
	s_xor_b32 s4, exec_lo, s23
	s_cbranch_execz .LBB133_20
; %bb.19:                               ;   in Loop: Header=BB133_10 Depth=1
	s_delay_alu instid0(VALU_DEP_1) | instskip(SKIP_2) | instid1(VALU_DEP_2)
	v_ldexp_f64 v[32:33], v[32:33], v36
	v_cmp_o_f64_e32 vcc_lo, v[2:3], v[0:1]
	s_or_b32 s23, s11, s14
                                        ; implicit-def: $vgpr36
	v_cndmask_b32_e32 v32, 0, v32, vcc_lo
	s_delay_alu instid0(VALU_DEP_3) | instskip(NEXT) | instid1(VALU_DEP_2)
	v_cndmask_b32_e32 v33, 0x7ff80000, v33, vcc_lo
	v_cndmask_b32_e64 v38, v32, 0, s23
	s_delay_alu instid0(VALU_DEP_2)
	v_cndmask_b32_e64 v39, v33, 0x7ff00000, s23
                                        ; implicit-def: $vgpr32_vgpr33
.LBB133_20:                             ;   in Loop: Header=BB133_10 Depth=1
	s_and_not1_saveexec_b32 s4, s4
	s_cbranch_execz .LBB133_22
; %bb.21:                               ;   in Loop: Header=BB133_10 Depth=1
	v_ldexp_f64 v[32:33], -v[32:33], v36
	v_cmp_o_f64_e32 vcc_lo, v[0:1], v[0:1]
	s_or_b32 s11, s11, s14
	s_delay_alu instid0(VALU_DEP_2) | instskip(NEXT) | instid1(VALU_DEP_3)
	v_cndmask_b32_e32 v32, 0, v32, vcc_lo
	v_cndmask_b32_e32 v33, 0xfff80000, v33, vcc_lo
	s_delay_alu instid0(VALU_DEP_2) | instskip(NEXT) | instid1(VALU_DEP_2)
	v_cndmask_b32_e64 v38, v32, 0, s11
	v_cndmask_b32_e64 v39, v33, 0xfff00000, s11
.LBB133_22:                             ;   in Loop: Header=BB133_10 Depth=1
	s_or_b32 exec_lo, exec_lo, s4
	v_mov_b64_e32 v[36:37], 0
	v_mov_b64_e32 v[32:33], 1.0
	s_mov_b32 s4, exec_lo
	v_cmpx_neq_f64_e32 0, v[0:1]
	s_cbranch_execz .LBB133_30
; %bb.23:                               ;   in Loop: Header=BB133_10 Depth=1
	v_add_f64_e32 v[2:3], v[2:3], v[38:39]
	v_mov_b64_e32 v[32:33], 0
	v_mov_b64_e32 v[36:37], 1.0
	s_mov_b32 s11, exec_lo
	s_delay_alu instid0(VALU_DEP_3)
	v_cmpx_neq_f64_e32 0, v[2:3]
	s_cbranch_execz .LBB133_29
; %bb.24:                               ;   in Loop: Header=BB133_10 Depth=1
	v_cmp_ngt_f64_e64 s14, |v[0:1]|, |v[2:3]|
                                        ; implicit-def: $vgpr32_vgpr33
                                        ; implicit-def: $vgpr36_vgpr37
	s_and_saveexec_b32 s23, s14
	s_delay_alu instid0(SALU_CYCLE_1)
	s_xor_b32 s14, exec_lo, s23
	s_cbranch_execz .LBB133_26
; %bb.25:                               ;   in Loop: Header=BB133_10 Depth=1
	v_div_scale_f64 v[32:33], null, v[2:3], v[2:3], -v[0:1]
	v_div_scale_f64 v[52:53], vcc_lo, -v[0:1], v[2:3], -v[0:1]
	s_delay_alu instid0(VALU_DEP_2) | instskip(SKIP_1) | instid1(TRANS32_DEP_1)
	v_rcp_f64_e32 v[36:37], v[32:33]
	v_nop
	v_fma_f64 v[38:39], -v[32:33], v[36:37], 1.0
	s_delay_alu instid0(VALU_DEP_1) | instskip(NEXT) | instid1(VALU_DEP_1)
	v_fmac_f64_e32 v[36:37], v[36:37], v[38:39]
	v_fma_f64 v[38:39], -v[32:33], v[36:37], 1.0
	s_delay_alu instid0(VALU_DEP_1) | instskip(NEXT) | instid1(VALU_DEP_1)
	v_fmac_f64_e32 v[36:37], v[36:37], v[38:39]
	v_mul_f64_e32 v[38:39], v[52:53], v[36:37]
	s_delay_alu instid0(VALU_DEP_1) | instskip(NEXT) | instid1(VALU_DEP_1)
	v_fma_f64 v[32:33], -v[32:33], v[38:39], v[52:53]
	v_div_fmas_f64 v[32:33], v[32:33], v[36:37], v[38:39]
	s_delay_alu instid0(VALU_DEP_1) | instskip(NEXT) | instid1(VALU_DEP_1)
	v_div_fixup_f64 v[0:1], v[32:33], v[2:3], -v[0:1]
	v_fma_f64 v[2:3], v[0:1], v[0:1], 1.0
	s_delay_alu instid0(VALU_DEP_1) | instskip(SKIP_1) | instid1(VALU_DEP_1)
	v_cmp_gt_f64_e32 vcc_lo, 0x10000000, v[2:3]
	v_cndmask_b32_e64 v32, 0, 0x100, vcc_lo
	v_ldexp_f64 v[2:3], v[2:3], v32
	s_delay_alu instid0(VALU_DEP_1) | instskip(SKIP_1) | instid1(TRANS32_DEP_1)
	v_rsq_f64_e32 v[32:33], v[2:3]
	v_nop
	v_mul_f64_e32 v[36:37], v[2:3], v[32:33]
	v_mul_f64_e32 v[32:33], 0.5, v[32:33]
	s_delay_alu instid0(VALU_DEP_1) | instskip(NEXT) | instid1(VALU_DEP_1)
	v_fma_f64 v[38:39], -v[32:33], v[36:37], 0.5
	v_fmac_f64_e32 v[36:37], v[36:37], v[38:39]
	v_fmac_f64_e32 v[32:33], v[32:33], v[38:39]
	s_delay_alu instid0(VALU_DEP_2) | instskip(NEXT) | instid1(VALU_DEP_1)
	v_fma_f64 v[38:39], -v[36:37], v[36:37], v[2:3]
	v_fmac_f64_e32 v[36:37], v[38:39], v[32:33]
	s_delay_alu instid0(VALU_DEP_1) | instskip(NEXT) | instid1(VALU_DEP_1)
	v_fma_f64 v[38:39], -v[36:37], v[36:37], v[2:3]
	v_fmac_f64_e32 v[36:37], v[38:39], v[32:33]
	v_cndmask_b32_e64 v32, 0, 0xffffff80, vcc_lo
	v_cmp_class_f64_e64 vcc_lo, v[2:3], 0x260
	s_delay_alu instid0(VALU_DEP_2) | instskip(NEXT) | instid1(VALU_DEP_1)
	v_ldexp_f64 v[32:33], v[36:37], v32
	v_dual_cndmask_b32 v3, v33, v3 :: v_dual_cndmask_b32 v2, v32, v2
	s_delay_alu instid0(VALU_DEP_1) | instskip(NEXT) | instid1(VALU_DEP_1)
	v_div_scale_f64 v[32:33], null, v[2:3], v[2:3], 1.0
	v_rcp_f64_e32 v[36:37], v[32:33]
	v_nop
	s_delay_alu instid0(TRANS32_DEP_1) | instskip(NEXT) | instid1(VALU_DEP_1)
	v_fma_f64 v[38:39], -v[32:33], v[36:37], 1.0
	v_fmac_f64_e32 v[36:37], v[36:37], v[38:39]
	s_delay_alu instid0(VALU_DEP_1) | instskip(NEXT) | instid1(VALU_DEP_1)
	v_fma_f64 v[38:39], -v[32:33], v[36:37], 1.0
	v_fmac_f64_e32 v[36:37], v[36:37], v[38:39]
	v_div_scale_f64 v[38:39], vcc_lo, 1.0, v[2:3], 1.0
	s_delay_alu instid0(VALU_DEP_1) | instskip(NEXT) | instid1(VALU_DEP_1)
	v_mul_f64_e32 v[52:53], v[38:39], v[36:37]
	v_fma_f64 v[32:33], -v[32:33], v[52:53], v[38:39]
	s_delay_alu instid0(VALU_DEP_1) | instskip(NEXT) | instid1(VALU_DEP_1)
	v_div_fmas_f64 v[32:33], v[32:33], v[36:37], v[52:53]
	v_div_fixup_f64 v[32:33], v[32:33], v[2:3], 1.0
                                        ; implicit-def: $vgpr2_vgpr3
	s_delay_alu instid0(VALU_DEP_1)
	v_mul_f64_e32 v[36:37], v[0:1], v[32:33]
                                        ; implicit-def: $vgpr0_vgpr1
.LBB133_26:                             ;   in Loop: Header=BB133_10 Depth=1
	s_and_not1_saveexec_b32 s14, s14
	s_cbranch_execz .LBB133_28
; %bb.27:                               ;   in Loop: Header=BB133_10 Depth=1
	v_div_scale_f64 v[32:33], null, v[0:1], v[0:1], -v[2:3]
	v_div_scale_f64 v[52:53], vcc_lo, -v[2:3], v[0:1], -v[2:3]
	s_delay_alu instid0(VALU_DEP_2) | instskip(SKIP_1) | instid1(TRANS32_DEP_1)
	v_rcp_f64_e32 v[36:37], v[32:33]
	v_nop
	v_fma_f64 v[38:39], -v[32:33], v[36:37], 1.0
	s_delay_alu instid0(VALU_DEP_1) | instskip(NEXT) | instid1(VALU_DEP_1)
	v_fmac_f64_e32 v[36:37], v[36:37], v[38:39]
	v_fma_f64 v[38:39], -v[32:33], v[36:37], 1.0
	s_delay_alu instid0(VALU_DEP_1) | instskip(NEXT) | instid1(VALU_DEP_1)
	v_fmac_f64_e32 v[36:37], v[36:37], v[38:39]
	v_mul_f64_e32 v[38:39], v[52:53], v[36:37]
	s_delay_alu instid0(VALU_DEP_1) | instskip(NEXT) | instid1(VALU_DEP_1)
	v_fma_f64 v[32:33], -v[32:33], v[38:39], v[52:53]
	v_div_fmas_f64 v[32:33], v[32:33], v[36:37], v[38:39]
	s_delay_alu instid0(VALU_DEP_1) | instskip(NEXT) | instid1(VALU_DEP_1)
	v_div_fixup_f64 v[0:1], v[32:33], v[0:1], -v[2:3]
	v_fma_f64 v[2:3], v[0:1], v[0:1], 1.0
	s_delay_alu instid0(VALU_DEP_1) | instskip(SKIP_1) | instid1(VALU_DEP_1)
	v_cmp_gt_f64_e32 vcc_lo, 0x10000000, v[2:3]
	v_cndmask_b32_e64 v32, 0, 0x100, vcc_lo
	v_ldexp_f64 v[2:3], v[2:3], v32
	s_delay_alu instid0(VALU_DEP_1) | instskip(SKIP_1) | instid1(TRANS32_DEP_1)
	v_rsq_f64_e32 v[32:33], v[2:3]
	v_nop
	v_mul_f64_e32 v[36:37], v[2:3], v[32:33]
	v_mul_f64_e32 v[32:33], 0.5, v[32:33]
	s_delay_alu instid0(VALU_DEP_1) | instskip(NEXT) | instid1(VALU_DEP_1)
	v_fma_f64 v[38:39], -v[32:33], v[36:37], 0.5
	v_fmac_f64_e32 v[36:37], v[36:37], v[38:39]
	v_fmac_f64_e32 v[32:33], v[32:33], v[38:39]
	s_delay_alu instid0(VALU_DEP_2) | instskip(NEXT) | instid1(VALU_DEP_1)
	v_fma_f64 v[38:39], -v[36:37], v[36:37], v[2:3]
	v_fmac_f64_e32 v[36:37], v[38:39], v[32:33]
	s_delay_alu instid0(VALU_DEP_1) | instskip(NEXT) | instid1(VALU_DEP_1)
	v_fma_f64 v[38:39], -v[36:37], v[36:37], v[2:3]
	v_fmac_f64_e32 v[36:37], v[38:39], v[32:33]
	v_cndmask_b32_e64 v32, 0, 0xffffff80, vcc_lo
	v_cmp_class_f64_e64 vcc_lo, v[2:3], 0x260
	s_delay_alu instid0(VALU_DEP_2) | instskip(NEXT) | instid1(VALU_DEP_1)
	v_ldexp_f64 v[32:33], v[36:37], v32
	v_dual_cndmask_b32 v3, v33, v3 :: v_dual_cndmask_b32 v2, v32, v2
	s_delay_alu instid0(VALU_DEP_1) | instskip(NEXT) | instid1(VALU_DEP_1)
	v_div_scale_f64 v[32:33], null, v[2:3], v[2:3], 1.0
	v_rcp_f64_e32 v[36:37], v[32:33]
	v_nop
	s_delay_alu instid0(TRANS32_DEP_1) | instskip(NEXT) | instid1(VALU_DEP_1)
	v_fma_f64 v[38:39], -v[32:33], v[36:37], 1.0
	v_fmac_f64_e32 v[36:37], v[36:37], v[38:39]
	s_delay_alu instid0(VALU_DEP_1) | instskip(NEXT) | instid1(VALU_DEP_1)
	v_fma_f64 v[38:39], -v[32:33], v[36:37], 1.0
	v_fmac_f64_e32 v[36:37], v[36:37], v[38:39]
	v_div_scale_f64 v[38:39], vcc_lo, 1.0, v[2:3], 1.0
	s_delay_alu instid0(VALU_DEP_1) | instskip(NEXT) | instid1(VALU_DEP_1)
	v_mul_f64_e32 v[52:53], v[38:39], v[36:37]
	v_fma_f64 v[32:33], -v[32:33], v[52:53], v[38:39]
	s_delay_alu instid0(VALU_DEP_1) | instskip(NEXT) | instid1(VALU_DEP_1)
	v_div_fmas_f64 v[32:33], v[32:33], v[36:37], v[52:53]
	v_div_fixup_f64 v[36:37], v[32:33], v[2:3], 1.0
	s_delay_alu instid0(VALU_DEP_1)
	v_mul_f64_e32 v[32:33], v[0:1], v[36:37]
.LBB133_28:                             ;   in Loop: Header=BB133_10 Depth=1
	s_or_b32 exec_lo, exec_lo, s14
.LBB133_29:                             ;   in Loop: Header=BB133_10 Depth=1
	s_delay_alu instid0(SALU_CYCLE_1)
	s_or_b32 exec_lo, exec_lo, s11
.LBB133_30:                             ;   in Loop: Header=BB133_10 Depth=1
	s_delay_alu instid0(SALU_CYCLE_1) | instskip(NEXT) | instid1(VALU_DEP_1)
	s_or_b32 exec_lo, exec_lo, s4
	v_mul_f64_e32 v[4:5], v[4:5], v[36:37]
	v_mul_f64_e32 v[6:7], v[6:7], v[36:37]
	s_mov_b32 s4, exec_lo
                                        ; implicit-def: $vgpr2_vgpr3
	v_cmpx_lg_f64_e32 0, v[34:35]
	s_xor_b32 s4, exec_lo, s4
	s_cbranch_execz .LBB133_32
; %bb.31:                               ;   in Loop: Header=BB133_10 Depth=1
	v_div_scale_f64 v[0:1], null, v[34:35], v[34:35], 0
	v_div_scale_f64 v[38:39], vcc_lo, 0, v[34:35], 0
	s_delay_alu instid0(VALU_DEP_2) | instskip(SKIP_1) | instid1(TRANS32_DEP_1)
	v_rcp_f64_e32 v[2:3], v[0:1]
	v_nop
	v_fma_f64 v[36:37], -v[0:1], v[2:3], 1.0
	s_delay_alu instid0(VALU_DEP_1) | instskip(NEXT) | instid1(VALU_DEP_1)
	v_fmac_f64_e32 v[2:3], v[2:3], v[36:37]
	v_fma_f64 v[36:37], -v[0:1], v[2:3], 1.0
	s_delay_alu instid0(VALU_DEP_1) | instskip(NEXT) | instid1(VALU_DEP_1)
	v_fmac_f64_e32 v[2:3], v[2:3], v[36:37]
	v_mul_f64_e32 v[36:37], v[38:39], v[2:3]
	s_delay_alu instid0(VALU_DEP_1) | instskip(NEXT) | instid1(VALU_DEP_1)
	v_fma_f64 v[0:1], -v[0:1], v[36:37], v[38:39]
	v_div_fmas_f64 v[0:1], v[0:1], v[2:3], v[36:37]
	s_delay_alu instid0(VALU_DEP_1) | instskip(NEXT) | instid1(VALU_DEP_1)
	v_div_fixup_f64 v[0:1], v[0:1], v[34:35], 0
	v_fmac_f64_e32 v[34:35], 0, v[0:1]
	s_delay_alu instid0(VALU_DEP_1) | instskip(SKIP_1) | instid1(VALU_DEP_2)
	v_div_scale_f64 v[2:3], null, v[34:35], v[34:35], 1.0
	v_div_scale_f64 v[52:53], vcc_lo, 1.0, v[34:35], 1.0
	v_rcp_f64_e32 v[36:37], v[2:3]
	v_nop
	s_delay_alu instid0(TRANS32_DEP_1) | instskip(NEXT) | instid1(VALU_DEP_1)
	v_fma_f64 v[38:39], -v[2:3], v[36:37], 1.0
	v_fmac_f64_e32 v[36:37], v[36:37], v[38:39]
	s_delay_alu instid0(VALU_DEP_1) | instskip(NEXT) | instid1(VALU_DEP_1)
	v_fma_f64 v[38:39], -v[2:3], v[36:37], 1.0
	v_fmac_f64_e32 v[36:37], v[36:37], v[38:39]
	s_delay_alu instid0(VALU_DEP_1) | instskip(NEXT) | instid1(VALU_DEP_1)
	v_mul_f64_e32 v[38:39], v[52:53], v[36:37]
	v_fma_f64 v[2:3], -v[2:3], v[38:39], v[52:53]
	s_delay_alu instid0(VALU_DEP_1) | instskip(SKIP_2) | instid1(VALU_DEP_3)
	v_div_fmas_f64 v[2:3], v[2:3], v[36:37], v[38:39]
	v_fma_f64 v[36:37], v[0:1], v[6:7], v[4:5]
	v_fma_f64 v[4:5], -v[0:1], v[4:5], v[6:7]
                                        ; implicit-def: $vgpr6_vgpr7
	v_div_fixup_f64 v[2:3], v[2:3], v[34:35], 1.0
                                        ; implicit-def: $vgpr34_vgpr35
	s_delay_alu instid0(VALU_DEP_1) | instskip(NEXT) | instid1(VALU_DEP_3)
	v_mul_f64_e32 v[0:1], v[2:3], v[36:37]
	v_mul_f64_e32 v[2:3], v[2:3], v[4:5]
                                        ; implicit-def: $vgpr4_vgpr5
.LBB133_32:                             ;   in Loop: Header=BB133_10 Depth=1
	s_and_not1_saveexec_b32 s4, s4
	s_cbranch_execz .LBB133_34
; %bb.33:                               ;   in Loop: Header=BB133_10 Depth=1
	v_div_scale_f64 v[0:1], null, 0, 0, v[34:35]
	v_div_scale_f64 v[38:39], vcc_lo, v[34:35], 0, v[34:35]
	s_delay_alu instid0(VALU_DEP_2) | instskip(SKIP_1) | instid1(TRANS32_DEP_1)
	v_rcp_f64_e32 v[2:3], v[0:1]
	v_nop
	v_fma_f64 v[36:37], -v[0:1], v[2:3], 1.0
	s_delay_alu instid0(VALU_DEP_1) | instskip(NEXT) | instid1(VALU_DEP_1)
	v_fmac_f64_e32 v[2:3], v[2:3], v[36:37]
	v_fma_f64 v[36:37], -v[0:1], v[2:3], 1.0
	s_delay_alu instid0(VALU_DEP_1) | instskip(NEXT) | instid1(VALU_DEP_1)
	v_fmac_f64_e32 v[2:3], v[2:3], v[36:37]
	v_mul_f64_e32 v[36:37], v[38:39], v[2:3]
	s_delay_alu instid0(VALU_DEP_1) | instskip(NEXT) | instid1(VALU_DEP_1)
	v_fma_f64 v[0:1], -v[0:1], v[36:37], v[38:39]
	v_div_fmas_f64 v[0:1], v[0:1], v[2:3], v[36:37]
	s_delay_alu instid0(VALU_DEP_1) | instskip(NEXT) | instid1(VALU_DEP_1)
	v_div_fixup_f64 v[0:1], v[0:1], 0, v[34:35]
	v_fma_f64 v[2:3], v[34:35], v[0:1], 0
	s_delay_alu instid0(VALU_DEP_1) | instskip(SKIP_1) | instid1(VALU_DEP_2)
	v_div_scale_f64 v[34:35], null, v[2:3], v[2:3], 1.0
	v_div_scale_f64 v[52:53], vcc_lo, 1.0, v[2:3], 1.0
	v_rcp_f64_e32 v[36:37], v[34:35]
	v_nop
	s_delay_alu instid0(TRANS32_DEP_1) | instskip(NEXT) | instid1(VALU_DEP_1)
	v_fma_f64 v[38:39], -v[34:35], v[36:37], 1.0
	v_fmac_f64_e32 v[36:37], v[36:37], v[38:39]
	s_delay_alu instid0(VALU_DEP_1) | instskip(NEXT) | instid1(VALU_DEP_1)
	v_fma_f64 v[38:39], -v[34:35], v[36:37], 1.0
	v_fmac_f64_e32 v[36:37], v[36:37], v[38:39]
	s_delay_alu instid0(VALU_DEP_1) | instskip(NEXT) | instid1(VALU_DEP_1)
	v_mul_f64_e32 v[38:39], v[52:53], v[36:37]
	v_fma_f64 v[34:35], -v[34:35], v[38:39], v[52:53]
	s_delay_alu instid0(VALU_DEP_1) | instskip(SKIP_2) | instid1(VALU_DEP_3)
	v_div_fmas_f64 v[34:35], v[34:35], v[36:37], v[38:39]
	v_fma_f64 v[36:37], v[0:1], v[4:5], v[6:7]
	v_fma_f64 v[4:5], v[0:1], v[6:7], -v[4:5]
	v_div_fixup_f64 v[2:3], v[34:35], v[2:3], 1.0
	s_delay_alu instid0(VALU_DEP_1) | instskip(NEXT) | instid1(VALU_DEP_3)
	v_mul_f64_e32 v[0:1], v[2:3], v[36:37]
	v_mul_f64_e32 v[2:3], v[2:3], v[4:5]
.LBB133_34:                             ;   in Loop: Header=BB133_10 Depth=1
	s_or_b32 exec_lo, exec_lo, s4
.LBB133_35:                             ;   in Loop: Header=BB133_10 Depth=1
	s_delay_alu instid0(SALU_CYCLE_1)
	s_or_b32 exec_lo, exec_lo, s10
	ds_store_b64 v45, v[32:33]
	ds_store_2addr_b64 v46, v[0:1], v[2:3] offset1:1
.LBB133_36:                             ;   in Loop: Header=BB133_10 Depth=1
	s_or_b32 exec_lo, exec_lo, s9
	s_and_b32 s4, s1, s3
	s_wait_storecnt_dscnt 0x0
	s_barrier_signal -1
	s_barrier_wait -1
	s_and_saveexec_b32 s9, s4
	s_cbranch_execz .LBB133_44
; %bb.37:                               ;   in Loop: Header=BB133_10 Depth=1
	ds_load_b64 v[32:33], v45
	ds_load_2addr_b64 v[0:3], v46 offset1:1
	s_and_not1_b32 vcc_lo, exec_lo, s22
	s_cbranch_vccnz .LBB133_41
; %bb.38:                               ;   in Loop: Header=BB133_10 Depth=1
	v_add_nc_u32_e32 v4, s16, v51
	s_delay_alu instid0(VALU_DEP_1)
	v_add_nc_u32_e32 v5, v4, v47
	s_clause 0x1
	global_load_b128 v[28:31], v[16:17], off
	global_load_b128 v[34:37], v5, s[18:19] scale_offset
	s_wait_loadcnt_dscnt 0x100
	v_mul_f64_e32 v[6:7], v[0:1], v[28:29]
	s_wait_loadcnt 0x0
	v_mul_f64_e32 v[52:53], v[2:3], v[36:37]
	v_mul_f64_e32 v[38:39], v[2:3], v[34:35]
	;; [unrolled: 1-line block ×3, first 2 shown]
	s_delay_alu instid0(VALU_DEP_4) | instskip(NEXT) | instid1(VALU_DEP_4)
	v_fma_f64 v[56:57], v[2:3], v[30:31], -v[6:7]
	v_fmac_f64_e32 v[52:53], v[0:1], v[34:35]
	s_delay_alu instid0(VALU_DEP_4) | instskip(NEXT) | instid1(VALU_DEP_4)
	v_fma_f64 v[54:55], v[0:1], v[36:37], -v[38:39]
	v_fma_f64 v[58:59], v[28:29], -v[2:3], -v[58:59]
	s_delay_alu instid0(VALU_DEP_4) | instskip(NEXT) | instid1(VALU_DEP_4)
	v_fmac_f64_e32 v[56:57], v[32:33], v[34:35]
	v_fmac_f64_e32 v[52:53], v[32:33], v[28:29]
	s_delay_alu instid0(VALU_DEP_4) | instskip(NEXT) | instid1(VALU_DEP_4)
	v_fmac_f64_e32 v[54:55], v[32:33], v[30:31]
	v_fmac_f64_e32 v[58:59], v[32:33], v[36:37]
	s_clause 0x1
	global_store_b128 v[16:17], v[52:55], off
	global_store_b128 v5, v[56:59], s[18:19] scale_offset
	s_wait_xcnt 0x0
	s_and_saveexec_b32 s10, s2
	s_cbranch_execz .LBB133_40
; %bb.39:                               ;   in Loop: Header=BB133_10 Depth=1
	v_add_nc_u32_e32 v51, v4, v48
	s_clause 0x1
	global_load_b128 v[4:7], v[18:19], off
	global_load_b128 v[28:31], v51, s[18:19] scale_offset
	s_wait_loadcnt 0x1
	v_mul_f64_e32 v[36:37], v[0:1], v[4:5]
	s_wait_loadcnt 0x0
	v_mul_f64_e32 v[34:35], v[2:3], v[30:31]
	v_mul_f64_e32 v[38:39], v[2:3], v[28:29]
	;; [unrolled: 1-line block ×3, first 2 shown]
	s_delay_alu instid0(VALU_DEP_4) | instskip(NEXT) | instid1(VALU_DEP_4)
	v_fma_f64 v[52:53], v[2:3], v[6:7], -v[36:37]
	v_fmac_f64_e32 v[34:35], v[0:1], v[28:29]
	s_delay_alu instid0(VALU_DEP_4) | instskip(NEXT) | instid1(VALU_DEP_4)
	v_fma_f64 v[36:37], v[0:1], v[30:31], -v[38:39]
	v_fma_f64 v[54:55], v[4:5], -v[2:3], -v[54:55]
	s_delay_alu instid0(VALU_DEP_4) | instskip(NEXT) | instid1(VALU_DEP_4)
	v_fmac_f64_e32 v[52:53], v[32:33], v[28:29]
	v_fmac_f64_e32 v[34:35], v[32:33], v[4:5]
	s_delay_alu instid0(VALU_DEP_4) | instskip(NEXT) | instid1(VALU_DEP_4)
	v_fmac_f64_e32 v[36:37], v[32:33], v[6:7]
	v_fmac_f64_e32 v[54:55], v[32:33], v[30:31]
	s_clause 0x1
	global_store_b128 v[18:19], v[34:37], off
	global_store_b128 v51, v[52:55], s[18:19] scale_offset
.LBB133_40:                             ;   in Loop: Header=BB133_10 Depth=1
	s_wait_xcnt 0x0
	s_or_b32 exec_lo, exec_lo, s10
.LBB133_41:                             ;   in Loop: Header=BB133_10 Depth=1
	v_add_nc_u32_e32 v51, v50, v40
	s_clause 0x1
	global_load_b128 v[4:7], v[20:21], off
	global_load_b128 v[28:31], v51, s[12:13] scale_offset
	s_wait_loadcnt_dscnt 0x100
	v_mul_f64_e32 v[36:37], v[0:1], v[4:5]
	s_wait_loadcnt 0x0
	v_mul_f64_e32 v[34:35], v[2:3], v[30:31]
	v_mul_f64_e32 v[38:39], v[2:3], v[28:29]
	;; [unrolled: 1-line block ×3, first 2 shown]
	s_delay_alu instid0(VALU_DEP_4) | instskip(NEXT) | instid1(VALU_DEP_4)
	v_fma_f64 v[52:53], v[2:3], v[6:7], -v[36:37]
	v_fmac_f64_e32 v[34:35], v[0:1], v[28:29]
	s_delay_alu instid0(VALU_DEP_4) | instskip(NEXT) | instid1(VALU_DEP_4)
	v_fma_f64 v[36:37], v[0:1], v[30:31], -v[38:39]
	v_fma_f64 v[54:55], v[4:5], -v[2:3], -v[54:55]
	s_delay_alu instid0(VALU_DEP_4) | instskip(NEXT) | instid1(VALU_DEP_4)
	v_fmac_f64_e32 v[52:53], v[32:33], v[28:29]
	v_fmac_f64_e32 v[34:35], v[32:33], v[4:5]
	s_delay_alu instid0(VALU_DEP_4) | instskip(NEXT) | instid1(VALU_DEP_4)
	v_fmac_f64_e32 v[36:37], v[32:33], v[6:7]
	v_fmac_f64_e32 v[54:55], v[32:33], v[30:31]
	s_clause 0x1
	global_store_b128 v[20:21], v[34:37], off
	global_store_b128 v51, v[52:55], s[12:13] scale_offset
	s_wait_xcnt 0x0
	s_and_saveexec_b32 s10, s2
	s_cbranch_execz .LBB133_43
; %bb.42:                               ;   in Loop: Header=BB133_10 Depth=1
	v_add_nc_u32_e32 v54, v50, v43
	s_clause 0x1
	global_load_b128 v[4:7], v[22:23], off
	global_load_b128 v[28:31], v54, s[12:13] scale_offset
	s_wait_loadcnt 0x1
	v_mul_f64_e32 v[36:37], v[0:1], v[4:5]
	s_wait_loadcnt 0x0
	v_mul_f64_e32 v[34:35], v[2:3], v[30:31]
	v_mul_f64_e32 v[38:39], v[2:3], v[28:29]
	;; [unrolled: 1-line block ×3, first 2 shown]
	s_delay_alu instid0(VALU_DEP_4) | instskip(NEXT) | instid1(VALU_DEP_4)
	v_fma_f64 v[50:51], v[2:3], v[6:7], -v[36:37]
	v_fmac_f64_e32 v[34:35], v[0:1], v[28:29]
	s_delay_alu instid0(VALU_DEP_4) | instskip(NEXT) | instid1(VALU_DEP_4)
	v_fma_f64 v[36:37], v[0:1], v[30:31], -v[38:39]
	v_fma_f64 v[52:53], v[4:5], -v[2:3], -v[52:53]
	s_delay_alu instid0(VALU_DEP_4) | instskip(NEXT) | instid1(VALU_DEP_4)
	v_fmac_f64_e32 v[50:51], v[32:33], v[28:29]
	v_fmac_f64_e32 v[34:35], v[32:33], v[4:5]
	s_delay_alu instid0(VALU_DEP_4) | instskip(NEXT) | instid1(VALU_DEP_4)
	v_fmac_f64_e32 v[36:37], v[32:33], v[6:7]
	v_fmac_f64_e32 v[52:53], v[32:33], v[30:31]
	s_clause 0x1
	global_store_b128 v[22:23], v[34:37], off
	global_store_b128 v54, v[50:53], s[12:13] scale_offset
.LBB133_43:                             ;   in Loop: Header=BB133_10 Depth=1
	s_wait_xcnt 0x0
	s_or_b32 exec_lo, exec_lo, s10
	v_mov_b64_e32 v[30:31], v[0:1]
	v_xor_b32_e32 v29, 0x80000000, v3
	v_mov_b32_e32 v28, v2
.LBB133_44:                             ;   in Loop: Header=BB133_10 Depth=1
	s_or_b32 exec_lo, exec_lo, s9
	s_wait_storecnt 0x0
	s_barrier_signal -1
	s_barrier_wait -1
	s_and_saveexec_b32 s9, s4
	s_cbranch_execz .LBB133_47
; %bb.45:                               ;   in Loop: Header=BB133_10 Depth=1
	v_add_nc_u32_e32 v58, v49, v9
	s_clause 0x1
	global_load_b128 v[4:7], v[24:25], off
	global_load_b128 v[34:37], v58, s[12:13] scale_offset
	s_wait_loadcnt 0x1
	v_mul_f64_e32 v[38:39], v[30:31], v[4:5]
	s_wait_loadcnt 0x0
	v_mul_f64_e32 v[50:51], v[2:3], v[36:37]
	v_mul_f64_e32 v[52:53], v[0:1], v[36:37]
	;; [unrolled: 1-line block ×3, first 2 shown]
	s_delay_alu instid0(VALU_DEP_4) | instskip(NEXT) | instid1(VALU_DEP_4)
	v_fma_f64 v[54:55], v[28:29], v[6:7], -v[38:39]
	v_fma_f64 v[50:51], v[0:1], v[34:35], -v[50:51]
	s_delay_alu instid0(VALU_DEP_4) | instskip(NEXT) | instid1(VALU_DEP_4)
	v_fmac_f64_e32 v[52:53], v[2:3], v[34:35]
	v_fma_f64 v[56:57], v[4:5], -v[28:29], -v[56:57]
	s_delay_alu instid0(VALU_DEP_4) | instskip(NEXT) | instid1(VALU_DEP_4)
	v_fmac_f64_e32 v[54:55], v[32:33], v[34:35]
	v_fmac_f64_e32 v[50:51], v[32:33], v[4:5]
	s_delay_alu instid0(VALU_DEP_4) | instskip(NEXT) | instid1(VALU_DEP_4)
	v_fmac_f64_e32 v[52:53], v[32:33], v[6:7]
	v_fmac_f64_e32 v[56:57], v[32:33], v[36:37]
	s_clause 0x1
	global_store_b128 v[24:25], v[50:53], off
	global_store_b128 v58, v[54:57], s[12:13] scale_offset
	s_wait_xcnt 0x0
	s_and_b32 exec_lo, exec_lo, s2
	s_cbranch_execz .LBB133_47
; %bb.46:                               ;   in Loop: Header=BB133_10 Depth=1
	v_add_nc_u32_e32 v58, v49, v44
	s_clause 0x1
	global_load_b128 v[4:7], v[26:27], off
	global_load_b128 v[34:37], v58, s[12:13] scale_offset
	s_wait_loadcnt 0x1
	v_mul_f64_e32 v[38:39], v[30:31], v[4:5]
	s_wait_loadcnt 0x0
	v_mul_f64_e32 v[50:51], v[2:3], v[36:37]
	v_mul_f64_e32 v[52:53], v[0:1], v[36:37]
	;; [unrolled: 1-line block ×3, first 2 shown]
	s_delay_alu instid0(VALU_DEP_4) | instskip(NEXT) | instid1(VALU_DEP_4)
	v_fma_f64 v[54:55], v[28:29], v[6:7], -v[38:39]
	v_fma_f64 v[50:51], v[0:1], v[34:35], -v[50:51]
	s_delay_alu instid0(VALU_DEP_4) | instskip(NEXT) | instid1(VALU_DEP_4)
	v_fmac_f64_e32 v[52:53], v[2:3], v[34:35]
	v_fma_f64 v[56:57], v[4:5], -v[28:29], -v[56:57]
	s_delay_alu instid0(VALU_DEP_4) | instskip(NEXT) | instid1(VALU_DEP_4)
	v_fmac_f64_e32 v[54:55], v[32:33], v[34:35]
	v_fmac_f64_e32 v[50:51], v[32:33], v[4:5]
	s_delay_alu instid0(VALU_DEP_4) | instskip(NEXT) | instid1(VALU_DEP_4)
	v_fmac_f64_e32 v[52:53], v[32:33], v[6:7]
	v_fmac_f64_e32 v[56:57], v[32:33], v[36:37]
	s_clause 0x1
	global_store_b128 v[26:27], v[50:53], off
	global_store_b128 v58, v[54:57], s[12:13] scale_offset
.LBB133_47:                             ;   in Loop: Header=BB133_10 Depth=1
	s_wait_xcnt 0x0
	s_or_b32 exec_lo, exec_lo, s9
	s_and_b32 s4, s0, s3
	s_wait_storecnt 0x0
	s_barrier_signal -1
	s_barrier_wait -1
	s_and_saveexec_b32 s3, s4
	s_cbranch_execz .LBB133_9
; %bb.48:                               ;   in Loop: Header=BB133_10 Depth=1
	v_mad_u32 v34, v49, s15, v41
	s_mov_b32 s9, s8
	s_mov_b32 s10, s8
	;; [unrolled: 1-line block ×3, first 2 shown]
	v_mov_b64_e32 v[4:5], s[8:9]
	v_mov_b64_e32 v[6:7], s[10:11]
	v_add_nc_u32_e32 v35, v49, v42
	s_clause 0x1
	global_store_b128 v34, v[4:7], s[12:13] scale_offset
	global_store_b128 v35, v[4:7], s[12:13] scale_offset
	s_branch .LBB133_9
.LBB133_49:
	s_endpgm
	.section	.rodata,"a",@progbits
	.p2align	6, 0x0
	.amdhsa_kernel _ZN9rocsolver6v33100L21syevj_offd_kernel_orgI19rocblas_complex_numIdEdPS3_EEviiT1_iilT0_PT_PiS9_S9_
		.amdhsa_group_segment_fixed_size 0
		.amdhsa_private_segment_fixed_size 0
		.amdhsa_kernarg_size 328
		.amdhsa_user_sgpr_count 2
		.amdhsa_user_sgpr_dispatch_ptr 0
		.amdhsa_user_sgpr_queue_ptr 0
		.amdhsa_user_sgpr_kernarg_segment_ptr 1
		.amdhsa_user_sgpr_dispatch_id 0
		.amdhsa_user_sgpr_kernarg_preload_length 0
		.amdhsa_user_sgpr_kernarg_preload_offset 0
		.amdhsa_user_sgpr_private_segment_size 0
		.amdhsa_wavefront_size32 1
		.amdhsa_uses_dynamic_stack 0
		.amdhsa_enable_private_segment 0
		.amdhsa_system_sgpr_workgroup_id_x 1
		.amdhsa_system_sgpr_workgroup_id_y 0
		.amdhsa_system_sgpr_workgroup_id_z 1
		.amdhsa_system_sgpr_workgroup_info 0
		.amdhsa_system_vgpr_workitem_id 1
		.amdhsa_next_free_vgpr 60
		.amdhsa_next_free_sgpr 24
		.amdhsa_named_barrier_count 0
		.amdhsa_reserve_vcc 1
		.amdhsa_float_round_mode_32 0
		.amdhsa_float_round_mode_16_64 0
		.amdhsa_float_denorm_mode_32 3
		.amdhsa_float_denorm_mode_16_64 3
		.amdhsa_fp16_overflow 0
		.amdhsa_memory_ordered 1
		.amdhsa_forward_progress 1
		.amdhsa_inst_pref_size 36
		.amdhsa_round_robin_scheduling 0
		.amdhsa_exception_fp_ieee_invalid_op 0
		.amdhsa_exception_fp_denorm_src 0
		.amdhsa_exception_fp_ieee_div_zero 0
		.amdhsa_exception_fp_ieee_overflow 0
		.amdhsa_exception_fp_ieee_underflow 0
		.amdhsa_exception_fp_ieee_inexact 0
		.amdhsa_exception_int_div_zero 0
	.end_amdhsa_kernel
	.section	.text._ZN9rocsolver6v33100L21syevj_offd_kernel_orgI19rocblas_complex_numIdEdPS3_EEviiT1_iilT0_PT_PiS9_S9_,"axG",@progbits,_ZN9rocsolver6v33100L21syevj_offd_kernel_orgI19rocblas_complex_numIdEdPS3_EEviiT1_iilT0_PT_PiS9_S9_,comdat
.Lfunc_end133:
	.size	_ZN9rocsolver6v33100L21syevj_offd_kernel_orgI19rocblas_complex_numIdEdPS3_EEviiT1_iilT0_PT_PiS9_S9_, .Lfunc_end133-_ZN9rocsolver6v33100L21syevj_offd_kernel_orgI19rocblas_complex_numIdEdPS3_EEviiT1_iilT0_PT_PiS9_S9_
                                        ; -- End function
	.set _ZN9rocsolver6v33100L21syevj_offd_kernel_orgI19rocblas_complex_numIdEdPS3_EEviiT1_iilT0_PT_PiS9_S9_.num_vgpr, 60
	.set _ZN9rocsolver6v33100L21syevj_offd_kernel_orgI19rocblas_complex_numIdEdPS3_EEviiT1_iilT0_PT_PiS9_S9_.num_agpr, 0
	.set _ZN9rocsolver6v33100L21syevj_offd_kernel_orgI19rocblas_complex_numIdEdPS3_EEviiT1_iilT0_PT_PiS9_S9_.numbered_sgpr, 24
	.set _ZN9rocsolver6v33100L21syevj_offd_kernel_orgI19rocblas_complex_numIdEdPS3_EEviiT1_iilT0_PT_PiS9_S9_.num_named_barrier, 0
	.set _ZN9rocsolver6v33100L21syevj_offd_kernel_orgI19rocblas_complex_numIdEdPS3_EEviiT1_iilT0_PT_PiS9_S9_.private_seg_size, 0
	.set _ZN9rocsolver6v33100L21syevj_offd_kernel_orgI19rocblas_complex_numIdEdPS3_EEviiT1_iilT0_PT_PiS9_S9_.uses_vcc, 1
	.set _ZN9rocsolver6v33100L21syevj_offd_kernel_orgI19rocblas_complex_numIdEdPS3_EEviiT1_iilT0_PT_PiS9_S9_.uses_flat_scratch, 0
	.set _ZN9rocsolver6v33100L21syevj_offd_kernel_orgI19rocblas_complex_numIdEdPS3_EEviiT1_iilT0_PT_PiS9_S9_.has_dyn_sized_stack, 0
	.set _ZN9rocsolver6v33100L21syevj_offd_kernel_orgI19rocblas_complex_numIdEdPS3_EEviiT1_iilT0_PT_PiS9_S9_.has_recursion, 0
	.set _ZN9rocsolver6v33100L21syevj_offd_kernel_orgI19rocblas_complex_numIdEdPS3_EEviiT1_iilT0_PT_PiS9_S9_.has_indirect_call, 0
	.section	.AMDGPU.csdata,"",@progbits
; Kernel info:
; codeLenInByte = 4544
; TotalNumSgprs: 26
; NumVgprs: 60
; ScratchSize: 0
; MemoryBound: 0
; FloatMode: 240
; IeeeMode: 1
; LDSByteSize: 0 bytes/workgroup (compile time only)
; SGPRBlocks: 0
; VGPRBlocks: 3
; NumSGPRsForWavesPerEU: 26
; NumVGPRsForWavesPerEU: 60
; NamedBarCnt: 0
; Occupancy: 16
; WaveLimiterHint : 0
; COMPUTE_PGM_RSRC2:SCRATCH_EN: 0
; COMPUTE_PGM_RSRC2:USER_SGPR: 2
; COMPUTE_PGM_RSRC2:TRAP_HANDLER: 0
; COMPUTE_PGM_RSRC2:TGID_X_EN: 1
; COMPUTE_PGM_RSRC2:TGID_Y_EN: 0
; COMPUTE_PGM_RSRC2:TGID_Z_EN: 1
; COMPUTE_PGM_RSRC2:TIDIG_COMP_CNT: 1
	.section	.text._ZN9rocsolver6v33100L17syevj_offd_kernelI19rocblas_complex_numIdEdPS3_EEviiT1_iilT0_PT_PiS9_S9_i,"axG",@progbits,_ZN9rocsolver6v33100L17syevj_offd_kernelI19rocblas_complex_numIdEdPS3_EEviiT1_iilT0_PT_PiS9_S9_i,comdat
	.globl	_ZN9rocsolver6v33100L17syevj_offd_kernelI19rocblas_complex_numIdEdPS3_EEviiT1_iilT0_PT_PiS9_S9_i ; -- Begin function _ZN9rocsolver6v33100L17syevj_offd_kernelI19rocblas_complex_numIdEdPS3_EEviiT1_iilT0_PT_PiS9_S9_i
	.p2align	8
	.type	_ZN9rocsolver6v33100L17syevj_offd_kernelI19rocblas_complex_numIdEdPS3_EEviiT1_iilT0_PT_PiS9_S9_i,@function
_ZN9rocsolver6v33100L17syevj_offd_kernelI19rocblas_complex_numIdEdPS3_EEviiT1_iilT0_PT_PiS9_S9_i: ; @_ZN9rocsolver6v33100L17syevj_offd_kernelI19rocblas_complex_numIdEdPS3_EEviiT1_iilT0_PT_PiS9_S9_i
; %bb.0:
	s_clause 0x1
	s_load_b64 s[24:25], s[0:1], 0x0
	s_load_b32 s33, s[0:1], 0x48
	s_bfe_u32 s4, ttmp6, 0x40014
	s_lshr_b32 s3, ttmp7, 16
	s_add_co_i32 s4, s4, 1
	s_getreg_b32 s13, hwreg(HW_REG_IB_STS2, 6, 4)
	s_mul_i32 s4, s3, s4
	s_mov_b32 s12, 0
	s_wait_kmcnt 0x0
	s_abs_i32 s14, s24
	s_delay_alu instid0(SALU_CYCLE_1) | instskip(NEXT) | instid1(SALU_CYCLE_3)
	s_cvt_f32_u32 s2, s14
	v_rcp_iflag_f32_e32 v1, s2
	s_bfe_u32 s2, ttmp6, 0x40008
	s_delay_alu instid0(SALU_CYCLE_1) | instskip(SKIP_3) | instid1(TRANS32_DEP_1)
	s_add_co_i32 s2, s2, s4
	s_cmp_eq_u32 s13, 0
	s_cselect_b32 s26, s3, s2
	v_nop
	v_readfirstlane_b32 s15, v1
	s_cmp_ge_u32 s26, s33
	s_cbranch_scc1 .LBB134_92
; %bb.1:
	s_load_b256 s[4:11], s[0:1], 0x18
	s_mov_b64 s[16:17], 0x10000000000000
	v_bfe_u32 v23, v0, 10, 10
	v_and_b32_e32 v22, 0x3ff, v0
	s_mul_f32 s15, s15, 0x4f7ffffe
	s_sub_co_i32 s27, 0, s14
	s_mov_b64 s[2:3], src_shared_base
	s_add_co_i32 s2, s25, -1
	s_cvt_u32_f32 s15, s15
	s_mov_b32 s35, s12
	s_mov_b32 s37, s12
	s_abs_i32 s34, s2
	s_mul_i32 s27, s27, s15
	s_ashr_i32 s31, s24, 31
	s_mov_b32 s41, s3
	s_mov_b32 s30, s24
	v_lshl_add_u32 v25, v22, 3, 0
	s_wait_kmcnt 0x0
	v_div_scale_f64 v[2:3], null, s[6:7], s[6:7], 0x100000
	v_div_scale_f64 v[8:9], vcc_lo, s[16:17], s[6:7], s[16:17]
	s_clause 0x3
	s_load_b128 s[20:23], s[0:1], 0x8
	s_load_b128 s[16:19], s[0:1], 0x38
	s_load_b32 s40, s[0:1], 0x50
	s_load_b64 s[28:29], s[0:1], 0x58
	s_wait_xcnt 0x0
	s_mul_hi_u32 s0, s15, s27
	s_delay_alu instid0(SALU_CYCLE_1) | instskip(NEXT) | instid1(SALU_CYCLE_1)
	s_add_co_i32 s36, s15, s0
	s_mul_u64 s[0:1], s[34:35], s[36:37]
	s_ashr_i32 s0, s2, 31
	s_mul_i32 s2, s1, s14
	s_xor_b32 s0, s0, s31
	s_sub_co_i32 s2, s34, s2
	s_add_co_i32 s15, s1, 1
	s_sub_co_i32 s27, s2, s14
	s_cmp_ge_u32 s2, s14
	s_cvt_f32_u32 s34, s24
	s_cselect_b32 s1, s15, s1
	s_cselect_b32 s2, s27, s2
	s_add_co_i32 s15, s1, 1
	s_cmp_ge_u32 s2, s14
	s_mul_i32 s14, s24, s24
	s_cselect_b32 s1, s15, s1
	s_wait_kmcnt 0x0
	s_mov_b32 s2, s22
	s_xor_b32 s1, s1, s0
	s_delay_alu instid0(SALU_CYCLE_1)
	s_sub_co_i32 s42, s1, s0
	s_mul_u64 s[0:1], s[30:31], 24
	s_add_co_i32 s3, s42, 1
	s_bfe_u32 s31, ttmp6, 0x4000c
	v_rcp_f64_e32 v[4:5], v[2:3]
	s_lshr_b32 s15, s3, 31
	s_add_co_i32 s31, s31, 1
	s_add_co_i32 s15, s3, s15
	s_and_b32 s30, ttmp6, 15
	s_and_b32 s15, s15, -2
	s_mul_i32 s31, ttmp9, s31
	s_sub_co_i32 s15, s3, s15
	s_add_co_i32 s30, s30, s31
	s_add_co_i32 s3, s15, s3
	s_delay_alu instid0(SALU_CYCLE_1) | instskip(NEXT) | instid1(SALU_CYCLE_1)
	s_lshr_b32 s15, s3, 31
	s_add_co_i32 s3, s3, s15
	s_delay_alu instid0(SALU_CYCLE_1)
	s_ashr_i32 s43, s3, 1
	s_cmp_eq_u32 s13, 0
	s_mul_i32 s13, s42, s24
	s_cselect_b32 s44, ttmp9, s30
	s_lshl_b32 s30, s24, 1
	s_lshl_b32 s15, s24, 3
	s_ashr_i32 s31, s30, 31
	s_lshl_b32 s46, s14, 2
	s_add_co_i32 s35, s15, 0
	s_mul_u64 s[14:15], s[30:31], s[30:31]
	s_lshr_b32 s45, s29, 16
	s_and_b32 s29, s29, 0xffff
	s_ashr_i32 s3, s22, 31
	s_lshl_b64 s[14:15], s[14:15], 4
	v_lshl_add_u32 v26, v22, 4, s35
	s_add_nc_u64 s[0:1], s[14:15], s[0:1]
	s_delay_alu instid0(SALU_CYCLE_1) | instskip(SKIP_2) | instid1(TRANS32_DEP_1)
	v_cmp_gt_u64_e64 s49, 0x10001, s[0:1]
	v_cmp_gt_u32_e64 s0, s24, v23
	v_cmp_gt_u32_e64 s1, s24, v22
	v_fma_f64 v[6:7], -v[2:3], v[4:5], 1.0
	s_delay_alu instid0(VALU_DEP_1) | instskip(NEXT) | instid1(VALU_DEP_1)
	v_fmac_f64_e32 v[4:5], v[4:5], v[6:7]
	v_fma_f64 v[6:7], -v[2:3], v[4:5], 1.0
	s_delay_alu instid0(VALU_DEP_1) | instskip(NEXT) | instid1(VALU_DEP_1)
	v_fmac_f64_e32 v[4:5], v[4:5], v[6:7]
	v_mul_f64_e32 v[6:7], v[8:9], v[4:5]
	s_delay_alu instid0(VALU_DEP_1) | instskip(SKIP_2) | instid1(SALU_CYCLE_1)
	v_dual_fma_f64 v[0:1], -v[2:3], v[6:7], v[8:9] :: v_dual_mov_b32 v3, 0
	v_rcp_iflag_f32_e32 v2, s34
	s_lshl_b32 s34, s24, 4
	s_add_co_i32 s31, s35, s34
	s_cmp_lt_u32 s44, s43
	s_cselect_b32 s47, -1, 0
	v_nop
	s_delay_alu instid0(TRANS32_DEP_1)
	v_readfirstlane_b32 s27, v2
	s_sub_co_i32 s48, s25, s13
	s_cmp_lg_u64 s[8:9], 0
	s_cselect_b32 s50, -1, 0
	s_cmp_gt_i32 s24, 0
	s_cselect_b32 s51, -1, 0
	s_sub_co_i32 s52, 0, s24
	s_lshl_b64 s[2:3], s[2:3], 4
	s_lshl_b32 s54, s29, 3
	s_add_nc_u64 s[20:21], s[20:21], s[2:3]
	s_mul_i32 s2, s24, s45
	s_lshl_b32 s55, s29, 4
	s_lshl_b32 s53, s2, 1
	v_div_fmas_f64 v[0:1], v[0:1], v[4:5], v[6:7]
	s_delay_alu instid0(VALU_DEP_1) | instskip(SKIP_4) | instid1(VALU_DEP_1)
	v_div_fixup_f64 v[8:9], v[0:1], s[6:7], 0x100000
	v_mul_lo_u32 v0, v23, s24
	v_add_nc_u32_e32 v1, s24, v23
	s_mul_f32 s6, s27, 0x4f7ffffe
	s_ashr_i32 s7, s23, 31
	v_mul_lo_u32 v1, s24, v1
	s_delay_alu instid0(SALU_CYCLE_1) | instskip(SKIP_2) | instid1(VALU_DEP_3)
	s_cvt_u32_f32 s13, s6
	s_mov_b32 s6, s23
	s_mov_b32 s23, s12
	v_lshlrev_b32_e32 v24, 1, v0
	s_mul_i32 s14, s52, s13
	s_delay_alu instid0(SALU_CYCLE_1) | instskip(NEXT) | instid1(VALU_DEP_1)
	s_mul_hi_u32 s14, s13, s14
	v_add_nc_u32_e32 v27, v22, v24
	s_delay_alu instid0(VALU_DEP_3)
	v_lshl_add_u32 v28, v1, 1, v22
	s_add_co_i32 s22, s13, s14
	s_branch .LBB134_3
.LBB134_2:                              ;   in Loop: Header=BB134_3 Depth=1
	s_add_co_i32 s26, s26, s28
	s_delay_alu instid0(SALU_CYCLE_1)
	s_cmp_ge_u32 s26, s33
	s_cbranch_scc1 .LBB134_92
.LBB134_3:                              ; =>This Loop Header: Depth=1
                                        ;     Child Loop BB134_8 Depth 2
                                        ;       Child Loop BB134_16 Depth 3
                                        ;         Child Loop BB134_18 Depth 4
                                        ;       Child Loop BB134_23 Depth 3
                                        ;         Child Loop BB134_26 Depth 4
                                        ;           Child Loop BB134_31 Depth 5
                                        ;         Child Loop BB134_58 Depth 4
                                        ;           Child Loop BB134_61 Depth 5
	;; [unrolled: 2-line block ×4, first 2 shown]
                                        ;       Child Loop BB134_89 Depth 3
                                        ;         Child Loop BB134_91 Depth 4
	s_wait_xcnt 0x0
	v_mov_b32_e32 v0, s26
	global_load_b32 v0, v0, s[18:19] offset:4 scale_offset
	s_wait_loadcnt 0x0
	v_cmp_ne_u32_e32 vcc_lo, 0, v0
	s_cbranch_vccnz .LBB134_2
; %bb.4:                                ;   in Loop: Header=BB134_3 Depth=1
	s_and_not1_b32 vcc_lo, exec_lo, s47
	s_cbranch_vccnz .LBB134_2
; %bb.5:                                ;   in Loop: Header=BB134_3 Depth=1
	s_mov_b32 s27, s12
	s_mov_b32 s56, s44
	s_mul_u64 s[2:3], s[4:5], s[26:27]
	s_mul_i32 s27, s26, s43
	s_lshl_b64 s[2:3], s[2:3], 4
	s_delay_alu instid0(SALU_CYCLE_1)
	s_add_nc_u64 s[34:35], s[20:21], s[2:3]
	s_branch .LBB134_8
.LBB134_6:                              ;   in Loop: Header=BB134_8 Depth=2
	s_or_b32 exec_lo, exec_lo, s3
	s_wait_storecnt 0x0
	s_barrier_signal -1
	s_barrier_wait -1
.LBB134_7:                              ;   in Loop: Header=BB134_8 Depth=2
	s_add_co_i32 s56, s56, s40
	s_delay_alu instid0(SALU_CYCLE_1)
	s_cmp_lt_u32 s56, s43
	s_cbranch_scc0 .LBB134_2
.LBB134_8:                              ;   Parent Loop BB134_3 Depth=1
                                        ; =>  This Loop Header: Depth=2
                                        ;       Child Loop BB134_16 Depth 3
                                        ;         Child Loop BB134_18 Depth 4
                                        ;       Child Loop BB134_23 Depth 3
                                        ;         Child Loop BB134_26 Depth 4
                                        ;           Child Loop BB134_31 Depth 5
                                        ;         Child Loop BB134_58 Depth 4
                                        ;           Child Loop BB134_61 Depth 5
	;; [unrolled: 2-line block ×4, first 2 shown]
                                        ;       Child Loop BB134_89 Depth 3
                                        ;         Child Loop BB134_91 Depth 4
	s_wait_xcnt 0x0
	v_mov_b32_e32 v2, s56
	s_clause 0x1
	global_load_b32 v0, v2, s[10:11] scale_offset
	global_load_b32 v1, v2, s[16:17] scale_offset
	s_wait_loadcnt 0x1
	v_readfirstlane_b32 s2, v0
	s_wait_loadcnt 0x0
	v_readfirstlane_b32 s3, v1
	s_max_i32 s58, s2, s3
	s_delay_alu instid0(SALU_CYCLE_1)
	s_cmp_gt_i32 s58, s42
	s_cbranch_scc1 .LBB134_7
; %bb.9:                                ;   in Loop: Header=BB134_8 Depth=2
	s_and_not1_b32 vcc_lo, exec_lo, s50
	s_cbranch_vccnz .LBB134_11
; %bb.10:                               ;   in Loop: Header=BB134_8 Depth=2
	s_add_co_i32 s2, s56, s27
	s_mov_b32 s3, s12
	s_mul_i32 s2, s46, s2
	s_delay_alu instid0(SALU_CYCLE_1) | instskip(NEXT) | instid1(SALU_CYCLE_1)
	s_lshl_b64 s[2:3], s[2:3], 4
	s_add_nc_u64 s[36:37], s[8:9], s[2:3]
	s_branch .LBB134_12
.LBB134_11:                             ;   in Loop: Header=BB134_8 Depth=2
	s_mov_b64 s[36:37], 0
.LBB134_12:                             ;   in Loop: Header=BB134_8 Depth=2
	v_dual_mov_b32 v0, s48 :: v_dual_min_i32 v4, v1, v0
	s_cmp_eq_u32 s58, s42
	s_cselect_b32 s2, s48, s24
	s_delay_alu instid0(VALU_DEP_1) | instskip(NEXT) | instid1(VALU_DEP_2)
	v_cmp_eq_u32_e32 vcc_lo, s42, v4
	v_cndmask_b32_e32 v0, s24, v0, vcc_lo
	s_delay_alu instid0(VALU_DEP_1)
	v_add_nc_u32_e32 v29, s2, v0
	s_and_b32 s2, s49, exec_lo
	s_cselect_b32 s39, s41, s37
	s_cselect_b32 s38, s31, s36
	s_cmp_lg_u64 s[36:37], 0
	v_cmp_lt_u32_e32 vcc_lo, v23, v29
	s_cselect_b32 s57, -1, 0
	s_cmp_eq_u64 s[36:37], 0
	s_cbranch_scc1 .LBB134_20
; %bb.13:                               ;   in Loop: Header=BB134_8 Depth=2
	s_barrier_signal -1
	s_barrier_wait -1
	s_wait_xcnt 0x0
	s_and_saveexec_b32 s3, vcc_lo
	s_cbranch_execz .LBB134_19
; %bb.14:                               ;   in Loop: Header=BB134_8 Depth=2
	v_dual_mov_b32 v5, v24 :: v_dual_mov_b32 v6, v23
	s_mov_b32 s13, 0
	v_cmp_lt_u32_e32 vcc_lo, v22, v29
	s_branch .LBB134_16
.LBB134_15:                             ;   in Loop: Header=BB134_16 Depth=3
	s_or_b32 exec_lo, exec_lo, s14
	v_dual_add_nc_u32 v6, s45, v6 :: v_dual_add_nc_u32 v5, s53, v5
	s_delay_alu instid0(VALU_DEP_1) | instskip(SKIP_1) | instid1(SALU_CYCLE_1)
	v_cmp_ge_u32_e64 s2, v6, v29
	s_or_b32 s13, s2, s13
	s_and_not1_b32 exec_lo, exec_lo, s13
	s_cbranch_execz .LBB134_19
.LBB134_16:                             ;   Parent Loop BB134_3 Depth=1
                                        ;     Parent Loop BB134_8 Depth=2
                                        ; =>    This Loop Header: Depth=3
                                        ;         Child Loop BB134_18 Depth 4
	s_and_saveexec_b32 s14, vcc_lo
	s_cbranch_execz .LBB134_15
; %bb.17:                               ;   in Loop: Header=BB134_16 Depth=3
	v_mov_b32_e32 v7, v22
	s_mov_b32 s15, 0
.LBB134_18:                             ;   Parent Loop BB134_3 Depth=1
                                        ;     Parent Loop BB134_8 Depth=2
                                        ;       Parent Loop BB134_16 Depth=3
                                        ; =>      This Inner Loop Header: Depth=4
	s_delay_alu instid0(VALU_DEP_1) | instskip(SKIP_2) | instid1(VALU_DEP_3)
	v_cmp_eq_u32_e64 s2, v6, v7
	v_dual_add_nc_u32 v10, v5, v7 :: v_dual_add_nc_u32 v7, s29, v7
	v_dual_mov_b32 v0, v3 :: v_dual_mov_b32 v2, v3
	v_cndmask_b32_e64 v1, 0, 0x3ff00000, s2
	s_delay_alu instid0(VALU_DEP_3)
	v_cmp_ge_u32_e64 s2, v7, v29
	flat_store_b128 v10, v[0:3], s[38:39] scale_offset
	s_or_b32 s15, s2, s15
	s_wait_xcnt 0x0
	s_and_not1_b32 exec_lo, exec_lo, s15
	s_cbranch_execnz .LBB134_18
	s_branch .LBB134_15
.LBB134_19:                             ;   in Loop: Header=BB134_8 Depth=2
	s_or_b32 exec_lo, exec_lo, s3
	s_wait_storecnt_dscnt 0x0
	s_barrier_signal -1
	s_barrier_wait -1
.LBB134_20:                             ;   in Loop: Header=BB134_8 Depth=2
	s_and_not1_b32 vcc_lo, exec_lo, s51
	s_cbranch_vccnz .LBB134_85
; %bb.21:                               ;   in Loop: Header=BB134_8 Depth=2
	v_mul_lo_u32 v30, v4, s24
	s_mul_i32 s58, s58, s24
	s_mov_b32 s59, 0
	s_delay_alu instid0(VALU_DEP_1)
	v_dual_mov_b32 v32, v22 :: v_dual_add_nc_u32 v31, v22, v30
	s_branch .LBB134_23
.LBB134_22:                             ;   in Loop: Header=BB134_23 Depth=3
	s_or_b32 exec_lo, exec_lo, s3
	v_add_nc_u32_e32 v32, 1, v32
	s_add_co_i32 s59, s59, 1
	s_delay_alu instid0(SALU_CYCLE_1)
	s_cmp_eq_u32 s59, s24
	s_cbranch_scc1 .LBB134_85
.LBB134_23:                             ;   Parent Loop BB134_3 Depth=1
                                        ;     Parent Loop BB134_8 Depth=2
                                        ; =>    This Loop Header: Depth=3
                                        ;         Child Loop BB134_26 Depth 4
                                        ;           Child Loop BB134_31 Depth 5
                                        ;         Child Loop BB134_58 Depth 4
                                        ;           Child Loop BB134_61 Depth 5
	;; [unrolled: 2-line block ×4, first 2 shown]
	s_wait_xcnt 0x0
	s_and_saveexec_b32 s13, s0
	s_cbranch_execz .LBB134_55
; %bb.24:                               ;   in Loop: Header=BB134_23 Depth=3
	v_mov_b32_e32 v33, v23
	s_mov_b32 s14, 0
	s_branch .LBB134_26
.LBB134_25:                             ;   in Loop: Header=BB134_26 Depth=4
	s_or_b32 exec_lo, exec_lo, s15
	v_add_nc_u32_e32 v33, s45, v33
	s_delay_alu instid0(VALU_DEP_1) | instskip(SKIP_1) | instid1(SALU_CYCLE_1)
	v_cmp_le_u32_e32 vcc_lo, s24, v33
	s_or_b32 s14, vcc_lo, s14
	s_and_not1_b32 exec_lo, exec_lo, s14
	s_cbranch_execz .LBB134_55
.LBB134_26:                             ;   Parent Loop BB134_3 Depth=1
                                        ;     Parent Loop BB134_8 Depth=2
                                        ;       Parent Loop BB134_23 Depth=3
                                        ; =>      This Loop Header: Depth=4
                                        ;           Child Loop BB134_31 Depth 5
	s_and_saveexec_b32 s15, s1
	s_cbranch_execz .LBB134_25
; %bb.27:                               ;   in Loop: Header=BB134_26 Depth=4
	v_cmp_eq_u32_e64 s2, 0, v33
	v_dual_mov_b32 v34, v26 :: v_dual_mov_b32 v35, v25
	v_dual_mov_b32 v0, v32 :: v_dual_mov_b32 v36, v22
	s_mov_b32 s60, 0
	s_branch .LBB134_31
.LBB134_28:                             ;   in Loop: Header=BB134_31 Depth=5
	s_or_b32 exec_lo, exec_lo, s3
.LBB134_29:                             ;   in Loop: Header=BB134_31 Depth=5
	s_delay_alu instid0(SALU_CYCLE_1)
	s_or_b32 exec_lo, exec_lo, s62
	ds_store_b64 v35, v[12:13]
	ds_store_2addr_b64 v34, v[20:21], v[18:19] offset1:1
.LBB134_30:                             ;   in Loop: Header=BB134_31 Depth=5
	s_or_b32 exec_lo, exec_lo, s61
	v_dual_add_nc_u32 v36, s29, v36 :: v_dual_add_nc_u32 v35, s54, v35
	v_dual_add_nc_u32 v0, s29, v0 :: v_dual_add_nc_u32 v34, s55, v34
	s_delay_alu instid0(VALU_DEP_2) | instskip(SKIP_1) | instid1(SALU_CYCLE_1)
	v_cmp_le_u32_e32 vcc_lo, s24, v36
	s_or_b32 s60, vcc_lo, s60
	s_and_not1_b32 exec_lo, exec_lo, s60
	s_cbranch_execz .LBB134_25
.LBB134_31:                             ;   Parent Loop BB134_3 Depth=1
                                        ;     Parent Loop BB134_8 Depth=2
                                        ;       Parent Loop BB134_23 Depth=3
                                        ;         Parent Loop BB134_26 Depth=4
                                        ; =>        This Inner Loop Header: Depth=5
	v_mov_b32_e32 v1, v3
	s_delay_alu instid0(VALU_DEP_1) | instskip(SKIP_1) | instid1(VALU_DEP_2)
	v_mul_u64_e32 v[4:5], s[22:23], v[0:1]
	v_add_nc_u32_e32 v1, s59, v36
	v_not_b32_e32 v2, v5
	s_delay_alu instid0(VALU_DEP_2) | instskip(NEXT) | instid1(VALU_DEP_2)
	v_mad_u32 v4, s52, v5, v1
	v_mad_u32 v1, s24, v2, v1
	s_delay_alu instid0(VALU_DEP_2) | instskip(NEXT) | instid1(VALU_DEP_2)
	v_cmp_le_u32_e32 vcc_lo, s24, v4
	v_cndmask_b32_e32 v1, v4, v1, vcc_lo
	s_delay_alu instid0(VALU_DEP_1) | instskip(SKIP_1) | instid1(VALU_DEP_2)
	v_subrev_nc_u32_e32 v2, s24, v1
	v_cmp_le_u32_e32 vcc_lo, s24, v1
	v_dual_cndmask_b32 v1, v1, v2 :: v_dual_add_nc_u32 v2, v30, v36
	s_delay_alu instid0(VALU_DEP_1) | instskip(NEXT) | instid1(VALU_DEP_2)
	v_add_nc_u32_e32 v14, s58, v1
	v_cmp_gt_u32_e32 vcc_lo, s25, v2
	s_delay_alu instid0(VALU_DEP_2) | instskip(SKIP_1) | instid1(SALU_CYCLE_1)
	v_cmp_gt_u32_e64 s3, s25, v14
	s_and_b32 s61, s2, vcc_lo
	s_and_b32 s3, s61, s3
	s_delay_alu instid0(SALU_CYCLE_1)
	s_and_saveexec_b32 s61, s3
	s_cbranch_execz .LBB134_30
; %bb.32:                               ;   in Loop: Header=BB134_31 Depth=5
	v_mov_b32_e32 v15, v3
	s_mov_b32 s3, exec_lo
	s_delay_alu instid0(VALU_DEP_1) | instskip(NEXT) | instid1(VALU_DEP_1)
	v_mul_u64_e32 v[4:5], s[6:7], v[14:15]
	v_lshl_add_u64 v[16:17], v[4:5], 4, s[34:35]
	s_delay_alu instid0(VALU_DEP_1)
	v_lshl_add_u64 v[4:5], v[2:3], 4, v[16:17]
	global_load_b128 v[4:7], v[4:5], off
	s_wait_loadcnt 0x0
	v_cmp_gt_f64_e32 vcc_lo, 0, v[4:5]
	v_xor_b32_e32 v1, 0x80000000, v5
	v_xor_b32_e32 v10, 0x80000000, v7
	v_dual_mov_b32 v12, v4 :: v_dual_mov_b32 v18, v6
	s_delay_alu instid0(VALU_DEP_3) | instskip(SKIP_1) | instid1(VALU_DEP_4)
	v_cndmask_b32_e32 v13, v5, v1, vcc_lo
	v_cmp_gt_f64_e32 vcc_lo, 0, v[6:7]
	v_cndmask_b32_e32 v19, v7, v10, vcc_lo
                                        ; implicit-def: $vgpr10_vgpr11
	s_wait_xcnt 0x0
	s_delay_alu instid0(VALU_DEP_1)
	v_cmpx_ngt_f64_e32 v[12:13], v[18:19]
	s_xor_b32 s3, exec_lo, s3
	s_cbranch_execz .LBB134_36
; %bb.33:                               ;   in Loop: Header=BB134_31 Depth=5
	v_mov_b64_e32 v[10:11], 0
	s_mov_b32 s62, exec_lo
	v_cmpx_neq_f64_e32 0, v[6:7]
	s_cbranch_execz .LBB134_35
; %bb.34:                               ;   in Loop: Header=BB134_31 Depth=5
	v_div_scale_f64 v[10:11], null, v[18:19], v[18:19], v[12:13]
	v_div_scale_f64 v[40:41], vcc_lo, v[12:13], v[18:19], v[12:13]
	s_delay_alu instid0(VALU_DEP_2) | instskip(SKIP_1) | instid1(TRANS32_DEP_1)
	v_rcp_f64_e32 v[20:21], v[10:11]
	v_nop
	v_fma_f64 v[38:39], -v[10:11], v[20:21], 1.0
	s_delay_alu instid0(VALU_DEP_1) | instskip(NEXT) | instid1(VALU_DEP_1)
	v_fmac_f64_e32 v[20:21], v[20:21], v[38:39]
	v_fma_f64 v[38:39], -v[10:11], v[20:21], 1.0
	s_delay_alu instid0(VALU_DEP_1) | instskip(NEXT) | instid1(VALU_DEP_1)
	v_fmac_f64_e32 v[20:21], v[20:21], v[38:39]
	v_mul_f64_e32 v[38:39], v[40:41], v[20:21]
	s_delay_alu instid0(VALU_DEP_1) | instskip(NEXT) | instid1(VALU_DEP_1)
	v_fma_f64 v[10:11], -v[10:11], v[38:39], v[40:41]
	v_div_fmas_f64 v[10:11], v[10:11], v[20:21], v[38:39]
	s_delay_alu instid0(VALU_DEP_1) | instskip(NEXT) | instid1(VALU_DEP_1)
	v_div_fixup_f64 v[10:11], v[10:11], v[18:19], v[12:13]
	v_fma_f64 v[10:11], v[10:11], v[10:11], 1.0
	s_delay_alu instid0(VALU_DEP_1) | instskip(SKIP_1) | instid1(VALU_DEP_1)
	v_cmp_gt_f64_e32 vcc_lo, 0x10000000, v[10:11]
	v_cndmask_b32_e64 v1, 0, 0x100, vcc_lo
	v_ldexp_f64 v[10:11], v[10:11], v1
	v_cndmask_b32_e64 v1, 0, 0xffffff80, vcc_lo
	s_delay_alu instid0(VALU_DEP_2) | instskip(SKIP_1) | instid1(TRANS32_DEP_1)
	v_rsq_f64_e32 v[12:13], v[10:11]
	v_cmp_class_f64_e64 vcc_lo, v[10:11], 0x260
	v_mul_f64_e32 v[20:21], v[10:11], v[12:13]
	v_mul_f64_e32 v[12:13], 0.5, v[12:13]
	s_delay_alu instid0(VALU_DEP_1) | instskip(NEXT) | instid1(VALU_DEP_1)
	v_fma_f64 v[38:39], -v[12:13], v[20:21], 0.5
	v_fmac_f64_e32 v[20:21], v[20:21], v[38:39]
	v_fmac_f64_e32 v[12:13], v[12:13], v[38:39]
	s_delay_alu instid0(VALU_DEP_2) | instskip(NEXT) | instid1(VALU_DEP_1)
	v_fma_f64 v[38:39], -v[20:21], v[20:21], v[10:11]
	v_fmac_f64_e32 v[20:21], v[38:39], v[12:13]
	s_delay_alu instid0(VALU_DEP_1) | instskip(NEXT) | instid1(VALU_DEP_1)
	v_fma_f64 v[38:39], -v[20:21], v[20:21], v[10:11]
	v_fmac_f64_e32 v[20:21], v[38:39], v[12:13]
	s_delay_alu instid0(VALU_DEP_1) | instskip(NEXT) | instid1(VALU_DEP_1)
	v_ldexp_f64 v[12:13], v[20:21], v1
	v_dual_cndmask_b32 v11, v13, v11 :: v_dual_cndmask_b32 v10, v12, v10
	s_delay_alu instid0(VALU_DEP_1)
	v_mul_f64_e32 v[10:11], v[18:19], v[10:11]
.LBB134_35:                             ;   in Loop: Header=BB134_31 Depth=5
	s_or_b32 exec_lo, exec_lo, s62
                                        ; implicit-def: $vgpr12_vgpr13
                                        ; implicit-def: $vgpr18_vgpr19
.LBB134_36:                             ;   in Loop: Header=BB134_31 Depth=5
	s_and_not1_saveexec_b32 s3, s3
	s_cbranch_execz .LBB134_38
; %bb.37:                               ;   in Loop: Header=BB134_31 Depth=5
	v_div_scale_f64 v[10:11], null, v[12:13], v[12:13], v[18:19]
	v_div_scale_f64 v[40:41], vcc_lo, v[18:19], v[12:13], v[18:19]
	s_delay_alu instid0(VALU_DEP_2) | instskip(SKIP_1) | instid1(TRANS32_DEP_1)
	v_rcp_f64_e32 v[20:21], v[10:11]
	v_nop
	v_fma_f64 v[38:39], -v[10:11], v[20:21], 1.0
	s_delay_alu instid0(VALU_DEP_1) | instskip(NEXT) | instid1(VALU_DEP_1)
	v_fmac_f64_e32 v[20:21], v[20:21], v[38:39]
	v_fma_f64 v[38:39], -v[10:11], v[20:21], 1.0
	s_delay_alu instid0(VALU_DEP_1) | instskip(NEXT) | instid1(VALU_DEP_1)
	v_fmac_f64_e32 v[20:21], v[20:21], v[38:39]
	v_mul_f64_e32 v[38:39], v[40:41], v[20:21]
	s_delay_alu instid0(VALU_DEP_1) | instskip(NEXT) | instid1(VALU_DEP_1)
	v_fma_f64 v[10:11], -v[10:11], v[38:39], v[40:41]
	v_div_fmas_f64 v[10:11], v[10:11], v[20:21], v[38:39]
	s_delay_alu instid0(VALU_DEP_1) | instskip(NEXT) | instid1(VALU_DEP_1)
	v_div_fixup_f64 v[10:11], v[10:11], v[12:13], v[18:19]
	v_fma_f64 v[10:11], v[10:11], v[10:11], 1.0
	s_delay_alu instid0(VALU_DEP_1) | instskip(SKIP_1) | instid1(VALU_DEP_1)
	v_cmp_gt_f64_e32 vcc_lo, 0x10000000, v[10:11]
	v_cndmask_b32_e64 v1, 0, 0x100, vcc_lo
	v_ldexp_f64 v[10:11], v[10:11], v1
	v_cndmask_b32_e64 v1, 0, 0xffffff80, vcc_lo
	s_delay_alu instid0(VALU_DEP_2) | instskip(SKIP_1) | instid1(TRANS32_DEP_1)
	v_rsq_f64_e32 v[18:19], v[10:11]
	v_cmp_class_f64_e64 vcc_lo, v[10:11], 0x260
	v_mul_f64_e32 v[20:21], v[10:11], v[18:19]
	v_mul_f64_e32 v[18:19], 0.5, v[18:19]
	s_delay_alu instid0(VALU_DEP_1) | instskip(NEXT) | instid1(VALU_DEP_1)
	v_fma_f64 v[38:39], -v[18:19], v[20:21], 0.5
	v_fmac_f64_e32 v[20:21], v[20:21], v[38:39]
	v_fmac_f64_e32 v[18:19], v[18:19], v[38:39]
	s_delay_alu instid0(VALU_DEP_2) | instskip(NEXT) | instid1(VALU_DEP_1)
	v_fma_f64 v[38:39], -v[20:21], v[20:21], v[10:11]
	v_fmac_f64_e32 v[20:21], v[38:39], v[18:19]
	s_delay_alu instid0(VALU_DEP_1) | instskip(NEXT) | instid1(VALU_DEP_1)
	v_fma_f64 v[38:39], -v[20:21], v[20:21], v[10:11]
	v_fmac_f64_e32 v[20:21], v[38:39], v[18:19]
	s_delay_alu instid0(VALU_DEP_1) | instskip(NEXT) | instid1(VALU_DEP_1)
	v_ldexp_f64 v[18:19], v[20:21], v1
	v_dual_cndmask_b32 v11, v19, v11 :: v_dual_cndmask_b32 v10, v18, v10
	s_delay_alu instid0(VALU_DEP_1)
	v_mul_f64_e32 v[10:11], v[12:13], v[10:11]
.LBB134_38:                             ;   in Loop: Header=BB134_31 Depth=5
	s_or_b32 exec_lo, exec_lo, s3
	s_delay_alu instid0(VALU_DEP_1) | instskip(SKIP_2) | instid1(VALU_DEP_3)
	v_mul_f64_e32 v[12:13], v[10:11], v[10:11]
	v_mov_b64_e32 v[18:19], 0
	v_mov_b64_e32 v[20:21], 0
	v_cmp_nlt_f64_e32 vcc_lo, v[12:13], v[8:9]
	v_mov_b64_e32 v[12:13], 1.0
	s_and_saveexec_b32 s62, vcc_lo
	s_cbranch_execz .LBB134_29
; %bb.39:                               ;   in Loop: Header=BB134_31 Depth=5
	v_mul_u64_e32 v[12:13], s[6:7], v[2:3]
	v_lshl_add_u64 v[14:15], v[14:15], 4, v[16:17]
	s_delay_alu instid0(VALU_DEP_2) | instskip(NEXT) | instid1(VALU_DEP_1)
	v_lshl_add_u64 v[12:13], v[12:13], 4, s[34:35]
	v_lshl_add_u64 v[12:13], v[2:3], 4, v[12:13]
	s_clause 0x1
	global_load_b64 v[12:13], v[12:13], off
	global_load_b64 v[16:17], v[14:15], off
	s_wait_xcnt 0x0
	v_add_f64_e32 v[14:15], v[10:11], v[10:11]
	s_wait_loadcnt 0x0
	v_add_f64_e64 v[16:17], v[16:17], -v[12:13]
	s_delay_alu instid0(VALU_DEP_1) | instskip(SKIP_2) | instid1(VALU_DEP_3)
	v_max_num_f64_e64 v[12:13], |v[16:17]|, |v[14:15]|
	v_cmp_ngt_f64_e64 s3, 0, v[16:17]
	v_cmp_class_f64_e64 s64, v[16:17], 0x204
	v_frexp_exp_i32_f64_e32 v1, v[12:13]
	s_delay_alu instid0(VALU_DEP_1) | instskip(SKIP_1) | instid1(VALU_DEP_2)
	v_sub_nc_u32_e32 v2, 0, v1
	v_cmp_class_f64_e64 s63, v[14:15], 0x204
	v_ldexp_f64 v[12:13], |v[14:15]|, v2
	v_ldexp_f64 v[18:19], |v[16:17]|, v2
	s_delay_alu instid0(VALU_DEP_2) | instskip(NEXT) | instid1(VALU_DEP_1)
	v_mul_f64_e32 v[12:13], v[12:13], v[12:13]
	v_fmac_f64_e32 v[12:13], v[18:19], v[18:19]
	s_delay_alu instid0(VALU_DEP_1) | instskip(SKIP_1) | instid1(TRANS32_DEP_1)
	v_rsq_f64_e32 v[18:19], v[12:13]
	v_cmp_eq_f64_e32 vcc_lo, 0, v[12:13]
	v_mul_f64_e32 v[20:21], v[12:13], v[18:19]
	v_mul_f64_e32 v[18:19], 0.5, v[18:19]
	s_delay_alu instid0(VALU_DEP_1) | instskip(NEXT) | instid1(VALU_DEP_1)
	v_fma_f64 v[38:39], -v[18:19], v[20:21], 0.5
	v_fmac_f64_e32 v[20:21], v[20:21], v[38:39]
	v_fmac_f64_e32 v[18:19], v[18:19], v[38:39]
	s_delay_alu instid0(VALU_DEP_2) | instskip(NEXT) | instid1(VALU_DEP_1)
	v_fma_f64 v[38:39], -v[20:21], v[20:21], v[12:13]
	v_fmac_f64_e32 v[20:21], v[38:39], v[18:19]
	s_delay_alu instid0(VALU_DEP_1) | instskip(SKIP_1) | instid1(SALU_CYCLE_1)
	v_dual_cndmask_b32 v13, v21, v13 :: v_dual_cndmask_b32 v12, v20, v12
                                        ; implicit-def: $vgpr20_vgpr21
	s_and_saveexec_b32 s65, s3
	s_xor_b32 s3, exec_lo, s65
	s_cbranch_execz .LBB134_41
; %bb.40:                               ;   in Loop: Header=BB134_31 Depth=5
	s_delay_alu instid0(VALU_DEP_1) | instskip(SKIP_2) | instid1(VALU_DEP_2)
	v_ldexp_f64 v[12:13], v[12:13], v1
	v_cmp_o_f64_e32 vcc_lo, v[16:17], v[14:15]
	s_or_b32 s65, s63, s64
	v_cndmask_b32_e32 v1, 0, v12, vcc_lo
	s_delay_alu instid0(VALU_DEP_3) | instskip(NEXT) | instid1(VALU_DEP_2)
	v_cndmask_b32_e32 v2, 0x7ff80000, v13, vcc_lo
                                        ; implicit-def: $vgpr12_vgpr13
	v_cndmask_b32_e64 v20, v1, 0, s65
	s_delay_alu instid0(VALU_DEP_2)
	v_cndmask_b32_e64 v21, v2, 0x7ff00000, s65
                                        ; implicit-def: $vgpr1
.LBB134_41:                             ;   in Loop: Header=BB134_31 Depth=5
	s_and_not1_saveexec_b32 s3, s3
	s_cbranch_execz .LBB134_43
; %bb.42:                               ;   in Loop: Header=BB134_31 Depth=5
	v_ldexp_f64 v[12:13], -v[12:13], v1
	v_cmp_o_f64_e32 vcc_lo, v[14:15], v[14:15]
	s_or_b32 s63, s63, s64
	s_delay_alu instid0(VALU_DEP_2) | instskip(NEXT) | instid1(VALU_DEP_3)
	v_cndmask_b32_e32 v1, 0, v12, vcc_lo
	v_cndmask_b32_e32 v2, 0xfff80000, v13, vcc_lo
	s_delay_alu instid0(VALU_DEP_2) | instskip(NEXT) | instid1(VALU_DEP_2)
	v_cndmask_b32_e64 v20, v1, 0, s63
	v_cndmask_b32_e64 v21, v2, 0xfff00000, s63
.LBB134_43:                             ;   in Loop: Header=BB134_31 Depth=5
	s_or_b32 exec_lo, exec_lo, s3
	v_mov_b64_e32 v[18:19], 0
	v_mov_b64_e32 v[12:13], 1.0
	s_mov_b32 s3, exec_lo
	v_cmpx_neq_f64_e32 0, v[14:15]
	s_cbranch_execz .LBB134_51
; %bb.44:                               ;   in Loop: Header=BB134_31 Depth=5
	v_add_f64_e32 v[16:17], v[16:17], v[20:21]
	v_mov_b64_e32 v[12:13], 0
	v_mov_b64_e32 v[18:19], 1.0
	s_mov_b32 s63, exec_lo
	s_delay_alu instid0(VALU_DEP_3)
	v_cmpx_neq_f64_e32 0, v[16:17]
	s_cbranch_execz .LBB134_50
; %bb.45:                               ;   in Loop: Header=BB134_31 Depth=5
	v_cmp_ngt_f64_e64 s64, |v[14:15]|, |v[16:17]|
                                        ; implicit-def: $vgpr12_vgpr13
                                        ; implicit-def: $vgpr18_vgpr19
	s_and_saveexec_b32 s65, s64
	s_delay_alu instid0(SALU_CYCLE_1)
	s_xor_b32 s64, exec_lo, s65
	s_cbranch_execz .LBB134_47
; %bb.46:                               ;   in Loop: Header=BB134_31 Depth=5
	v_div_scale_f64 v[12:13], null, v[16:17], v[16:17], -v[14:15]
	v_div_scale_f64 v[38:39], vcc_lo, -v[14:15], v[16:17], -v[14:15]
	s_delay_alu instid0(VALU_DEP_2) | instskip(SKIP_1) | instid1(TRANS32_DEP_1)
	v_rcp_f64_e32 v[18:19], v[12:13]
	v_nop
	v_fma_f64 v[20:21], -v[12:13], v[18:19], 1.0
	s_delay_alu instid0(VALU_DEP_1) | instskip(NEXT) | instid1(VALU_DEP_1)
	v_fmac_f64_e32 v[18:19], v[18:19], v[20:21]
	v_fma_f64 v[20:21], -v[12:13], v[18:19], 1.0
	s_delay_alu instid0(VALU_DEP_1) | instskip(NEXT) | instid1(VALU_DEP_1)
	v_fmac_f64_e32 v[18:19], v[18:19], v[20:21]
	v_mul_f64_e32 v[20:21], v[38:39], v[18:19]
	s_delay_alu instid0(VALU_DEP_1) | instskip(NEXT) | instid1(VALU_DEP_1)
	v_fma_f64 v[12:13], -v[12:13], v[20:21], v[38:39]
	v_div_fmas_f64 v[12:13], v[12:13], v[18:19], v[20:21]
	s_delay_alu instid0(VALU_DEP_1) | instskip(NEXT) | instid1(VALU_DEP_1)
	v_div_fixup_f64 v[14:15], v[12:13], v[16:17], -v[14:15]
	v_fma_f64 v[12:13], v[14:15], v[14:15], 1.0
	s_delay_alu instid0(VALU_DEP_1) | instskip(SKIP_1) | instid1(VALU_DEP_1)
	v_cmp_gt_f64_e32 vcc_lo, 0x10000000, v[12:13]
	v_cndmask_b32_e64 v1, 0, 0x100, vcc_lo
	v_ldexp_f64 v[12:13], v[12:13], v1
	v_cndmask_b32_e64 v1, 0, 0xffffff80, vcc_lo
	s_delay_alu instid0(VALU_DEP_2) | instskip(SKIP_1) | instid1(TRANS32_DEP_1)
	v_rsq_f64_e32 v[16:17], v[12:13]
	v_cmp_class_f64_e64 vcc_lo, v[12:13], 0x260
	v_mul_f64_e32 v[18:19], v[12:13], v[16:17]
	v_mul_f64_e32 v[16:17], 0.5, v[16:17]
	s_delay_alu instid0(VALU_DEP_1) | instskip(NEXT) | instid1(VALU_DEP_1)
	v_fma_f64 v[20:21], -v[16:17], v[18:19], 0.5
	v_fmac_f64_e32 v[18:19], v[18:19], v[20:21]
	v_fmac_f64_e32 v[16:17], v[16:17], v[20:21]
	s_delay_alu instid0(VALU_DEP_2) | instskip(NEXT) | instid1(VALU_DEP_1)
	v_fma_f64 v[20:21], -v[18:19], v[18:19], v[12:13]
	v_fmac_f64_e32 v[18:19], v[20:21], v[16:17]
	s_delay_alu instid0(VALU_DEP_1) | instskip(NEXT) | instid1(VALU_DEP_1)
	v_fma_f64 v[20:21], -v[18:19], v[18:19], v[12:13]
	v_fmac_f64_e32 v[18:19], v[20:21], v[16:17]
	s_delay_alu instid0(VALU_DEP_1) | instskip(NEXT) | instid1(VALU_DEP_1)
	v_ldexp_f64 v[16:17], v[18:19], v1
	v_dual_cndmask_b32 v13, v17, v13 :: v_dual_cndmask_b32 v12, v16, v12
	s_delay_alu instid0(VALU_DEP_1) | instskip(NEXT) | instid1(VALU_DEP_1)
	v_div_scale_f64 v[16:17], null, v[12:13], v[12:13], 1.0
	v_rcp_f64_e32 v[18:19], v[16:17]
	v_nop
	s_delay_alu instid0(TRANS32_DEP_1) | instskip(NEXT) | instid1(VALU_DEP_1)
	v_fma_f64 v[20:21], -v[16:17], v[18:19], 1.0
	v_fmac_f64_e32 v[18:19], v[18:19], v[20:21]
	s_delay_alu instid0(VALU_DEP_1) | instskip(NEXT) | instid1(VALU_DEP_1)
	v_fma_f64 v[20:21], -v[16:17], v[18:19], 1.0
	v_fmac_f64_e32 v[18:19], v[18:19], v[20:21]
	v_div_scale_f64 v[20:21], vcc_lo, 1.0, v[12:13], 1.0
	s_delay_alu instid0(VALU_DEP_1) | instskip(NEXT) | instid1(VALU_DEP_1)
	v_mul_f64_e32 v[38:39], v[20:21], v[18:19]
	v_fma_f64 v[16:17], -v[16:17], v[38:39], v[20:21]
	s_delay_alu instid0(VALU_DEP_1) | instskip(NEXT) | instid1(VALU_DEP_1)
	v_div_fmas_f64 v[16:17], v[16:17], v[18:19], v[38:39]
	v_div_fixup_f64 v[12:13], v[16:17], v[12:13], 1.0
                                        ; implicit-def: $vgpr16_vgpr17
	s_delay_alu instid0(VALU_DEP_1)
	v_mul_f64_e32 v[18:19], v[14:15], v[12:13]
                                        ; implicit-def: $vgpr14_vgpr15
.LBB134_47:                             ;   in Loop: Header=BB134_31 Depth=5
	s_and_not1_saveexec_b32 s64, s64
	s_cbranch_execz .LBB134_49
; %bb.48:                               ;   in Loop: Header=BB134_31 Depth=5
	v_div_scale_f64 v[12:13], null, v[14:15], v[14:15], -v[16:17]
	v_div_scale_f64 v[38:39], vcc_lo, -v[16:17], v[14:15], -v[16:17]
	s_delay_alu instid0(VALU_DEP_2) | instskip(SKIP_1) | instid1(TRANS32_DEP_1)
	v_rcp_f64_e32 v[18:19], v[12:13]
	v_nop
	v_fma_f64 v[20:21], -v[12:13], v[18:19], 1.0
	s_delay_alu instid0(VALU_DEP_1) | instskip(NEXT) | instid1(VALU_DEP_1)
	v_fmac_f64_e32 v[18:19], v[18:19], v[20:21]
	v_fma_f64 v[20:21], -v[12:13], v[18:19], 1.0
	s_delay_alu instid0(VALU_DEP_1) | instskip(NEXT) | instid1(VALU_DEP_1)
	v_fmac_f64_e32 v[18:19], v[18:19], v[20:21]
	v_mul_f64_e32 v[20:21], v[38:39], v[18:19]
	s_delay_alu instid0(VALU_DEP_1) | instskip(NEXT) | instid1(VALU_DEP_1)
	v_fma_f64 v[12:13], -v[12:13], v[20:21], v[38:39]
	v_div_fmas_f64 v[12:13], v[12:13], v[18:19], v[20:21]
	s_delay_alu instid0(VALU_DEP_1) | instskip(NEXT) | instid1(VALU_DEP_1)
	v_div_fixup_f64 v[12:13], v[12:13], v[14:15], -v[16:17]
	v_fma_f64 v[14:15], v[12:13], v[12:13], 1.0
	s_delay_alu instid0(VALU_DEP_1) | instskip(SKIP_1) | instid1(VALU_DEP_1)
	v_cmp_gt_f64_e32 vcc_lo, 0x10000000, v[14:15]
	v_cndmask_b32_e64 v1, 0, 0x100, vcc_lo
	v_ldexp_f64 v[14:15], v[14:15], v1
	v_cndmask_b32_e64 v1, 0, 0xffffff80, vcc_lo
	s_delay_alu instid0(VALU_DEP_2) | instskip(SKIP_1) | instid1(TRANS32_DEP_1)
	v_rsq_f64_e32 v[16:17], v[14:15]
	v_cmp_class_f64_e64 vcc_lo, v[14:15], 0x260
	v_mul_f64_e32 v[18:19], v[14:15], v[16:17]
	v_mul_f64_e32 v[16:17], 0.5, v[16:17]
	s_delay_alu instid0(VALU_DEP_1) | instskip(NEXT) | instid1(VALU_DEP_1)
	v_fma_f64 v[20:21], -v[16:17], v[18:19], 0.5
	v_fmac_f64_e32 v[18:19], v[18:19], v[20:21]
	v_fmac_f64_e32 v[16:17], v[16:17], v[20:21]
	s_delay_alu instid0(VALU_DEP_2) | instskip(NEXT) | instid1(VALU_DEP_1)
	v_fma_f64 v[20:21], -v[18:19], v[18:19], v[14:15]
	v_fmac_f64_e32 v[18:19], v[20:21], v[16:17]
	s_delay_alu instid0(VALU_DEP_1) | instskip(NEXT) | instid1(VALU_DEP_1)
	v_fma_f64 v[20:21], -v[18:19], v[18:19], v[14:15]
	v_fmac_f64_e32 v[18:19], v[20:21], v[16:17]
	s_delay_alu instid0(VALU_DEP_1) | instskip(NEXT) | instid1(VALU_DEP_1)
	v_ldexp_f64 v[16:17], v[18:19], v1
	v_dual_cndmask_b32 v15, v17, v15 :: v_dual_cndmask_b32 v14, v16, v14
	s_delay_alu instid0(VALU_DEP_1) | instskip(NEXT) | instid1(VALU_DEP_1)
	v_div_scale_f64 v[16:17], null, v[14:15], v[14:15], 1.0
	v_rcp_f64_e32 v[18:19], v[16:17]
	v_nop
	s_delay_alu instid0(TRANS32_DEP_1) | instskip(NEXT) | instid1(VALU_DEP_1)
	v_fma_f64 v[20:21], -v[16:17], v[18:19], 1.0
	v_fmac_f64_e32 v[18:19], v[18:19], v[20:21]
	s_delay_alu instid0(VALU_DEP_1) | instskip(NEXT) | instid1(VALU_DEP_1)
	v_fma_f64 v[20:21], -v[16:17], v[18:19], 1.0
	v_fmac_f64_e32 v[18:19], v[18:19], v[20:21]
	v_div_scale_f64 v[20:21], vcc_lo, 1.0, v[14:15], 1.0
	s_delay_alu instid0(VALU_DEP_1) | instskip(NEXT) | instid1(VALU_DEP_1)
	v_mul_f64_e32 v[38:39], v[20:21], v[18:19]
	v_fma_f64 v[16:17], -v[16:17], v[38:39], v[20:21]
	s_delay_alu instid0(VALU_DEP_1) | instskip(NEXT) | instid1(VALU_DEP_1)
	v_div_fmas_f64 v[16:17], v[16:17], v[18:19], v[38:39]
	v_div_fixup_f64 v[18:19], v[16:17], v[14:15], 1.0
	s_delay_alu instid0(VALU_DEP_1)
	v_mul_f64_e32 v[12:13], v[12:13], v[18:19]
.LBB134_49:                             ;   in Loop: Header=BB134_31 Depth=5
	s_or_b32 exec_lo, exec_lo, s64
.LBB134_50:                             ;   in Loop: Header=BB134_31 Depth=5
	s_delay_alu instid0(SALU_CYCLE_1)
	s_or_b32 exec_lo, exec_lo, s63
.LBB134_51:                             ;   in Loop: Header=BB134_31 Depth=5
	s_delay_alu instid0(SALU_CYCLE_1) | instskip(NEXT) | instid1(VALU_DEP_1)
	s_or_b32 exec_lo, exec_lo, s3
	v_mul_f64_e32 v[4:5], v[4:5], v[18:19]
	v_mul_f64_e32 v[6:7], v[6:7], v[18:19]
	s_mov_b32 s3, exec_lo
                                        ; implicit-def: $vgpr18_vgpr19
	v_cmpx_lg_f64_e32 0, v[10:11]
	s_xor_b32 s3, exec_lo, s3
                                        ; implicit-def: $vgpr20_vgpr21
	s_cbranch_execz .LBB134_53
; %bb.52:                               ;   in Loop: Header=BB134_31 Depth=5
	v_div_scale_f64 v[14:15], null, v[10:11], v[10:11], 0
	v_div_scale_f64 v[20:21], vcc_lo, 0, v[10:11], 0
	s_delay_alu instid0(VALU_DEP_2) | instskip(SKIP_1) | instid1(TRANS32_DEP_1)
	v_rcp_f64_e32 v[16:17], v[14:15]
	v_nop
	v_fma_f64 v[18:19], -v[14:15], v[16:17], 1.0
	s_delay_alu instid0(VALU_DEP_1) | instskip(NEXT) | instid1(VALU_DEP_1)
	v_fmac_f64_e32 v[16:17], v[16:17], v[18:19]
	v_fma_f64 v[18:19], -v[14:15], v[16:17], 1.0
	s_delay_alu instid0(VALU_DEP_1) | instskip(NEXT) | instid1(VALU_DEP_1)
	v_fmac_f64_e32 v[16:17], v[16:17], v[18:19]
	v_mul_f64_e32 v[18:19], v[20:21], v[16:17]
	s_delay_alu instid0(VALU_DEP_1) | instskip(NEXT) | instid1(VALU_DEP_1)
	v_fma_f64 v[14:15], -v[14:15], v[18:19], v[20:21]
	v_div_fmas_f64 v[14:15], v[14:15], v[16:17], v[18:19]
	s_delay_alu instid0(VALU_DEP_1) | instskip(NEXT) | instid1(VALU_DEP_1)
	v_div_fixup_f64 v[14:15], v[14:15], v[10:11], 0
	v_fmac_f64_e32 v[10:11], 0, v[14:15]
	s_delay_alu instid0(VALU_DEP_1) | instskip(SKIP_1) | instid1(VALU_DEP_2)
	v_div_scale_f64 v[16:17], null, v[10:11], v[10:11], 1.0
	v_div_scale_f64 v[38:39], vcc_lo, 1.0, v[10:11], 1.0
	v_rcp_f64_e32 v[18:19], v[16:17]
	v_nop
	s_delay_alu instid0(TRANS32_DEP_1) | instskip(NEXT) | instid1(VALU_DEP_1)
	v_fma_f64 v[20:21], -v[16:17], v[18:19], 1.0
	v_fmac_f64_e32 v[18:19], v[18:19], v[20:21]
	s_delay_alu instid0(VALU_DEP_1) | instskip(NEXT) | instid1(VALU_DEP_1)
	v_fma_f64 v[20:21], -v[16:17], v[18:19], 1.0
	v_fmac_f64_e32 v[18:19], v[18:19], v[20:21]
	s_delay_alu instid0(VALU_DEP_1) | instskip(NEXT) | instid1(VALU_DEP_1)
	v_mul_f64_e32 v[20:21], v[38:39], v[18:19]
	v_fma_f64 v[16:17], -v[16:17], v[20:21], v[38:39]
	s_delay_alu instid0(VALU_DEP_1) | instskip(SKIP_2) | instid1(VALU_DEP_3)
	v_div_fmas_f64 v[16:17], v[16:17], v[18:19], v[20:21]
	v_fma_f64 v[18:19], v[14:15], v[6:7], v[4:5]
	v_fma_f64 v[4:5], -v[14:15], v[4:5], v[6:7]
                                        ; implicit-def: $vgpr6_vgpr7
	v_div_fixup_f64 v[10:11], v[16:17], v[10:11], 1.0
	s_delay_alu instid0(VALU_DEP_1) | instskip(NEXT) | instid1(VALU_DEP_3)
	v_mul_f64_e32 v[20:21], v[10:11], v[18:19]
	v_mul_f64_e32 v[18:19], v[10:11], v[4:5]
                                        ; implicit-def: $vgpr10_vgpr11
                                        ; implicit-def: $vgpr4_vgpr5
.LBB134_53:                             ;   in Loop: Header=BB134_31 Depth=5
	s_and_not1_saveexec_b32 s3, s3
	s_cbranch_execz .LBB134_28
; %bb.54:                               ;   in Loop: Header=BB134_31 Depth=5
	v_div_scale_f64 v[14:15], null, 0, 0, v[10:11]
	v_div_scale_f64 v[20:21], vcc_lo, v[10:11], 0, v[10:11]
	s_delay_alu instid0(VALU_DEP_2) | instskip(SKIP_1) | instid1(TRANS32_DEP_1)
	v_rcp_f64_e32 v[16:17], v[14:15]
	v_nop
	v_fma_f64 v[18:19], -v[14:15], v[16:17], 1.0
	s_delay_alu instid0(VALU_DEP_1) | instskip(NEXT) | instid1(VALU_DEP_1)
	v_fmac_f64_e32 v[16:17], v[16:17], v[18:19]
	v_fma_f64 v[18:19], -v[14:15], v[16:17], 1.0
	s_delay_alu instid0(VALU_DEP_1) | instskip(NEXT) | instid1(VALU_DEP_1)
	v_fmac_f64_e32 v[16:17], v[16:17], v[18:19]
	v_mul_f64_e32 v[18:19], v[20:21], v[16:17]
	s_delay_alu instid0(VALU_DEP_1) | instskip(NEXT) | instid1(VALU_DEP_1)
	v_fma_f64 v[14:15], -v[14:15], v[18:19], v[20:21]
	v_div_fmas_f64 v[14:15], v[14:15], v[16:17], v[18:19]
	s_delay_alu instid0(VALU_DEP_1) | instskip(NEXT) | instid1(VALU_DEP_1)
	v_div_fixup_f64 v[14:15], v[14:15], 0, v[10:11]
	v_fma_f64 v[10:11], v[10:11], v[14:15], 0
	s_delay_alu instid0(VALU_DEP_1) | instskip(SKIP_1) | instid1(VALU_DEP_2)
	v_div_scale_f64 v[16:17], null, v[10:11], v[10:11], 1.0
	v_div_scale_f64 v[38:39], vcc_lo, 1.0, v[10:11], 1.0
	v_rcp_f64_e32 v[18:19], v[16:17]
	v_nop
	s_delay_alu instid0(TRANS32_DEP_1) | instskip(NEXT) | instid1(VALU_DEP_1)
	v_fma_f64 v[20:21], -v[16:17], v[18:19], 1.0
	v_fmac_f64_e32 v[18:19], v[18:19], v[20:21]
	s_delay_alu instid0(VALU_DEP_1) | instskip(NEXT) | instid1(VALU_DEP_1)
	v_fma_f64 v[20:21], -v[16:17], v[18:19], 1.0
	v_fmac_f64_e32 v[18:19], v[18:19], v[20:21]
	s_delay_alu instid0(VALU_DEP_1) | instskip(NEXT) | instid1(VALU_DEP_1)
	v_mul_f64_e32 v[20:21], v[38:39], v[18:19]
	v_fma_f64 v[16:17], -v[16:17], v[20:21], v[38:39]
	s_delay_alu instid0(VALU_DEP_1) | instskip(SKIP_2) | instid1(VALU_DEP_3)
	v_div_fmas_f64 v[16:17], v[16:17], v[18:19], v[20:21]
	v_fma_f64 v[18:19], v[14:15], v[4:5], v[6:7]
	v_fma_f64 v[4:5], v[14:15], v[6:7], -v[4:5]
	v_div_fixup_f64 v[10:11], v[16:17], v[10:11], 1.0
	s_delay_alu instid0(VALU_DEP_1) | instskip(NEXT) | instid1(VALU_DEP_3)
	v_mul_f64_e32 v[20:21], v[10:11], v[18:19]
	v_mul_f64_e32 v[18:19], v[10:11], v[4:5]
	s_branch .LBB134_28
.LBB134_55:                             ;   in Loop: Header=BB134_23 Depth=3
	s_or_b32 exec_lo, exec_lo, s13
	s_wait_dscnt 0x0
	s_barrier_signal -1
	s_barrier_wait -1
	s_and_saveexec_b32 s3, s0
	s_cbranch_execz .LBB134_68
; %bb.56:                               ;   in Loop: Header=BB134_23 Depth=3
	v_dual_mov_b32 v18, v28 :: v_dual_mov_b32 v19, v27
	v_mov_b32_e32 v20, v23
	s_mov_b32 s13, 0
	s_branch .LBB134_58
.LBB134_57:                             ;   in Loop: Header=BB134_58 Depth=4
	s_or_b32 exec_lo, exec_lo, s14
	v_dual_add_nc_u32 v20, s45, v20 :: v_dual_add_nc_u32 v19, s53, v19
	v_add_nc_u32_e32 v18, s53, v18
	s_delay_alu instid0(VALU_DEP_2) | instskip(SKIP_1) | instid1(SALU_CYCLE_1)
	v_cmp_le_u32_e32 vcc_lo, s24, v20
	s_or_b32 s13, vcc_lo, s13
	s_and_not1_b32 exec_lo, exec_lo, s13
	s_cbranch_execz .LBB134_68
.LBB134_58:                             ;   Parent Loop BB134_3 Depth=1
                                        ;     Parent Loop BB134_8 Depth=2
                                        ;       Parent Loop BB134_23 Depth=3
                                        ; =>      This Loop Header: Depth=4
                                        ;           Child Loop BB134_61 Depth 5
	s_and_saveexec_b32 s14, s1
	s_cbranch_execz .LBB134_57
; %bb.59:                               ;   in Loop: Header=BB134_58 Depth=4
	v_dual_add_nc_u32 v0, s24, v20 :: v_dual_add_nc_u32 v4, s58, v20
	v_dual_mov_b32 v5, v3 :: v_dual_add_nc_u32 v2, v20, v30
	v_mul_lo_u32 v21, v20, s30
	s_delay_alu instid0(VALU_DEP_3) | instskip(NEXT) | instid1(VALU_DEP_4)
	v_mul_lo_u32 v33, v0, s30
	v_cmp_gt_u32_e64 s2, s25, v4
	s_delay_alu instid0(VALU_DEP_4)
	v_lshlrev_b64_e32 v[0:1], 4, v[2:3]
	v_lshlrev_b64_e32 v[10:11], 4, v[4:5]
	v_dual_mov_b32 v34, v26 :: v_dual_mov_b32 v35, v25
	v_mov_b32_e32 v2, v32
	s_mov_b32 s15, 0
	s_mov_b32 s60, 0
	s_branch .LBB134_61
.LBB134_60:                             ;   in Loop: Header=BB134_61 Depth=5
	s_wait_xcnt 0x0
	s_or_b32 exec_lo, exec_lo, s61
	s_add_co_i32 s60, s60, s29
	v_add_nc_u32_e32 v2, s29, v2
	v_dual_add_nc_u32 v4, s60, v22 :: v_dual_add_nc_u32 v35, s54, v35
	v_add_nc_u32_e32 v34, s55, v34
	s_delay_alu instid0(VALU_DEP_2) | instskip(SKIP_1) | instid1(SALU_CYCLE_1)
	v_cmp_le_u32_e32 vcc_lo, s24, v4
	s_or_b32 s15, vcc_lo, s15
	s_and_not1_b32 exec_lo, exec_lo, s15
	s_cbranch_execz .LBB134_57
.LBB134_61:                             ;   Parent Loop BB134_3 Depth=1
                                        ;     Parent Loop BB134_8 Depth=2
                                        ;       Parent Loop BB134_23 Depth=3
                                        ;         Parent Loop BB134_58 Depth=4
                                        ; =>        This Inner Loop Header: Depth=5
	s_delay_alu instid0(VALU_DEP_1) | instskip(SKIP_2) | instid1(VALU_DEP_2)
	v_mul_u64_e32 v[4:5], s[22:23], v[2:3]
	s_mov_b32 s61, exec_lo
	v_add_nc_u32_e32 v14, s60, v31
	v_mul_lo_u32 v4, s24, v5
	v_not_b32_e32 v5, v5
	v_add_nc_u32_e32 v6, s60, v22
	s_delay_alu instid0(VALU_DEP_2) | instskip(NEXT) | instid1(VALU_DEP_4)
	v_mul_lo_u32 v5, s24, v5
	v_sub_nc_u32_e32 v4, s59, v4
	s_delay_alu instid0(VALU_DEP_1) | instskip(NEXT) | instid1(VALU_DEP_3)
	v_add_nc_u32_e32 v4, v6, v4
	v_add3_u32 v5, s59, v5, v6
	s_delay_alu instid0(VALU_DEP_2) | instskip(NEXT) | instid1(VALU_DEP_2)
	v_cmp_le_u32_e32 vcc_lo, s24, v4
	v_cndmask_b32_e32 v4, v4, v5, vcc_lo
	s_delay_alu instid0(VALU_DEP_1) | instskip(SKIP_1) | instid1(VALU_DEP_2)
	v_subrev_nc_u32_e32 v5, s24, v4
	v_cmp_le_u32_e32 vcc_lo, s24, v4
	v_cndmask_b32_e32 v15, v4, v5, vcc_lo
	s_delay_alu instid0(VALU_DEP_1) | instskip(NEXT) | instid1(VALU_DEP_1)
	v_add_nc_u32_e32 v16, s58, v15
	v_max_u32_e32 v4, v14, v16
	s_delay_alu instid0(VALU_DEP_1)
	v_cmpx_gt_u32_e64 s25, v4
	s_cbranch_execz .LBB134_60
; %bb.62:                               ;   in Loop: Header=BB134_61 Depth=5
	ds_load_b64 v[12:13], v35
	ds_load_2addr_b64 v[4:7], v34 offset1:1
	s_and_not1_b32 vcc_lo, exec_lo, s57
	s_cbranch_vccnz .LBB134_66
; %bb.63:                               ;   in Loop: Header=BB134_61 Depth=5
	v_add_nc_u32_e32 v15, s24, v15
	s_delay_alu instid0(VALU_DEP_1)
	v_dual_add_nc_u32 v17, s60, v19 :: v_dual_add_nc_u32 v54, v15, v21
	s_clause 0x1
	flat_load_b128 v[36:39], v17, s[38:39] scale_offset
	flat_load_b128 v[40:43], v54, s[38:39] scale_offset
	s_wait_loadcnt_dscnt 0x101
	v_mul_f64_e32 v[46:47], v[4:5], v[36:37]
	s_wait_loadcnt_dscnt 0x0
	v_mul_f64_e32 v[44:45], v[6:7], v[42:43]
	v_mul_f64_e32 v[50:51], v[6:7], v[40:41]
	;; [unrolled: 1-line block ×3, first 2 shown]
	s_delay_alu instid0(VALU_DEP_4) | instskip(NEXT) | instid1(VALU_DEP_4)
	v_fma_f64 v[48:49], v[6:7], v[38:39], -v[46:47]
	v_fmac_f64_e32 v[44:45], v[4:5], v[40:41]
	s_delay_alu instid0(VALU_DEP_4) | instskip(NEXT) | instid1(VALU_DEP_4)
	v_fma_f64 v[46:47], v[4:5], v[42:43], -v[50:51]
	v_fma_f64 v[50:51], v[36:37], -v[6:7], -v[52:53]
	s_delay_alu instid0(VALU_DEP_4) | instskip(NEXT) | instid1(VALU_DEP_4)
	v_fmac_f64_e32 v[48:49], v[12:13], v[40:41]
	v_fmac_f64_e32 v[44:45], v[12:13], v[36:37]
	s_delay_alu instid0(VALU_DEP_4) | instskip(NEXT) | instid1(VALU_DEP_4)
	v_fmac_f64_e32 v[46:47], v[12:13], v[38:39]
	v_fmac_f64_e32 v[50:51], v[12:13], v[42:43]
	s_clause 0x1
	flat_store_b128 v17, v[44:47], s[38:39] scale_offset
	flat_store_b128 v54, v[48:51], s[38:39] scale_offset
	s_wait_xcnt 0x0
	s_and_saveexec_b32 s62, s2
	s_cbranch_execz .LBB134_65
; %bb.64:                               ;   in Loop: Header=BB134_61 Depth=5
	v_dual_add_nc_u32 v15, v15, v33 :: v_dual_add_nc_u32 v17, s60, v18
	s_clause 0x1
	flat_load_b128 v[36:39], v15, s[38:39] scale_offset
	flat_load_b128 v[40:43], v17, s[38:39] scale_offset
	s_wait_loadcnt_dscnt 0x101
	v_mul_f64_e32 v[44:45], v[6:7], v[38:39]
	v_mul_f64_e32 v[46:47], v[6:7], v[36:37]
	s_wait_loadcnt_dscnt 0x0
	v_mul_f64_e32 v[48:49], v[4:5], v[40:41]
	v_mul_f64_e32 v[50:51], v[4:5], v[42:43]
	s_delay_alu instid0(VALU_DEP_4) | instskip(NEXT) | instid1(VALU_DEP_4)
	v_fmac_f64_e32 v[44:45], v[4:5], v[36:37]
	v_fma_f64 v[46:47], v[4:5], v[38:39], -v[46:47]
	s_delay_alu instid0(VALU_DEP_4) | instskip(NEXT) | instid1(VALU_DEP_4)
	v_fma_f64 v[48:49], v[6:7], v[42:43], -v[48:49]
	v_fma_f64 v[50:51], v[40:41], -v[6:7], -v[50:51]
	s_delay_alu instid0(VALU_DEP_4) | instskip(NEXT) | instid1(VALU_DEP_4)
	v_fmac_f64_e32 v[44:45], v[12:13], v[40:41]
	v_fmac_f64_e32 v[46:47], v[12:13], v[42:43]
	s_delay_alu instid0(VALU_DEP_4) | instskip(NEXT) | instid1(VALU_DEP_4)
	v_fmac_f64_e32 v[48:49], v[12:13], v[36:37]
	v_fmac_f64_e32 v[50:51], v[12:13], v[38:39]
	s_clause 0x1
	flat_store_b128 v17, v[44:47], s[38:39] scale_offset
	flat_store_b128 v15, v[48:51], s[38:39] scale_offset
.LBB134_65:                             ;   in Loop: Header=BB134_61 Depth=5
	s_wait_xcnt 0x0
	s_or_b32 exec_lo, exec_lo, s62
.LBB134_66:                             ;   in Loop: Header=BB134_61 Depth=5
	v_dual_mov_b32 v17, v3 :: v_dual_mov_b32 v15, v3
	s_delay_alu instid0(VALU_DEP_1) | instskip(NEXT) | instid1(VALU_DEP_2)
	v_mul_u64_e32 v[16:17], s[6:7], v[16:17]
	v_mul_u64_e32 v[14:15], s[6:7], v[14:15]
	s_delay_alu instid0(VALU_DEP_2) | instskip(NEXT) | instid1(VALU_DEP_2)
	v_lshl_add_u64 v[16:17], v[16:17], 4, s[34:35]
	v_lshl_add_u64 v[14:15], v[14:15], 4, s[34:35]
	s_delay_alu instid0(VALU_DEP_2) | instskip(NEXT) | instid1(VALU_DEP_2)
	v_add_nc_u64_e32 v[52:53], v[16:17], v[0:1]
	v_add_nc_u64_e32 v[54:55], v[14:15], v[0:1]
	s_clause 0x1
	global_load_b128 v[36:39], v[52:53], off
	global_load_b128 v[40:43], v[54:55], off
	s_wait_loadcnt_dscnt 0x100
	v_mul_f64_e32 v[44:45], v[6:7], v[38:39]
	v_mul_f64_e32 v[46:47], v[6:7], v[36:37]
	s_wait_loadcnt 0x0
	v_mul_f64_e32 v[48:49], v[4:5], v[40:41]
	v_mul_f64_e32 v[50:51], v[4:5], v[42:43]
	s_delay_alu instid0(VALU_DEP_4) | instskip(NEXT) | instid1(VALU_DEP_4)
	v_fmac_f64_e32 v[44:45], v[4:5], v[36:37]
	v_fma_f64 v[46:47], v[4:5], v[38:39], -v[46:47]
	s_delay_alu instid0(VALU_DEP_4) | instskip(NEXT) | instid1(VALU_DEP_4)
	v_fma_f64 v[48:49], v[6:7], v[42:43], -v[48:49]
	v_fma_f64 v[50:51], v[40:41], -v[6:7], -v[50:51]
	s_delay_alu instid0(VALU_DEP_4) | instskip(NEXT) | instid1(VALU_DEP_4)
	v_fmac_f64_e32 v[44:45], v[12:13], v[40:41]
	v_fmac_f64_e32 v[46:47], v[12:13], v[42:43]
	s_delay_alu instid0(VALU_DEP_4) | instskip(NEXT) | instid1(VALU_DEP_4)
	v_fmac_f64_e32 v[48:49], v[12:13], v[36:37]
	v_fmac_f64_e32 v[50:51], v[12:13], v[38:39]
	s_clause 0x1
	global_store_b128 v[54:55], v[44:47], off
	global_store_b128 v[52:53], v[48:51], off
	s_wait_xcnt 0x0
	s_and_b32 exec_lo, exec_lo, s2
	s_cbranch_execz .LBB134_60
; %bb.67:                               ;   in Loop: Header=BB134_61 Depth=5
	v_add_nc_u64_e32 v[44:45], v[16:17], v[10:11]
	v_add_nc_u64_e32 v[46:47], v[14:15], v[10:11]
	s_clause 0x1
	global_load_b128 v[14:17], v[44:45], off
	global_load_b128 v[36:39], v[46:47], off
	s_wait_loadcnt 0x1
	v_mul_f64_e32 v[40:41], v[6:7], v[16:17]
	v_mul_f64_e32 v[42:43], v[6:7], v[14:15]
	s_wait_loadcnt 0x0
	v_mul_f64_e32 v[48:49], v[4:5], v[36:37]
	v_mul_f64_e32 v[50:51], v[4:5], v[38:39]
	s_delay_alu instid0(VALU_DEP_4) | instskip(NEXT) | instid1(VALU_DEP_4)
	v_fmac_f64_e32 v[40:41], v[4:5], v[14:15]
	v_fma_f64 v[42:43], v[4:5], v[16:17], -v[42:43]
	s_delay_alu instid0(VALU_DEP_4) | instskip(NEXT) | instid1(VALU_DEP_4)
	v_fma_f64 v[4:5], v[6:7], v[38:39], -v[48:49]
	v_fma_f64 v[6:7], v[36:37], -v[6:7], -v[50:51]
	s_delay_alu instid0(VALU_DEP_4) | instskip(NEXT) | instid1(VALU_DEP_4)
	v_fmac_f64_e32 v[40:41], v[12:13], v[36:37]
	v_fmac_f64_e32 v[42:43], v[12:13], v[38:39]
	s_delay_alu instid0(VALU_DEP_4) | instskip(NEXT) | instid1(VALU_DEP_4)
	v_fmac_f64_e32 v[4:5], v[12:13], v[14:15]
	v_fmac_f64_e32 v[6:7], v[12:13], v[16:17]
	s_clause 0x1
	global_store_b128 v[46:47], v[40:43], off
	global_store_b128 v[44:45], v[4:7], off
	s_branch .LBB134_60
.LBB134_68:                             ;   in Loop: Header=BB134_23 Depth=3
	s_or_b32 exec_lo, exec_lo, s3
	s_wait_storecnt 0x0
	s_barrier_signal -1
	s_barrier_wait -1
	s_and_saveexec_b32 s3, s0
	s_cbranch_execz .LBB134_77
; %bb.69:                               ;   in Loop: Header=BB134_23 Depth=3
	v_mov_b32_e32 v18, v23
	s_mov_b32 s13, 0
	s_branch .LBB134_71
.LBB134_70:                             ;   in Loop: Header=BB134_71 Depth=4
	s_or_b32 exec_lo, exec_lo, s14
	v_add_nc_u32_e32 v18, s45, v18
	s_delay_alu instid0(VALU_DEP_1) | instskip(SKIP_1) | instid1(SALU_CYCLE_1)
	v_cmp_le_u32_e32 vcc_lo, s24, v18
	s_or_b32 s13, vcc_lo, s13
	s_and_not1_b32 exec_lo, exec_lo, s13
	s_cbranch_execz .LBB134_77
.LBB134_71:                             ;   Parent Loop BB134_3 Depth=1
                                        ;     Parent Loop BB134_8 Depth=2
                                        ;       Parent Loop BB134_23 Depth=3
                                        ; =>      This Loop Header: Depth=4
                                        ;           Child Loop BB134_74 Depth 5
	s_and_saveexec_b32 s14, s1
	s_cbranch_execz .LBB134_70
; %bb.72:                               ;   in Loop: Header=BB134_71 Depth=4
	v_dual_mov_b32 v5, v3 :: v_dual_add_nc_u32 v4, s58, v18
	v_dual_add_nc_u32 v2, v18, v30 :: v_dual_mov_b32 v20, v25
	v_dual_mov_b32 v19, v26 :: v_dual_mov_b32 v0, v32
	s_delay_alu instid0(VALU_DEP_3) | instskip(NEXT) | instid1(VALU_DEP_3)
	v_mul_u64_e32 v[12:13], s[6:7], v[4:5]
	v_mul_u64_e32 v[6:7], s[6:7], v[2:3]
	v_mov_b32_e32 v21, v22
	s_mov_b32 s15, 0
	v_cmp_gt_u32_e32 vcc_lo, s25, v4
	s_delay_alu instid0(VALU_DEP_4) | instskip(NEXT) | instid1(VALU_DEP_4)
	v_lshl_add_u64 v[12:13], v[12:13], 4, s[34:35]
	v_lshl_add_u64 v[10:11], v[6:7], 4, s[34:35]
	s_branch .LBB134_74
.LBB134_73:                             ;   in Loop: Header=BB134_74 Depth=5
	s_wait_xcnt 0x0
	s_or_b32 exec_lo, exec_lo, s60
	v_dual_add_nc_u32 v21, s29, v21 :: v_dual_add_nc_u32 v0, s29, v0
	v_dual_add_nc_u32 v20, s54, v20 :: v_dual_add_nc_u32 v19, s55, v19
	s_delay_alu instid0(VALU_DEP_2) | instskip(SKIP_1) | instid1(SALU_CYCLE_1)
	v_cmp_le_u32_e64 s2, s24, v21
	s_or_b32 s15, s2, s15
	s_and_not1_b32 exec_lo, exec_lo, s15
	s_cbranch_execz .LBB134_70
.LBB134_74:                             ;   Parent Loop BB134_3 Depth=1
                                        ;     Parent Loop BB134_8 Depth=2
                                        ;       Parent Loop BB134_23 Depth=3
                                        ;         Parent Loop BB134_71 Depth=4
                                        ; =>        This Inner Loop Header: Depth=5
	v_mov_b32_e32 v1, v3
	s_mov_b32 s60, exec_lo
	s_delay_alu instid0(VALU_DEP_1) | instskip(SKIP_1) | instid1(VALU_DEP_2)
	v_mul_u64_e32 v[4:5], s[22:23], v[0:1]
	v_add_nc_u32_e32 v1, s59, v21
	v_not_b32_e32 v2, v5
	s_delay_alu instid0(VALU_DEP_2) | instskip(NEXT) | instid1(VALU_DEP_2)
	v_mad_u32 v4, s52, v5, v1
	v_mad_u32 v1, s24, v2, v1
	s_delay_alu instid0(VALU_DEP_2) | instskip(NEXT) | instid1(VALU_DEP_1)
	v_cmp_le_u32_e64 s2, s24, v4
	v_cndmask_b32_e64 v1, v4, v1, s2
	s_delay_alu instid0(VALU_DEP_1) | instskip(SKIP_1) | instid1(VALU_DEP_1)
	v_subrev_nc_u32_e32 v2, s24, v1
	v_cmp_le_u32_e64 s2, s24, v1
	v_dual_cndmask_b32 v1, v1, v2, s2 :: v_dual_add_nc_u32 v2, v30, v21
	s_delay_alu instid0(VALU_DEP_1) | instskip(NEXT) | instid1(VALU_DEP_1)
	v_add_nc_u32_e32 v14, s58, v1
	v_max_u32_e32 v1, v2, v14
	s_delay_alu instid0(VALU_DEP_1)
	v_cmpx_gt_u32_e64 s25, v1
	s_cbranch_execz .LBB134_73
; %bb.75:                               ;   in Loop: Header=BB134_74 Depth=5
	v_mov_b32_e32 v15, v3
	v_lshl_add_u64 v[50:51], v[2:3], 4, v[10:11]
	s_delay_alu instid0(VALU_DEP_2)
	v_lshl_add_u64 v[52:53], v[14:15], 4, v[10:11]
	s_clause 0x1
	global_load_b128 v[34:37], v[50:51], off
	global_load_b128 v[38:41], v[52:53], off
	ds_load_2addr_b64 v[4:7], v19 offset1:1
	s_wait_loadcnt_dscnt 0x100
	v_mul_f64_e32 v[16:17], v[6:7], v[36:37]
	s_wait_loadcnt 0x0
	v_mul_f64_e32 v[42:43], v[6:7], v[40:41]
	v_mul_f64_e32 v[44:45], v[4:5], v[40:41]
	;; [unrolled: 1-line block ×3, first 2 shown]
	s_delay_alu instid0(VALU_DEP_4) | instskip(NEXT) | instid1(VALU_DEP_4)
	v_fma_f64 v[46:47], v[34:35], -v[4:5], -v[16:17]
	v_fma_f64 v[42:43], v[4:5], v[38:39], -v[42:43]
	s_delay_alu instid0(VALU_DEP_4) | instskip(NEXT) | instid1(VALU_DEP_4)
	v_fmac_f64_e32 v[44:45], v[6:7], v[38:39]
	v_fma_f64 v[48:49], v[6:7], v[34:35], -v[48:49]
	ds_load_b64 v[16:17], v20
	s_wait_dscnt 0x0
	v_fmac_f64_e32 v[46:47], v[16:17], v[38:39]
	v_fmac_f64_e32 v[42:43], v[16:17], v[34:35]
	;; [unrolled: 1-line block ×4, first 2 shown]
	s_clause 0x1
	global_store_b128 v[50:51], v[42:45], off
	global_store_b128 v[52:53], v[46:49], off
	s_wait_xcnt 0x0
	s_and_b32 exec_lo, exec_lo, vcc_lo
	s_cbranch_execz .LBB134_73
; %bb.76:                               ;   in Loop: Header=BB134_74 Depth=5
	v_lshl_add_u64 v[14:15], v[14:15], 4, v[12:13]
	v_lshl_add_u64 v[46:47], v[2:3], 4, v[12:13]
	s_clause 0x1
	global_load_b128 v[34:37], v[14:15], off
	global_load_b128 v[38:41], v[46:47], off
	s_wait_loadcnt 0x1
	v_mul_f64_e32 v[42:43], v[6:7], v[36:37]
	v_mul_f64_e32 v[44:45], v[4:5], v[36:37]
	s_wait_loadcnt 0x0
	v_mul_f64_e32 v[48:49], v[6:7], v[40:41]
	v_mul_f64_e32 v[50:51], v[4:5], v[40:41]
	s_delay_alu instid0(VALU_DEP_4) | instskip(NEXT) | instid1(VALU_DEP_4)
	v_fma_f64 v[42:43], v[4:5], v[34:35], -v[42:43]
	v_fmac_f64_e32 v[44:45], v[6:7], v[34:35]
	s_delay_alu instid0(VALU_DEP_4) | instskip(NEXT) | instid1(VALU_DEP_4)
	v_fma_f64 v[4:5], v[38:39], -v[4:5], -v[48:49]
	v_fma_f64 v[6:7], v[6:7], v[38:39], -v[50:51]
	s_delay_alu instid0(VALU_DEP_4) | instskip(NEXT) | instid1(VALU_DEP_4)
	v_fmac_f64_e32 v[42:43], v[16:17], v[38:39]
	v_fmac_f64_e32 v[44:45], v[16:17], v[40:41]
	s_delay_alu instid0(VALU_DEP_4) | instskip(NEXT) | instid1(VALU_DEP_4)
	v_fmac_f64_e32 v[4:5], v[16:17], v[34:35]
	v_fmac_f64_e32 v[6:7], v[16:17], v[36:37]
	s_clause 0x1
	global_store_b128 v[46:47], v[42:45], off
	global_store_b128 v[14:15], v[4:7], off
	s_branch .LBB134_73
.LBB134_77:                             ;   in Loop: Header=BB134_23 Depth=3
	s_or_b32 exec_lo, exec_lo, s3
	s_wait_storecnt 0x0
	s_barrier_signal -1
	s_barrier_wait -1
	s_and_saveexec_b32 s3, s0
	s_cbranch_execz .LBB134_22
; %bb.78:                               ;   in Loop: Header=BB134_23 Depth=3
	v_mov_b32_e32 v4, v23
	s_mov_b32 s60, 0
	s_branch .LBB134_80
.LBB134_79:                             ;   in Loop: Header=BB134_80 Depth=4
	s_or_b32 exec_lo, exec_lo, s61
	v_add_nc_u32_e32 v4, s45, v4
	s_delay_alu instid0(VALU_DEP_1) | instskip(SKIP_1) | instid1(SALU_CYCLE_1)
	v_cmp_le_u32_e32 vcc_lo, s24, v4
	s_or_b32 s60, vcc_lo, s60
	s_and_not1_b32 exec_lo, exec_lo, s60
	s_cbranch_execz .LBB134_22
.LBB134_80:                             ;   Parent Loop BB134_3 Depth=1
                                        ;     Parent Loop BB134_8 Depth=2
                                        ;       Parent Loop BB134_23 Depth=3
                                        ; =>      This Loop Header: Depth=4
                                        ;           Child Loop BB134_83 Depth 5
	s_and_saveexec_b32 s61, s1
	s_cbranch_execz .LBB134_79
; %bb.81:                               ;   in Loop: Header=BB134_80 Depth=4
	v_dual_mov_b32 v2, v32 :: v_dual_mov_b32 v5, v22
	s_mov_b32 s62, 0
	v_cmp_eq_u32_e32 vcc_lo, 0, v4
	s_branch .LBB134_83
.LBB134_82:                             ;   in Loop: Header=BB134_83 Depth=5
	s_wait_xcnt 0x0
	s_or_b32 exec_lo, exec_lo, s2
	v_dual_add_nc_u32 v5, s29, v5 :: v_dual_add_nc_u32 v2, s29, v2
	s_delay_alu instid0(VALU_DEP_1) | instskip(SKIP_1) | instid1(SALU_CYCLE_1)
	v_cmp_le_u32_e64 s2, s24, v5
	s_or_b32 s62, s2, s62
	s_and_not1_b32 exec_lo, exec_lo, s62
	s_cbranch_execz .LBB134_79
.LBB134_83:                             ;   Parent Loop BB134_3 Depth=1
                                        ;     Parent Loop BB134_8 Depth=2
                                        ;       Parent Loop BB134_23 Depth=3
                                        ;         Parent Loop BB134_80 Depth=4
                                        ; =>        This Inner Loop Header: Depth=5
	s_delay_alu instid0(VALU_DEP_2) | instskip(SKIP_1) | instid1(VALU_DEP_2)
	v_mul_u64_e32 v[0:1], s[22:23], v[2:3]
	v_add_nc_u32_e32 v0, s59, v5
	v_not_b32_e32 v6, v1
	s_delay_alu instid0(VALU_DEP_2) | instskip(NEXT) | instid1(VALU_DEP_2)
	v_mad_u32 v1, s52, v1, v0
	v_mad_u32 v0, s24, v6, v0
	s_delay_alu instid0(VALU_DEP_2) | instskip(NEXT) | instid1(VALU_DEP_1)
	v_cmp_le_u32_e64 s2, s24, v1
	v_cndmask_b32_e64 v0, v1, v0, s2
	s_delay_alu instid0(VALU_DEP_1) | instskip(SKIP_1) | instid1(VALU_DEP_1)
	v_subrev_nc_u32_e32 v1, s24, v0
	v_cmp_le_u32_e64 s2, s24, v0
	v_cndmask_b32_e64 v0, v0, v1, s2
	s_delay_alu instid0(VALU_DEP_1) | instskip(NEXT) | instid1(VALU_DEP_1)
	v_add_nc_u32_e32 v0, s58, v0
	v_cmp_gt_u32_e64 s2, s25, v0
	s_and_b32 s13, vcc_lo, s2
	s_delay_alu instid0(SALU_CYCLE_1)
	s_and_saveexec_b32 s2, s13
	s_cbranch_execz .LBB134_82
; %bb.84:                               ;   in Loop: Header=BB134_83 Depth=5
	v_dual_mov_b32 v1, v3 :: v_dual_add_nc_u32 v6, v30, v5
	v_mov_b32_e32 v7, v3
	s_mov_b32 s13, s12
	s_mov_b32 s14, s12
	;; [unrolled: 1-line block ×3, first 2 shown]
	v_mul_u64_e32 v[10:11], s[6:7], v[0:1]
	v_mul_u64_e32 v[12:13], s[6:7], v[6:7]
	s_delay_alu instid0(VALU_DEP_2) | instskip(NEXT) | instid1(VALU_DEP_2)
	v_lshl_add_u64 v[14:15], v[10:11], 4, s[34:35]
	v_lshl_add_u64 v[16:17], v[12:13], 4, s[34:35]
	v_mov_b64_e32 v[10:11], s[12:13]
	v_mov_b64_e32 v[12:13], s[14:15]
	s_delay_alu instid0(VALU_DEP_4) | instskip(NEXT) | instid1(VALU_DEP_4)
	v_lshl_add_u64 v[6:7], v[6:7], 4, v[14:15]
	v_lshl_add_u64 v[0:1], v[0:1], 4, v[16:17]
	s_clause 0x1
	global_store_b128 v[6:7], v[10:13], off
	global_store_b128 v[0:1], v[10:13], off
	s_branch .LBB134_82
.LBB134_85:                             ;   in Loop: Header=BB134_8 Depth=2
	s_and_b32 s2, s57, s49
	s_delay_alu instid0(SALU_CYCLE_1)
	s_and_b32 vcc_lo, exec_lo, s2
	s_cbranch_vccz .LBB134_7
; %bb.86:                               ;   in Loop: Header=BB134_8 Depth=2
	s_mov_b32 s3, exec_lo
	s_wait_storecnt 0x0
	s_barrier_signal -1
	s_barrier_wait -1
	s_wait_xcnt 0x0
	v_cmpx_lt_u32_e64 v23, v29
	s_cbranch_execz .LBB134_6
; %bb.87:                               ;   in Loop: Header=BB134_8 Depth=2
	v_dual_mov_b32 v0, v24 :: v_dual_mov_b32 v1, v23
	s_mov_b32 s13, 0
	v_cmp_lt_u32_e32 vcc_lo, v22, v29
	s_branch .LBB134_89
.LBB134_88:                             ;   in Loop: Header=BB134_89 Depth=3
	s_or_b32 exec_lo, exec_lo, s14
	v_dual_add_nc_u32 v1, s45, v1 :: v_dual_add_nc_u32 v0, s53, v0
	s_delay_alu instid0(VALU_DEP_1) | instskip(SKIP_1) | instid1(SALU_CYCLE_1)
	v_cmp_ge_u32_e64 s2, v1, v29
	s_or_b32 s13, s2, s13
	s_and_not1_b32 exec_lo, exec_lo, s13
	s_cbranch_execz .LBB134_6
.LBB134_89:                             ;   Parent Loop BB134_3 Depth=1
                                        ;     Parent Loop BB134_8 Depth=2
                                        ; =>    This Loop Header: Depth=3
                                        ;         Child Loop BB134_91 Depth 4
	s_and_saveexec_b32 s14, vcc_lo
	s_cbranch_execz .LBB134_88
; %bb.90:                               ;   in Loop: Header=BB134_89 Depth=3
	v_mov_b32_e32 v2, v22
	s_mov_b32 s15, 0
.LBB134_91:                             ;   Parent Loop BB134_3 Depth=1
                                        ;     Parent Loop BB134_8 Depth=2
                                        ;       Parent Loop BB134_89 Depth=3
                                        ; =>      This Inner Loop Header: Depth=4
	s_delay_alu instid0(VALU_DEP_1)
	v_dual_add_nc_u32 v10, v0, v2 :: v_dual_add_nc_u32 v2, s29, v2
	flat_load_b128 v[4:7], v10, s[38:39] scale_offset
	v_cmp_ge_u32_e64 s2, v2, v29
	s_or_b32 s15, s2, s15
	s_wait_loadcnt_dscnt 0x0
	global_store_b128 v10, v[4:7], s[36:37] scale_offset
	s_wait_xcnt 0x0
	s_and_not1_b32 exec_lo, exec_lo, s15
	s_cbranch_execnz .LBB134_91
	s_branch .LBB134_88
.LBB134_92:
	s_endpgm
	.section	.rodata,"a",@progbits
	.p2align	6, 0x0
	.amdhsa_kernel _ZN9rocsolver6v33100L17syevj_offd_kernelI19rocblas_complex_numIdEdPS3_EEviiT1_iilT0_PT_PiS9_S9_i
		.amdhsa_group_segment_fixed_size 0
		.amdhsa_private_segment_fixed_size 0
		.amdhsa_kernarg_size 336
		.amdhsa_user_sgpr_count 2
		.amdhsa_user_sgpr_dispatch_ptr 0
		.amdhsa_user_sgpr_queue_ptr 0
		.amdhsa_user_sgpr_kernarg_segment_ptr 1
		.amdhsa_user_sgpr_dispatch_id 0
		.amdhsa_user_sgpr_kernarg_preload_length 0
		.amdhsa_user_sgpr_kernarg_preload_offset 0
		.amdhsa_user_sgpr_private_segment_size 0
		.amdhsa_wavefront_size32 1
		.amdhsa_uses_dynamic_stack 0
		.amdhsa_enable_private_segment 0
		.amdhsa_system_sgpr_workgroup_id_x 1
		.amdhsa_system_sgpr_workgroup_id_y 0
		.amdhsa_system_sgpr_workgroup_id_z 1
		.amdhsa_system_sgpr_workgroup_info 0
		.amdhsa_system_vgpr_workitem_id 1
		.amdhsa_next_free_vgpr 56
		.amdhsa_next_free_sgpr 66
		.amdhsa_named_barrier_count 0
		.amdhsa_reserve_vcc 1
		.amdhsa_float_round_mode_32 0
		.amdhsa_float_round_mode_16_64 0
		.amdhsa_float_denorm_mode_32 3
		.amdhsa_float_denorm_mode_16_64 3
		.amdhsa_fp16_overflow 0
		.amdhsa_memory_ordered 1
		.amdhsa_forward_progress 1
		.amdhsa_inst_pref_size 50
		.amdhsa_round_robin_scheduling 0
		.amdhsa_exception_fp_ieee_invalid_op 0
		.amdhsa_exception_fp_denorm_src 0
		.amdhsa_exception_fp_ieee_div_zero 0
		.amdhsa_exception_fp_ieee_overflow 0
		.amdhsa_exception_fp_ieee_underflow 0
		.amdhsa_exception_fp_ieee_inexact 0
		.amdhsa_exception_int_div_zero 0
	.end_amdhsa_kernel
	.section	.text._ZN9rocsolver6v33100L17syevj_offd_kernelI19rocblas_complex_numIdEdPS3_EEviiT1_iilT0_PT_PiS9_S9_i,"axG",@progbits,_ZN9rocsolver6v33100L17syevj_offd_kernelI19rocblas_complex_numIdEdPS3_EEviiT1_iilT0_PT_PiS9_S9_i,comdat
.Lfunc_end134:
	.size	_ZN9rocsolver6v33100L17syevj_offd_kernelI19rocblas_complex_numIdEdPS3_EEviiT1_iilT0_PT_PiS9_S9_i, .Lfunc_end134-_ZN9rocsolver6v33100L17syevj_offd_kernelI19rocblas_complex_numIdEdPS3_EEviiT1_iilT0_PT_PiS9_S9_i
                                        ; -- End function
	.set _ZN9rocsolver6v33100L17syevj_offd_kernelI19rocblas_complex_numIdEdPS3_EEviiT1_iilT0_PT_PiS9_S9_i.num_vgpr, 56
	.set _ZN9rocsolver6v33100L17syevj_offd_kernelI19rocblas_complex_numIdEdPS3_EEviiT1_iilT0_PT_PiS9_S9_i.num_agpr, 0
	.set _ZN9rocsolver6v33100L17syevj_offd_kernelI19rocblas_complex_numIdEdPS3_EEviiT1_iilT0_PT_PiS9_S9_i.numbered_sgpr, 66
	.set _ZN9rocsolver6v33100L17syevj_offd_kernelI19rocblas_complex_numIdEdPS3_EEviiT1_iilT0_PT_PiS9_S9_i.num_named_barrier, 0
	.set _ZN9rocsolver6v33100L17syevj_offd_kernelI19rocblas_complex_numIdEdPS3_EEviiT1_iilT0_PT_PiS9_S9_i.private_seg_size, 0
	.set _ZN9rocsolver6v33100L17syevj_offd_kernelI19rocblas_complex_numIdEdPS3_EEviiT1_iilT0_PT_PiS9_S9_i.uses_vcc, 1
	.set _ZN9rocsolver6v33100L17syevj_offd_kernelI19rocblas_complex_numIdEdPS3_EEviiT1_iilT0_PT_PiS9_S9_i.uses_flat_scratch, 1
	.set _ZN9rocsolver6v33100L17syevj_offd_kernelI19rocblas_complex_numIdEdPS3_EEviiT1_iilT0_PT_PiS9_S9_i.has_dyn_sized_stack, 0
	.set _ZN9rocsolver6v33100L17syevj_offd_kernelI19rocblas_complex_numIdEdPS3_EEviiT1_iilT0_PT_PiS9_S9_i.has_recursion, 0
	.set _ZN9rocsolver6v33100L17syevj_offd_kernelI19rocblas_complex_numIdEdPS3_EEviiT1_iilT0_PT_PiS9_S9_i.has_indirect_call, 0
	.section	.AMDGPU.csdata,"",@progbits
; Kernel info:
; codeLenInByte = 6292
; TotalNumSgprs: 68
; NumVgprs: 56
; ScratchSize: 0
; MemoryBound: 0
; FloatMode: 240
; IeeeMode: 1
; LDSByteSize: 0 bytes/workgroup (compile time only)
; SGPRBlocks: 0
; VGPRBlocks: 3
; NumSGPRsForWavesPerEU: 68
; NumVGPRsForWavesPerEU: 56
; NamedBarCnt: 0
; Occupancy: 16
; WaveLimiterHint : 1
; COMPUTE_PGM_RSRC2:SCRATCH_EN: 0
; COMPUTE_PGM_RSRC2:USER_SGPR: 2
; COMPUTE_PGM_RSRC2:TRAP_HANDLER: 0
; COMPUTE_PGM_RSRC2:TGID_X_EN: 1
; COMPUTE_PGM_RSRC2:TGID_Y_EN: 0
; COMPUTE_PGM_RSRC2:TGID_Z_EN: 1
; COMPUTE_PGM_RSRC2:TIDIG_COMP_CNT: 1
	.section	.text._ZN9rocsolver6v33100L21syevj_offd_rotate_orgILb0E19rocblas_complex_numIdEdPS3_EEvbiiT2_iilPT0_PiS8_S8_,"axG",@progbits,_ZN9rocsolver6v33100L21syevj_offd_rotate_orgILb0E19rocblas_complex_numIdEdPS3_EEvbiiT2_iilPT0_PiS8_S8_,comdat
	.globl	_ZN9rocsolver6v33100L21syevj_offd_rotate_orgILb0E19rocblas_complex_numIdEdPS3_EEvbiiT2_iilPT0_PiS8_S8_ ; -- Begin function _ZN9rocsolver6v33100L21syevj_offd_rotate_orgILb0E19rocblas_complex_numIdEdPS3_EEvbiiT2_iilPT0_PiS8_S8_
	.p2align	8
	.type	_ZN9rocsolver6v33100L21syevj_offd_rotate_orgILb0E19rocblas_complex_numIdEdPS3_EEvbiiT2_iilPT0_PiS8_S8_,@function
_ZN9rocsolver6v33100L21syevj_offd_rotate_orgILb0E19rocblas_complex_numIdEdPS3_EEvbiiT2_iilPT0_PiS8_S8_: ; @_ZN9rocsolver6v33100L21syevj_offd_rotate_orgILb0E19rocblas_complex_numIdEdPS3_EEvbiiT2_iilPT0_PiS8_S8_
; %bb.0:
	s_load_b64 s[4:5], s[0:1], 0x40
	s_bfe_u32 s2, ttmp6, 0x40014
	s_lshr_b32 s3, ttmp7, 16
	s_add_co_i32 s2, s2, 1
	s_bfe_u32 s6, ttmp6, 0x40008
	s_mul_i32 s2, s3, s2
	s_getreg_b32 s18, hwreg(HW_REG_IB_STS2, 6, 4)
	s_add_co_i32 s6, s6, s2
	s_cmp_eq_u32 s18, 0
	s_cselect_b32 s2, s3, s6
	s_wait_kmcnt 0x0
	s_load_b32 s3, s[4:5], s2 offset:0x4 scale_offset
	s_wait_kmcnt 0x0
	s_cmp_lg_u32 s3, 0
	s_mov_b32 s3, 0
	s_cbranch_scc0 .LBB135_2
.LBB135_1:
	s_endpgm
.LBB135_2:
	s_load_b256 s[4:11], s[0:1], 0x20
	s_bfe_u32 s12, ttmp6, 0x4000c
	s_and_b32 s13, ttmp6, 15
	s_add_co_i32 s12, s12, 1
	s_delay_alu instid0(SALU_CYCLE_1) | instskip(NEXT) | instid1(SALU_CYCLE_1)
	s_mul_i32 s12, ttmp9, s12
	s_add_co_i32 s13, s13, s12
	s_cmp_eq_u32 s18, 0
	s_cselect_b32 s16, ttmp9, s13
	s_delay_alu instid0(SALU_CYCLE_1) | instskip(NEXT) | instid1(SALU_CYCLE_1)
	s_ashr_i32 s17, s16, 31
	s_lshl_b64 s[12:13], s[16:17], 2
	s_wait_kmcnt 0x0
	s_add_nc_u64 s[20:21], s[8:9], s[12:13]
	s_add_nc_u64 s[10:11], s[10:11], s[12:13]
	s_load_b32 s8, s[20:21], 0x0
	s_load_b32 s9, s[10:11], 0x0
	s_load_b96 s[12:14], s[0:1], 0x0
	s_wait_kmcnt 0x0
	s_max_i32 s15, s8, s9
	s_delay_alu instid0(SALU_CYCLE_1)
	s_cmp_ge_i32 s15, s13
	s_cbranch_scc1 .LBB135_1
; %bb.3:
	s_bitcmp1_b32 s12, 0
	s_cselect_b32 s10, -1, 0
	s_bfe_u32 s11, ttmp6, 0x40010
	s_and_b32 s12, ttmp7, 0xffff
	s_add_co_i32 s11, s11, 1
	s_bfe_u32 s13, ttmp6, 0x40004
	s_mul_i32 s11, s12, s11
	s_xor_b32 s10, s10, -1
	s_add_co_i32 s13, s13, s11
	s_cmp_eq_u32 s18, 0
	s_cselect_b32 s13, s12, s13
	s_and_b32 vcc_lo, exec_lo, s10
	s_min_i32 s18, s8, s9
	s_cbranch_vccnz .LBB135_5
; %bb.4:
	s_lshr_b32 s8, s13, 1
	s_delay_alu instid0(SALU_CYCLE_1) | instskip(SKIP_3) | instid1(SALU_CYCLE_1)
	s_cmp_lg_u32 s8, s18
	s_cselect_b32 s9, -1, 0
	s_cmp_lg_u32 s8, s15
	s_cselect_b32 s8, -1, 0
	s_and_b32 s10, s9, s8
.LBB135_5:
	s_delay_alu instid0(SALU_CYCLE_1)
	s_and_not1_b32 vcc_lo, exec_lo, s10
	s_cbranch_vccnz .LBB135_1
; %bb.6:
	s_add_nc_u64 s[8:9], s[0:1], 0x48
	v_and_b32_e32 v6, 0x3ff, v0
	s_load_b32 s19, s[8:9], 0xc
	v_bfe_u32 v7, v0, 10, 10
	s_wait_kmcnt 0x0
	s_bfe_u32 s12, s19, 0xf0001
	s_delay_alu instid0(SALU_CYCLE_1) | instskip(SKIP_3) | instid1(SALU_CYCLE_1)
	s_mul_i32 s8, s18, s12
	v_cmp_gt_u32_e32 vcc_lo, s12, v6
	v_mov_b32_e32 v1, s8
	s_mul_i32 s17, s15, s12
	s_sub_co_i32 s8, s17, s12
	s_delay_alu instid0(VALU_DEP_1) | instid1(SALU_CYCLE_1)
	v_cndmask_b32_e32 v1, s8, v1, vcc_lo
	s_lshr_b32 s8, s19, 16
	s_delay_alu instid0(SALU_CYCLE_1) | instskip(SKIP_1) | instid1(VALU_DEP_1)
	s_mul_i32 s13, s13, s8
	s_mov_b32 s8, exec_lo
	v_dual_add_nc_u32 v4, v1, v6 :: v_dual_add_nc_u32 v5, s13, v7
	s_delay_alu instid0(VALU_DEP_1) | instskip(NEXT) | instid1(VALU_DEP_1)
	v_max_i32_e32 v0, v4, v5
	v_cmpx_gt_i32_e64 s14, v0
	s_cbranch_execz .LBB135_1
; %bb.7:
	s_clause 0x1
	s_load_b32 s20, s[0:1], 0x48
	s_load_b128 s[8:11], s[0:1], 0x10
	s_wait_xcnt 0x0
	s_mul_u64 s[0:1], s[4:5], s[2:3]
	v_mov_b64_e32 v[2:3], 0
	s_lshl_b64 s[0:1], s[0:1], 4
	v_mov_b64_e32 v[0:1], 0
	s_lshl_b32 s4, s12, 1
	s_wait_kmcnt 0x0
	s_mul_i32 s5, s20, s2
	s_ashr_i32 s3, s10, 31
	s_add_co_i32 s5, s5, s16
	s_mov_b32 s2, s10
	s_mul_i32 s5, s5, s12
	s_add_nc_u64 s[0:1], s[8:9], s[0:1]
	s_lshl_b64 s[2:3], s[2:3], 4
	s_mul_i32 s5, s5, s12
	s_add_nc_u64 s[0:1], s[0:1], s[2:3]
	s_lshl_b32 s2, s5, 2
	s_and_b32 s5, 0xffff, s19
	s_ashr_i32 s3, s2, 31
	s_delay_alu instid0(SALU_CYCLE_1)
	s_lshl_b64 s[2:3], s[2:3], 4
	s_cmp_lt_u32 s5, 2
	s_add_nc_u64 s[2:3], s[6:7], s[2:3]
	s_cbranch_scc1 .LBB135_10
; %bb.8:
	s_mul_i32 s5, s11, s18
	v_mov_b64_e32 v[2:3], 0
	s_mul_i32 s5, s5, s12
	v_mov_b64_e32 v[0:1], 0
	v_add3_u32 v8, s13, s5, v7
	v_mov_b32_e32 v9, v6
	s_mov_b32 s5, s12
.LBB135_9:                              ; =>This Inner Loop Header: Depth=1
	global_load_b128 v[10:13], v8, s[0:1] scale_offset
	global_load_b128 v[14:17], v9, s[2:3] scale_offset
	s_add_co_i32 s5, s5, -1
	s_wait_xcnt 0x1
	v_add_nc_u32_e32 v8, s11, v8
	s_cmp_eq_u32 s5, 0
	s_wait_xcnt 0x0
	v_add_nc_u32_e32 v9, s4, v9
	s_wait_loadcnt 0x0
	v_mul_f64_e32 v[18:19], v[12:13], v[16:17]
	v_mul_f64_e32 v[16:17], v[10:11], v[16:17]
	s_delay_alu instid0(VALU_DEP_2) | instskip(NEXT) | instid1(VALU_DEP_2)
	v_fma_f64 v[10:11], v[10:11], v[14:15], -v[18:19]
	v_fmac_f64_e32 v[16:17], v[12:13], v[14:15]
	s_delay_alu instid0(VALU_DEP_2) | instskip(NEXT) | instid1(VALU_DEP_2)
	v_add_f64_e32 v[0:1], v[0:1], v[10:11]
	v_add_f64_e32 v[2:3], v[2:3], v[16:17]
	s_cbranch_scc0 .LBB135_9
.LBB135_10:
	s_sub_co_i32 s5, s14, s17
	s_delay_alu instid0(SALU_CYCLE_1) | instskip(NEXT) | instid1(SALU_CYCLE_1)
	s_min_i32 s5, s5, s12
	s_cmp_lt_i32 s5, 1
	s_cbranch_scc1 .LBB135_13
; %bb.11:
	s_mul_i32 s6, s11, s15
	s_delay_alu instid0(SALU_CYCLE_1)
	s_mul_i32 s6, s6, s12
	s_mul_i32 s12, s12, s12
	v_add3_u32 v7, s13, s6, v7
	v_lshl_add_u32 v6, s12, 1, v6
.LBB135_12:                             ; =>This Inner Loop Header: Depth=1
	global_load_b128 v[8:11], v7, s[0:1] scale_offset
	global_load_b128 v[12:15], v6, s[2:3] scale_offset
	s_add_co_i32 s5, s5, -1
	s_wait_xcnt 0x1
	v_add_nc_u32_e32 v7, s11, v7
	s_cmp_lg_u32 s5, 0
	s_wait_xcnt 0x0
	v_add_nc_u32_e32 v6, s4, v6
	s_wait_loadcnt 0x0
	v_mul_f64_e32 v[16:17], v[10:11], v[14:15]
	v_mul_f64_e32 v[14:15], v[8:9], v[14:15]
	s_delay_alu instid0(VALU_DEP_2) | instskip(NEXT) | instid1(VALU_DEP_2)
	v_fma_f64 v[8:9], v[8:9], v[12:13], -v[16:17]
	v_fmac_f64_e32 v[14:15], v[10:11], v[12:13]
	s_delay_alu instid0(VALU_DEP_2) | instskip(NEXT) | instid1(VALU_DEP_2)
	v_add_f64_e32 v[0:1], v[0:1], v[8:9]
	v_add_f64_e32 v[2:3], v[2:3], v[14:15]
	s_cbranch_scc1 .LBB135_12
.LBB135_13:
	v_mad_u32 v4, v4, s11, v5
	s_barrier_signal -1
	s_barrier_wait -1
	global_store_b128 v4, v[0:3], s[0:1] scale_offset
	s_endpgm
	.section	.rodata,"a",@progbits
	.p2align	6, 0x0
	.amdhsa_kernel _ZN9rocsolver6v33100L21syevj_offd_rotate_orgILb0E19rocblas_complex_numIdEdPS3_EEvbiiT2_iilPT0_PiS8_S8_
		.amdhsa_group_segment_fixed_size 0
		.amdhsa_private_segment_fixed_size 0
		.amdhsa_kernarg_size 328
		.amdhsa_user_sgpr_count 2
		.amdhsa_user_sgpr_dispatch_ptr 0
		.amdhsa_user_sgpr_queue_ptr 0
		.amdhsa_user_sgpr_kernarg_segment_ptr 1
		.amdhsa_user_sgpr_dispatch_id 0
		.amdhsa_user_sgpr_kernarg_preload_length 0
		.amdhsa_user_sgpr_kernarg_preload_offset 0
		.amdhsa_user_sgpr_private_segment_size 0
		.amdhsa_wavefront_size32 1
		.amdhsa_uses_dynamic_stack 0
		.amdhsa_enable_private_segment 0
		.amdhsa_system_sgpr_workgroup_id_x 1
		.amdhsa_system_sgpr_workgroup_id_y 1
		.amdhsa_system_sgpr_workgroup_id_z 1
		.amdhsa_system_sgpr_workgroup_info 0
		.amdhsa_system_vgpr_workitem_id 1
		.amdhsa_next_free_vgpr 20
		.amdhsa_next_free_sgpr 22
		.amdhsa_named_barrier_count 0
		.amdhsa_reserve_vcc 1
		.amdhsa_float_round_mode_32 0
		.amdhsa_float_round_mode_16_64 0
		.amdhsa_float_denorm_mode_32 3
		.amdhsa_float_denorm_mode_16_64 3
		.amdhsa_fp16_overflow 0
		.amdhsa_memory_ordered 1
		.amdhsa_forward_progress 1
		.amdhsa_inst_pref_size 7
		.amdhsa_round_robin_scheduling 0
		.amdhsa_exception_fp_ieee_invalid_op 0
		.amdhsa_exception_fp_denorm_src 0
		.amdhsa_exception_fp_ieee_div_zero 0
		.amdhsa_exception_fp_ieee_overflow 0
		.amdhsa_exception_fp_ieee_underflow 0
		.amdhsa_exception_fp_ieee_inexact 0
		.amdhsa_exception_int_div_zero 0
	.end_amdhsa_kernel
	.section	.text._ZN9rocsolver6v33100L21syevj_offd_rotate_orgILb0E19rocblas_complex_numIdEdPS3_EEvbiiT2_iilPT0_PiS8_S8_,"axG",@progbits,_ZN9rocsolver6v33100L21syevj_offd_rotate_orgILb0E19rocblas_complex_numIdEdPS3_EEvbiiT2_iilPT0_PiS8_S8_,comdat
.Lfunc_end135:
	.size	_ZN9rocsolver6v33100L21syevj_offd_rotate_orgILb0E19rocblas_complex_numIdEdPS3_EEvbiiT2_iilPT0_PiS8_S8_, .Lfunc_end135-_ZN9rocsolver6v33100L21syevj_offd_rotate_orgILb0E19rocblas_complex_numIdEdPS3_EEvbiiT2_iilPT0_PiS8_S8_
                                        ; -- End function
	.set _ZN9rocsolver6v33100L21syevj_offd_rotate_orgILb0E19rocblas_complex_numIdEdPS3_EEvbiiT2_iilPT0_PiS8_S8_.num_vgpr, 20
	.set _ZN9rocsolver6v33100L21syevj_offd_rotate_orgILb0E19rocblas_complex_numIdEdPS3_EEvbiiT2_iilPT0_PiS8_S8_.num_agpr, 0
	.set _ZN9rocsolver6v33100L21syevj_offd_rotate_orgILb0E19rocblas_complex_numIdEdPS3_EEvbiiT2_iilPT0_PiS8_S8_.numbered_sgpr, 22
	.set _ZN9rocsolver6v33100L21syevj_offd_rotate_orgILb0E19rocblas_complex_numIdEdPS3_EEvbiiT2_iilPT0_PiS8_S8_.num_named_barrier, 0
	.set _ZN9rocsolver6v33100L21syevj_offd_rotate_orgILb0E19rocblas_complex_numIdEdPS3_EEvbiiT2_iilPT0_PiS8_S8_.private_seg_size, 0
	.set _ZN9rocsolver6v33100L21syevj_offd_rotate_orgILb0E19rocblas_complex_numIdEdPS3_EEvbiiT2_iilPT0_PiS8_S8_.uses_vcc, 1
	.set _ZN9rocsolver6v33100L21syevj_offd_rotate_orgILb0E19rocblas_complex_numIdEdPS3_EEvbiiT2_iilPT0_PiS8_S8_.uses_flat_scratch, 0
	.set _ZN9rocsolver6v33100L21syevj_offd_rotate_orgILb0E19rocblas_complex_numIdEdPS3_EEvbiiT2_iilPT0_PiS8_S8_.has_dyn_sized_stack, 0
	.set _ZN9rocsolver6v33100L21syevj_offd_rotate_orgILb0E19rocblas_complex_numIdEdPS3_EEvbiiT2_iilPT0_PiS8_S8_.has_recursion, 0
	.set _ZN9rocsolver6v33100L21syevj_offd_rotate_orgILb0E19rocblas_complex_numIdEdPS3_EEvbiiT2_iilPT0_PiS8_S8_.has_indirect_call, 0
	.section	.AMDGPU.csdata,"",@progbits
; Kernel info:
; codeLenInByte = 848
; TotalNumSgprs: 24
; NumVgprs: 20
; ScratchSize: 0
; MemoryBound: 0
; FloatMode: 240
; IeeeMode: 1
; LDSByteSize: 0 bytes/workgroup (compile time only)
; SGPRBlocks: 0
; VGPRBlocks: 1
; NumSGPRsForWavesPerEU: 24
; NumVGPRsForWavesPerEU: 20
; NamedBarCnt: 0
; Occupancy: 16
; WaveLimiterHint : 0
; COMPUTE_PGM_RSRC2:SCRATCH_EN: 0
; COMPUTE_PGM_RSRC2:USER_SGPR: 2
; COMPUTE_PGM_RSRC2:TRAP_HANDLER: 0
; COMPUTE_PGM_RSRC2:TGID_X_EN: 1
; COMPUTE_PGM_RSRC2:TGID_Y_EN: 1
; COMPUTE_PGM_RSRC2:TGID_Z_EN: 1
; COMPUTE_PGM_RSRC2:TIDIG_COMP_CNT: 1
	.section	.text._ZN9rocsolver6v33100L17syevj_offd_rotateILb0E19rocblas_complex_numIdEdPS3_EEvbiiT2_iilPT0_PiS8_S8_i,"axG",@progbits,_ZN9rocsolver6v33100L17syevj_offd_rotateILb0E19rocblas_complex_numIdEdPS3_EEvbiiT2_iilPT0_PiS8_S8_i,comdat
	.globl	_ZN9rocsolver6v33100L17syevj_offd_rotateILb0E19rocblas_complex_numIdEdPS3_EEvbiiT2_iilPT0_PiS8_S8_i ; -- Begin function _ZN9rocsolver6v33100L17syevj_offd_rotateILb0E19rocblas_complex_numIdEdPS3_EEvbiiT2_iilPT0_PiS8_S8_i
	.p2align	8
	.type	_ZN9rocsolver6v33100L17syevj_offd_rotateILb0E19rocblas_complex_numIdEdPS3_EEvbiiT2_iilPT0_PiS8_S8_i,@function
_ZN9rocsolver6v33100L17syevj_offd_rotateILb0E19rocblas_complex_numIdEdPS3_EEvbiiT2_iilPT0_PiS8_S8_i: ; @_ZN9rocsolver6v33100L17syevj_offd_rotateILb0E19rocblas_complex_numIdEdPS3_EEvbiiT2_iilPT0_PiS8_S8_i
; %bb.0:
	s_clause 0x1
	s_load_b96 s[20:22], s[0:1], 0x0
	s_load_b32 s30, s[0:1], 0x48
	s_bfe_u32 s4, ttmp6, 0x40014
	s_lshr_b32 s3, ttmp7, 16
	s_add_co_i32 s4, s4, 1
	s_delay_alu instid0(SALU_CYCLE_1) | instskip(SKIP_3) | instid1(SALU_CYCLE_1)
	s_mul_i32 s6, s3, s4
	s_getreg_b32 s4, hwreg(HW_REG_IB_STS2, 6, 4)
	s_wait_kmcnt 0x0
	s_abs_i32 s5, s21
	s_cvt_f32_u32 s2, s5
	s_delay_alu instid0(SALU_CYCLE_3) | instskip(SKIP_1) | instid1(SALU_CYCLE_1)
	v_rcp_iflag_f32_e32 v1, s2
	s_bfe_u32 s2, ttmp6, 0x40008
	s_add_co_i32 s6, s2, s6
	s_cmp_eq_u32 s4, 0
	s_cselect_b32 s24, s3, s6
	v_nop
	s_delay_alu instid0(TRANS32_DEP_1)
	v_readfirstlane_b32 s2, v1
	s_cmp_ge_u32 s24, s30
	s_mov_b32 s3, 0
	s_cbranch_scc1 .LBB136_36
; %bb.1:
	s_mul_f32 s2, s2, 0x4f7ffffe
	s_add_co_i32 s6, s22, -1
	s_ashr_i32 s8, s21, 31
	s_mov_b32 s7, s3
	s_cvt_u32_f32 s9, s2
	s_sub_co_i32 s2, 0, s5
	s_ashr_i32 s10, s6, 31
	s_clause 0x1
	s_load_b128 s[12:15], s[0:1], 0x50
	s_load_b64 s[26:27], s[0:1], 0x40
	s_mul_i32 s2, s2, s9
	s_load_b128 s[16:19], s[0:1], 0x10
	s_mul_hi_u32 s11, s9, s2
	s_abs_i32 s2, s6
	s_add_co_i32 s6, s9, s11
	s_bitcmp1_b32 s20, 0
	s_mul_u64 s[6:7], s[2:3], s[6:7]
	s_cselect_b32 s6, -1, 0
	s_xor_b32 s8, s10, s8
	v_cndmask_b32_e64 v8, 0, 1, s6
	s_xor_b32 s20, s6, -1
	s_mul_i32 s6, s7, s5
	v_and_b32_e32 v9, 0x3ff, v0
	s_sub_co_i32 s2, s2, s6
	s_add_co_i32 s6, s7, 1
	s_sub_co_i32 s9, s2, s5
	s_cmp_ge_u32 s2, s5
	v_bfe_u32 v10, v0, 10, 10
	s_cselect_b32 s6, s6, s7
	s_cselect_b32 s2, s9, s2
	s_add_co_i32 s7, s6, 1
	s_cmp_ge_u32 s2, s5
	s_mov_b64 s[28:29], src_shared_base
	s_cselect_b32 s2, s7, s6
	s_bfe_u32 s5, ttmp6, 0x40010
	s_xor_b32 s2, s2, s8
	s_bfe_u32 s7, ttmp6, 0x4000c
	s_sub_co_i32 s31, s2, s8
	s_and_b32 s23, ttmp7, 0xffff
	s_add_co_i32 s34, s31, 1
	s_add_co_i32 s5, s5, 1
	s_lshr_b32 s2, s34, 31
	s_add_co_i32 s7, s7, 1
	s_add_co_i32 s2, s34, s2
	s_bfe_u32 s6, ttmp6, 0x40004
	s_and_b32 s2, s2, -2
	s_mul_i32 s5, s23, s5
	s_sub_co_i32 s2, s34, s2
	s_mul_i32 s7, ttmp9, s7
	s_add_co_i32 s2, s2, s34
	s_wait_kmcnt 0x0
	s_lshr_b32 s33, s15, 16
	s_lshr_b32 s8, s2, 31
	s_and_b32 s15, s15, 0xffff
	s_add_co_i32 s2, s2, s8
	s_add_co_i32 s25, s6, s5
	s_ashr_i32 s35, s2, 1
	s_and_b32 s2, ttmp6, 15
	v_mad_u32_u24 v11, v10, s15, v9
	s_add_co_i32 s2, s2, s7
	s_cmp_eq_u32 s4, 0
	s_load_b256 s[4:11], s[0:1], 0x20
	s_cselect_b32 s36, ttmp9, s2
	s_cselect_b32 s37, s23, s25
	s_lshl_b32 s38, s21, 1
	s_mov_b32 s40, s29
	s_wait_xcnt 0x0
	s_mul_i32 s0, s38, s21
	v_dual_lshlrev_b32 v0, 4, v11 :: v_dual_lshlrev_b32 v14, 4, v10
	s_lshl_b32 s1, s0, 4
	s_mul_i32 s0, s0, 3
	s_add_co_i32 s39, s1, 0
	s_cmp_lt_u32 s0, 0x1001
	s_mul_i32 s1, s21, s21
	s_cselect_b32 s41, -1, 0
	s_ashr_i32 s29, s18, 31
	s_lshl_b32 s42, s1, 2
	s_cmp_lt_u32 s36, s35
	s_mul_i32 s0, s31, s21
	s_cselect_b32 s43, -1, 0
	s_sub_co_i32 s44, s22, s0
	s_cmp_lt_u32 s37, s34
	s_mov_b32 s28, s18
	s_cselect_b32 s46, -1, 0
	s_lshl_b32 s1, s1, 5
	v_cmp_gt_u32_e64 s0, s42, v11
	v_add3_u32 v12, 0, s1, v0
	v_lshl_add_u32 v13, v9, 4, 0
	v_mov_b32_e32 v5, 0
	s_mul_i32 s45, s33, s15
	s_ashr_i32 s23, s19, 31
	s_mov_b32 s22, s19
	s_lshl_b64 s[18:19], s[28:29], 4
	s_lshl_b32 s47, s45, 4
	s_add_nc_u64 s[16:17], s[16:17], s[18:19]
	s_lshl_b32 s48, s33, 4
	s_lshl_b32 s49, s15, 4
	s_mul_i32 s50, s37, s21
	s_mul_i32 s51, s13, s21
	s_branch .LBB136_3
.LBB136_2:                              ;   in Loop: Header=BB136_3 Depth=1
	s_add_co_i32 s24, s24, s14
	s_delay_alu instid0(SALU_CYCLE_1)
	s_cmp_ge_u32 s24, s30
	s_cbranch_scc1 .LBB136_36
.LBB136_3:                              ; =>This Loop Header: Depth=1
                                        ;     Child Loop BB136_7 Depth 2
                                        ;       Child Loop BB136_11 Depth 3
                                        ;       Child Loop BB136_17 Depth 3
                                        ;         Child Loop BB136_23 Depth 4
                                        ;           Child Loop BB136_25 Depth 5
                                        ;         Child Loop BB136_29 Depth 4
                                        ;           Child Loop BB136_33 Depth 5
                                        ;             Child Loop BB136_35 Depth 6
	s_load_b32 s1, s[26:27], s24 offset:0x4 scale_offset
	s_wait_kmcnt 0x0
	s_cmp_lg_u32 s1, 0
	s_cbranch_scc1 .LBB136_2
; %bb.4:                                ;   in Loop: Header=BB136_3 Depth=1
	s_and_not1_b32 vcc_lo, exec_lo, s43
	s_cbranch_vccnz .LBB136_2
; %bb.5:                                ;   in Loop: Header=BB136_3 Depth=1
	s_mov_b32 s25, s3
	s_mov_b32 s52, s36
	s_mul_u64 s[18:19], s[4:5], s[24:25]
	s_mul_i32 s25, s24, s35
	s_lshl_b64 s[18:19], s[18:19], 4
	s_delay_alu instid0(SALU_CYCLE_1)
	s_add_nc_u64 s[18:19], s[16:17], s[18:19]
	s_branch .LBB136_7
.LBB136_6:                              ;   in Loop: Header=BB136_7 Depth=2
	s_add_co_i32 s52, s52, s12
	s_delay_alu instid0(SALU_CYCLE_1)
	s_cmp_lt_u32 s52, s35
	s_cbranch_scc0 .LBB136_2
.LBB136_7:                              ;   Parent Loop BB136_3 Depth=1
                                        ; =>  This Loop Header: Depth=2
                                        ;       Child Loop BB136_11 Depth 3
                                        ;       Child Loop BB136_17 Depth 3
                                        ;         Child Loop BB136_23 Depth 4
                                        ;           Child Loop BB136_25 Depth 5
                                        ;         Child Loop BB136_29 Depth 4
                                        ;           Child Loop BB136_33 Depth 5
                                        ;             Child Loop BB136_35 Depth 6
	s_load_b32 s1, s[10:11], s52 offset:0x0 scale_offset
	s_load_b32 s54, s[8:9], s52 offset:0x0 scale_offset
	s_wait_kmcnt 0x0
	s_max_i32 s53, s54, s1
	s_delay_alu instid0(SALU_CYCLE_1)
	s_cmp_gt_i32 s53, s31
	s_cbranch_scc1 .LBB136_6
; %bb.8:                                ;   in Loop: Header=BB136_7 Depth=2
	s_add_co_i32 s2, s52, s25
	s_and_not1_b32 vcc_lo, exec_lo, s41
	s_mul_i32 s2, s42, s2
	s_delay_alu instid0(SALU_CYCLE_1) | instskip(NEXT) | instid1(SALU_CYCLE_1)
	s_lshl_b64 s[28:29], s[2:3], 4
	s_add_nc_u64 s[28:29], s[6:7], s[28:29]
	s_cbranch_vccnz .LBB136_13
; %bb.9:                                ;   in Loop: Header=BB136_7 Depth=2
	s_barrier_signal -1
	s_barrier_wait -1
	s_and_saveexec_b32 s2, s0
	s_cbranch_execz .LBB136_12
; %bb.10:                               ;   in Loop: Header=BB136_7 Depth=2
	v_dual_mov_b32 v0, v12 :: v_dual_mov_b32 v1, v11
	s_mov_b32 s55, 0
.LBB136_11:                             ;   Parent Loop BB136_3 Depth=1
                                        ;     Parent Loop BB136_7 Depth=2
                                        ; =>    This Inner Loop Header: Depth=3
	global_load_b128 v[16:19], v1, s[28:29] scale_offset
	s_wait_xcnt 0x0
	v_add_nc_u32_e32 v1, s45, v1
	s_wait_loadcnt 0x0
	ds_store_2addr_b64 v0, v[16:17], v[18:19] offset1:1
	v_add_nc_u32_e32 v0, s47, v0
	v_cmp_le_u32_e32 vcc_lo, s42, v1
	s_or_b32 s55, vcc_lo, s55
	s_delay_alu instid0(SALU_CYCLE_1)
	s_and_not1_b32 exec_lo, exec_lo, s55
	s_cbranch_execnz .LBB136_11
.LBB136_12:                             ;   in Loop: Header=BB136_7 Depth=2
	s_or_b32 exec_lo, exec_lo, s2
	s_wait_dscnt 0x0
	s_barrier_signal -1
	s_barrier_wait -1
.LBB136_13:                             ;   in Loop: Header=BB136_7 Depth=2
	s_and_not1_b32 vcc_lo, exec_lo, s46
	s_cbranch_vccnz .LBB136_6
; %bb.14:                               ;   in Loop: Header=BB136_7 Depth=2
	s_min_i32 s54, s1, s54
	s_mul_i32 s2, s53, s21
	s_cmp_eq_u32 s54, s31
	s_mul_i32 s59, s54, s21
	s_cselect_b32 s55, s44, s21
	s_cmp_eq_u32 s53, s31
	s_mov_b32 s60, s50
	s_cselect_b32 s1, s44, s21
	s_mov_b32 s61, s37
	s_add_co_i32 s56, s55, s1
	s_and_b32 s1, s41, exec_lo
	s_cselect_b32 s29, s40, s29
	s_cselect_b32 s28, s39, s28
	s_sub_co_i32 s57, s2, s55
	v_cmp_gt_u32_e64 s1, s56, v10
	s_cmp_gt_i32 s56, 0
	s_cselect_b32 s58, -1, 0
	s_branch .LBB136_17
.LBB136_15:                             ;   in Loop: Header=BB136_17 Depth=3
	s_or_b32 exec_lo, exec_lo, s63
	s_wait_storecnt 0x0
	s_barrier_signal -1
	s_barrier_wait -1
.LBB136_16:                             ;   in Loop: Header=BB136_17 Depth=3
	s_add_co_i32 s61, s61, s13
	s_add_co_i32 s60, s60, s51
	s_cmp_lt_u32 s61, s34
	s_cbranch_scc0 .LBB136_6
.LBB136_17:                             ;   Parent Loop BB136_3 Depth=1
                                        ;     Parent Loop BB136_7 Depth=2
                                        ; =>    This Loop Header: Depth=3
                                        ;         Child Loop BB136_23 Depth 4
                                        ;           Child Loop BB136_25 Depth 5
                                        ;         Child Loop BB136_29 Depth 4
                                        ;           Child Loop BB136_33 Depth 5
                                        ;             Child Loop BB136_35 Depth 6
	v_cmp_ne_u32_e32 vcc_lo, 1, v8
	s_mov_b32 s2, s20
	s_cbranch_vccz .LBB136_19
; %bb.18:                               ;   in Loop: Header=BB136_17 Depth=3
	s_and_not1_b32 vcc_lo, exec_lo, s2
	s_cbranch_vccnz .LBB136_16
	s_branch .LBB136_20
.LBB136_19:                             ;   in Loop: Header=BB136_17 Depth=3
	s_cmp_lg_u32 s61, s54
	s_cselect_b32 s2, -1, 0
	s_cmp_lg_u32 s61, s53
	s_cselect_b32 s62, -1, 0
	s_delay_alu instid0(SALU_CYCLE_1) | instskip(NEXT) | instid1(SALU_CYCLE_1)
	s_and_b32 s2, s2, s62
	s_and_not1_b32 vcc_lo, exec_lo, s2
	s_cbranch_vccnz .LBB136_16
.LBB136_20:                             ;   in Loop: Header=BB136_17 Depth=3
	s_cmp_eq_u32 s61, s31
	s_cselect_b32 s62, s44, s21
	s_barrier_signal -1
	s_barrier_wait -1
	s_and_saveexec_b32 s63, s1
	s_cbranch_execz .LBB136_26
; %bb.21:                               ;   in Loop: Header=BB136_17 Depth=3
	v_mad_u32 v2, v14, s62, v13
	v_mov_b32_e32 v3, v10
	s_mul_i32 s64, s48, s62
	s_mov_b32 s65, 0
	v_cmp_gt_u32_e32 vcc_lo, s62, v9
	s_branch .LBB136_23
.LBB136_22:                             ;   in Loop: Header=BB136_23 Depth=4
	s_or_b32 exec_lo, exec_lo, s66
	s_delay_alu instid0(VALU_DEP_3) | instskip(NEXT) | instid1(VALU_DEP_1)
	v_dual_add_nc_u32 v3, s33, v3 :: v_dual_add_nc_u32 v2, s64, v2
	v_cmp_le_u32_e64 s2, s56, v3
	s_or_b32 s65, s2, s65
	s_delay_alu instid0(SALU_CYCLE_1)
	s_and_not1_b32 exec_lo, exec_lo, s65
	s_cbranch_execz .LBB136_26
.LBB136_23:                             ;   Parent Loop BB136_3 Depth=1
                                        ;     Parent Loop BB136_7 Depth=2
                                        ;       Parent Loop BB136_17 Depth=3
                                        ; =>      This Loop Header: Depth=4
                                        ;           Child Loop BB136_25 Depth 5
	s_and_saveexec_b32 s66, vcc_lo
	s_cbranch_execz .LBB136_22
; %bb.24:                               ;   in Loop: Header=BB136_23 Depth=4
	s_delay_alu instid0(VALU_DEP_3) | instskip(SKIP_3) | instid1(VALU_DEP_1)
	v_dual_mov_b32 v0, s59 :: v_dual_mov_b32 v6, v2
	v_cmp_gt_u32_e64 s2, s55, v3
	s_mov_b32 s67, 0
	v_dual_mov_b32 v7, v9 :: v_dual_cndmask_b32 v0, s57, v0, s2
	v_add_nc_u32_e32 v4, v3, v0
	s_delay_alu instid0(VALU_DEP_1) | instskip(NEXT) | instid1(VALU_DEP_1)
	v_mul_u64_e32 v[0:1], s[22:23], v[4:5]
	v_lshl_add_u64 v[0:1], v[0:1], 4, s[18:19]
.LBB136_25:                             ;   Parent Loop BB136_3 Depth=1
                                        ;     Parent Loop BB136_7 Depth=2
                                        ;       Parent Loop BB136_17 Depth=3
                                        ;         Parent Loop BB136_23 Depth=4
                                        ; =>        This Inner Loop Header: Depth=5
	s_delay_alu instid0(VALU_DEP_4) | instskip(NEXT) | instid1(VALU_DEP_1)
	v_dual_add_nc_u32 v4, s60, v7 :: v_dual_add_nc_u32 v7, s15, v7
	v_lshl_add_u64 v[16:17], v[4:5], 4, v[0:1]
	s_delay_alu instid0(VALU_DEP_2)
	v_cmp_le_u32_e64 s2, s62, v7
	global_load_b128 v[16:19], v[16:17], off
	s_or_b32 s67, s2, s67
	s_wait_loadcnt 0x0
	ds_store_2addr_b64 v6, v[16:17], v[18:19] offset1:1
	v_add_nc_u32_e32 v6, s49, v6
	s_wait_xcnt 0x0
	s_and_not1_b32 exec_lo, exec_lo, s67
	s_cbranch_execnz .LBB136_25
	s_branch .LBB136_22
.LBB136_26:                             ;   in Loop: Header=BB136_17 Depth=3
	s_or_b32 exec_lo, exec_lo, s63
	s_wait_dscnt 0x0
	s_barrier_signal -1
	s_barrier_wait -1
	s_and_saveexec_b32 s63, s1
	s_cbranch_execz .LBB136_15
; %bb.27:                               ;   in Loop: Header=BB136_17 Depth=3
	v_cmp_gt_u32_e64 s2, s62, v9
	v_mov_b32_e32 v15, v10
	s_mul_i32 s64, s61, s21
	s_lshl_b32 s65, s62, 4
	s_mov_b32 s66, 0
	s_branch .LBB136_29
.LBB136_28:                             ;   in Loop: Header=BB136_29 Depth=4
	s_or_b32 exec_lo, exec_lo, s67
	v_add_nc_u32_e32 v15, s33, v15
	s_delay_alu instid0(VALU_DEP_1) | instskip(SKIP_1) | instid1(SALU_CYCLE_1)
	v_cmp_le_u32_e32 vcc_lo, s56, v15
	s_or_b32 s66, vcc_lo, s66
	s_and_not1_b32 exec_lo, exec_lo, s66
	s_cbranch_execz .LBB136_15
.LBB136_29:                             ;   Parent Loop BB136_3 Depth=1
                                        ;     Parent Loop BB136_7 Depth=2
                                        ;       Parent Loop BB136_17 Depth=3
                                        ; =>      This Loop Header: Depth=4
                                        ;           Child Loop BB136_33 Depth 5
                                        ;             Child Loop BB136_35 Depth 6
	s_and_saveexec_b32 s67, s2
	s_cbranch_execz .LBB136_28
; %bb.30:                               ;   in Loop: Header=BB136_29 Depth=4
	v_dual_mov_b32 v0, s59 :: v_dual_mov_b32 v16, v13
	v_cmp_gt_u32_e32 vcc_lo, s55, v15
	s_mov_b32 s68, 0
	s_delay_alu instid0(VALU_DEP_2) | instskip(NEXT) | instid1(VALU_DEP_1)
	v_dual_mov_b32 v17, v9 :: v_dual_cndmask_b32 v0, s57, v0
	v_add_nc_u32_e32 v4, v15, v0
	s_delay_alu instid0(VALU_DEP_1) | instskip(NEXT) | instid1(VALU_DEP_1)
	v_mul_u64_e32 v[0:1], s[22:23], v[4:5]
	v_lshl_add_u64 v[6:7], v[0:1], 4, s[18:19]
	s_branch .LBB136_33
.LBB136_31:                             ;   in Loop: Header=BB136_33 Depth=5
	s_delay_alu instid0(VALU_DEP_1)
	v_mov_b64_e32 v[0:1], v[2:3]
.LBB136_32:                             ;   in Loop: Header=BB136_33 Depth=5
	v_dual_add_nc_u32 v4, s64, v17 :: v_dual_add_nc_u32 v17, s15, v17
	v_add_nc_u32_e32 v16, s49, v16
	s_delay_alu instid0(VALU_DEP_2) | instskip(NEXT) | instid1(VALU_DEP_3)
	v_lshl_add_u64 v[18:19], v[4:5], 4, v[6:7]
	v_cmp_le_u32_e32 vcc_lo, s62, v17
	global_store_b128 v[18:19], v[0:3], off
	s_or_b32 s68, vcc_lo, s68
	s_wait_xcnt 0x0
	s_and_not1_b32 exec_lo, exec_lo, s68
	s_cbranch_execz .LBB136_28
.LBB136_33:                             ;   Parent Loop BB136_3 Depth=1
                                        ;     Parent Loop BB136_7 Depth=2
                                        ;       Parent Loop BB136_17 Depth=3
                                        ;         Parent Loop BB136_29 Depth=4
                                        ; =>        This Loop Header: Depth=5
                                        ;             Child Loop BB136_35 Depth 6
	v_mov_b64_e32 v[2:3], 0
	s_and_not1_b32 vcc_lo, exec_lo, s58
	s_cbranch_vccnz .LBB136_31
; %bb.34:                               ;   in Loop: Header=BB136_33 Depth=5
	s_delay_alu instid0(VALU_DEP_1)
	v_mov_b64_e32 v[0:1], v[2:3]
	v_dual_mov_b32 v4, v15 :: v_dual_mov_b32 v18, v16
	s_mov_b32 s69, s56
.LBB136_35:                             ;   Parent Loop BB136_3 Depth=1
                                        ;     Parent Loop BB136_7 Depth=2
                                        ;       Parent Loop BB136_17 Depth=3
                                        ;         Parent Loop BB136_29 Depth=4
                                        ;           Parent Loop BB136_33 Depth=5
                                        ; =>          This Inner Loop Header: Depth=6
	flat_load_b128 v[20:23], v4, s[28:29] scale_offset
	ds_load_2addr_b64 v[24:27], v18 offset1:1
	s_add_co_i32 s69, s69, -1
	s_wait_xcnt 0x0
	v_add_nc_u32_e32 v4, s38, v4
	s_cmp_eq_u32 s69, 0
	v_add_nc_u32_e32 v18, s65, v18
	s_wait_loadcnt_dscnt 0x0
	v_mul_f64_e32 v[28:29], v[26:27], v[22:23]
	v_mul_f64_e32 v[22:23], v[24:25], v[22:23]
	s_delay_alu instid0(VALU_DEP_2) | instskip(NEXT) | instid1(VALU_DEP_2)
	v_fma_f64 v[24:25], v[24:25], v[20:21], -v[28:29]
	v_fmac_f64_e32 v[22:23], v[26:27], v[20:21]
	s_delay_alu instid0(VALU_DEP_2) | instskip(NEXT) | instid1(VALU_DEP_2)
	v_add_f64_e32 v[0:1], v[0:1], v[24:25]
	v_add_f64_e32 v[2:3], v[2:3], v[22:23]
	s_cbranch_scc0 .LBB136_35
	s_branch .LBB136_32
.LBB136_36:
	s_endpgm
	.section	.rodata,"a",@progbits
	.p2align	6, 0x0
	.amdhsa_kernel _ZN9rocsolver6v33100L17syevj_offd_rotateILb0E19rocblas_complex_numIdEdPS3_EEvbiiT2_iilPT0_PiS8_S8_i
		.amdhsa_group_segment_fixed_size 0
		.amdhsa_private_segment_fixed_size 0
		.amdhsa_kernarg_size 336
		.amdhsa_user_sgpr_count 2
		.amdhsa_user_sgpr_dispatch_ptr 0
		.amdhsa_user_sgpr_queue_ptr 0
		.amdhsa_user_sgpr_kernarg_segment_ptr 1
		.amdhsa_user_sgpr_dispatch_id 0
		.amdhsa_user_sgpr_kernarg_preload_length 0
		.amdhsa_user_sgpr_kernarg_preload_offset 0
		.amdhsa_user_sgpr_private_segment_size 0
		.amdhsa_wavefront_size32 1
		.amdhsa_uses_dynamic_stack 0
		.amdhsa_enable_private_segment 0
		.amdhsa_system_sgpr_workgroup_id_x 1
		.amdhsa_system_sgpr_workgroup_id_y 1
		.amdhsa_system_sgpr_workgroup_id_z 1
		.amdhsa_system_sgpr_workgroup_info 0
		.amdhsa_system_vgpr_workitem_id 1
		.amdhsa_next_free_vgpr 30
		.amdhsa_next_free_sgpr 70
		.amdhsa_named_barrier_count 0
		.amdhsa_reserve_vcc 1
		.amdhsa_float_round_mode_32 0
		.amdhsa_float_round_mode_16_64 0
		.amdhsa_float_denorm_mode_32 3
		.amdhsa_float_denorm_mode_16_64 3
		.amdhsa_fp16_overflow 0
		.amdhsa_memory_ordered 1
		.amdhsa_forward_progress 1
		.amdhsa_inst_pref_size 13
		.amdhsa_round_robin_scheduling 0
		.amdhsa_exception_fp_ieee_invalid_op 0
		.amdhsa_exception_fp_denorm_src 0
		.amdhsa_exception_fp_ieee_div_zero 0
		.amdhsa_exception_fp_ieee_overflow 0
		.amdhsa_exception_fp_ieee_underflow 0
		.amdhsa_exception_fp_ieee_inexact 0
		.amdhsa_exception_int_div_zero 0
	.end_amdhsa_kernel
	.section	.text._ZN9rocsolver6v33100L17syevj_offd_rotateILb0E19rocblas_complex_numIdEdPS3_EEvbiiT2_iilPT0_PiS8_S8_i,"axG",@progbits,_ZN9rocsolver6v33100L17syevj_offd_rotateILb0E19rocblas_complex_numIdEdPS3_EEvbiiT2_iilPT0_PiS8_S8_i,comdat
.Lfunc_end136:
	.size	_ZN9rocsolver6v33100L17syevj_offd_rotateILb0E19rocblas_complex_numIdEdPS3_EEvbiiT2_iilPT0_PiS8_S8_i, .Lfunc_end136-_ZN9rocsolver6v33100L17syevj_offd_rotateILb0E19rocblas_complex_numIdEdPS3_EEvbiiT2_iilPT0_PiS8_S8_i
                                        ; -- End function
	.set _ZN9rocsolver6v33100L17syevj_offd_rotateILb0E19rocblas_complex_numIdEdPS3_EEvbiiT2_iilPT0_PiS8_S8_i.num_vgpr, 30
	.set _ZN9rocsolver6v33100L17syevj_offd_rotateILb0E19rocblas_complex_numIdEdPS3_EEvbiiT2_iilPT0_PiS8_S8_i.num_agpr, 0
	.set _ZN9rocsolver6v33100L17syevj_offd_rotateILb0E19rocblas_complex_numIdEdPS3_EEvbiiT2_iilPT0_PiS8_S8_i.numbered_sgpr, 70
	.set _ZN9rocsolver6v33100L17syevj_offd_rotateILb0E19rocblas_complex_numIdEdPS3_EEvbiiT2_iilPT0_PiS8_S8_i.num_named_barrier, 0
	.set _ZN9rocsolver6v33100L17syevj_offd_rotateILb0E19rocblas_complex_numIdEdPS3_EEvbiiT2_iilPT0_PiS8_S8_i.private_seg_size, 0
	.set _ZN9rocsolver6v33100L17syevj_offd_rotateILb0E19rocblas_complex_numIdEdPS3_EEvbiiT2_iilPT0_PiS8_S8_i.uses_vcc, 1
	.set _ZN9rocsolver6v33100L17syevj_offd_rotateILb0E19rocblas_complex_numIdEdPS3_EEvbiiT2_iilPT0_PiS8_S8_i.uses_flat_scratch, 0
	.set _ZN9rocsolver6v33100L17syevj_offd_rotateILb0E19rocblas_complex_numIdEdPS3_EEvbiiT2_iilPT0_PiS8_S8_i.has_dyn_sized_stack, 0
	.set _ZN9rocsolver6v33100L17syevj_offd_rotateILb0E19rocblas_complex_numIdEdPS3_EEvbiiT2_iilPT0_PiS8_S8_i.has_recursion, 0
	.set _ZN9rocsolver6v33100L17syevj_offd_rotateILb0E19rocblas_complex_numIdEdPS3_EEvbiiT2_iilPT0_PiS8_S8_i.has_indirect_call, 0
	.section	.AMDGPU.csdata,"",@progbits
; Kernel info:
; codeLenInByte = 1608
; TotalNumSgprs: 72
; NumVgprs: 30
; ScratchSize: 0
; MemoryBound: 0
; FloatMode: 240
; IeeeMode: 1
; LDSByteSize: 0 bytes/workgroup (compile time only)
; SGPRBlocks: 0
; VGPRBlocks: 1
; NumSGPRsForWavesPerEU: 72
; NumVGPRsForWavesPerEU: 30
; NamedBarCnt: 0
; Occupancy: 16
; WaveLimiterHint : 1
; COMPUTE_PGM_RSRC2:SCRATCH_EN: 0
; COMPUTE_PGM_RSRC2:USER_SGPR: 2
; COMPUTE_PGM_RSRC2:TRAP_HANDLER: 0
; COMPUTE_PGM_RSRC2:TGID_X_EN: 1
; COMPUTE_PGM_RSRC2:TGID_Y_EN: 1
; COMPUTE_PGM_RSRC2:TGID_Z_EN: 1
; COMPUTE_PGM_RSRC2:TIDIG_COMP_CNT: 1
	.section	.text._ZN9rocsolver6v33100L21syevj_offd_rotate_orgILb1E19rocblas_complex_numIdEdPS3_EEvbiiT2_iilPT0_PiS8_S8_,"axG",@progbits,_ZN9rocsolver6v33100L21syevj_offd_rotate_orgILb1E19rocblas_complex_numIdEdPS3_EEvbiiT2_iilPT0_PiS8_S8_,comdat
	.globl	_ZN9rocsolver6v33100L21syevj_offd_rotate_orgILb1E19rocblas_complex_numIdEdPS3_EEvbiiT2_iilPT0_PiS8_S8_ ; -- Begin function _ZN9rocsolver6v33100L21syevj_offd_rotate_orgILb1E19rocblas_complex_numIdEdPS3_EEvbiiT2_iilPT0_PiS8_S8_
	.p2align	8
	.type	_ZN9rocsolver6v33100L21syevj_offd_rotate_orgILb1E19rocblas_complex_numIdEdPS3_EEvbiiT2_iilPT0_PiS8_S8_,@function
_ZN9rocsolver6v33100L21syevj_offd_rotate_orgILb1E19rocblas_complex_numIdEdPS3_EEvbiiT2_iilPT0_PiS8_S8_: ; @_ZN9rocsolver6v33100L21syevj_offd_rotate_orgILb1E19rocblas_complex_numIdEdPS3_EEvbiiT2_iilPT0_PiS8_S8_
; %bb.0:
	s_load_b64 s[4:5], s[0:1], 0x40
	s_bfe_u32 s2, ttmp6, 0x40014
	s_lshr_b32 s3, ttmp7, 16
	s_add_co_i32 s2, s2, 1
	s_bfe_u32 s6, ttmp6, 0x40008
	s_mul_i32 s2, s3, s2
	s_getreg_b32 s15, hwreg(HW_REG_IB_STS2, 6, 4)
	s_add_co_i32 s6, s6, s2
	s_cmp_eq_u32 s15, 0
	s_cselect_b32 s2, s3, s6
	s_wait_kmcnt 0x0
	s_load_b32 s3, s[4:5], s2 offset:0x4 scale_offset
	s_wait_kmcnt 0x0
	s_cmp_lg_u32 s3, 0
	s_mov_b32 s3, 0
	s_cbranch_scc0 .LBB137_2
.LBB137_1:
	s_endpgm
.LBB137_2:
	s_load_b256 s[4:11], s[0:1], 0x20
	s_bfe_u32 s12, ttmp6, 0x4000c
	s_and_b32 s13, ttmp6, 15
	s_add_co_i32 s12, s12, 1
	s_delay_alu instid0(SALU_CYCLE_1) | instskip(NEXT) | instid1(SALU_CYCLE_1)
	s_mul_i32 s12, ttmp9, s12
	s_add_co_i32 s13, s13, s12
	s_cmp_eq_u32 s15, 0
	s_cselect_b32 s16, ttmp9, s13
	s_delay_alu instid0(SALU_CYCLE_1) | instskip(NEXT) | instid1(SALU_CYCLE_1)
	s_ashr_i32 s17, s16, 31
	s_lshl_b64 s[12:13], s[16:17], 2
	s_wait_kmcnt 0x0
	s_add_nc_u64 s[8:9], s[8:9], s[12:13]
	s_add_nc_u64 s[18:19], s[10:11], s[12:13]
	s_load_b32 s10, s[8:9], 0x0
	s_load_b32 s11, s[18:19], 0x0
	s_load_b96 s[12:14], s[0:1], 0x0
	s_wait_kmcnt 0x0
	s_max_i32 s8, s10, s11
	s_delay_alu instid0(SALU_CYCLE_1)
	s_cmp_ge_i32 s8, s13
	s_cbranch_scc1 .LBB137_1
; %bb.3:
	s_bitcmp1_b32 s12, 0
	s_cselect_b32 s9, -1, 0
	s_bfe_u32 s12, ttmp6, 0x40010
	s_and_b32 s13, ttmp7, 0xffff
	s_add_co_i32 s12, s12, 1
	s_bfe_u32 s17, ttmp6, 0x40004
	s_mul_i32 s18, s13, s12
	s_xor_b32 s12, s9, -1
	s_add_co_i32 s17, s17, s18
	s_cmp_eq_u32 s15, 0
	s_cselect_b32 s9, s13, s17
	s_and_b32 vcc_lo, exec_lo, s12
	s_min_i32 s15, s10, s11
	s_cbranch_vccnz .LBB137_5
; %bb.4:
	s_lshr_b32 s10, s9, 1
	s_delay_alu instid0(SALU_CYCLE_1) | instskip(SKIP_3) | instid1(SALU_CYCLE_1)
	s_cmp_lg_u32 s10, s15
	s_cselect_b32 s11, -1, 0
	s_cmp_lg_u32 s10, s8
	s_cselect_b32 s10, -1, 0
	s_and_b32 s12, s11, s10
.LBB137_5:
	s_delay_alu instid0(SALU_CYCLE_1)
	s_and_not1_b32 vcc_lo, exec_lo, s12
	s_cbranch_vccnz .LBB137_1
; %bb.6:
	s_add_nc_u64 s[10:11], s[0:1], 0x48
	v_and_b32_e32 v5, 0x3ff, v0
	s_load_b32 s17, s[10:11], 0xc
	v_bfe_u32 v0, v0, 10, 10
	s_wait_kmcnt 0x0
	s_bfe_u32 s12, s17, 0xf0001
	s_delay_alu instid0(SALU_CYCLE_1)
	s_mul_i32 s15, s15, s12
	v_cmp_gt_u32_e32 vcc_lo, s12, v5
	v_mov_b32_e32 v1, s15
	s_mul_i32 s13, s8, s12
	s_lshr_b32 s8, s17, 16
	s_sub_co_i32 s10, s13, s12
	v_mad_u32 v0, s9, s8, v0
	v_cndmask_b32_e32 v1, s10, v1, vcc_lo
	s_mov_b32 s8, exec_lo
	s_delay_alu instid0(VALU_DEP_1) | instskip(NEXT) | instid1(VALU_DEP_1)
	v_add_nc_u32_e32 v4, v1, v5
	v_max_i32_e32 v1, v4, v0
	s_delay_alu instid0(VALU_DEP_1)
	v_cmpx_gt_i32_e64 s14, v1
	s_cbranch_execz .LBB137_1
; %bb.7:
	s_clause 0x1
	s_load_b32 s18, s[0:1], 0x48
	s_load_b128 s[8:11], s[0:1], 0x10
	s_wait_xcnt 0x0
	s_mul_u64 s[0:1], s[4:5], s[2:3]
	s_lshl_b32 s4, s12, 1
	s_lshl_b64 s[0:1], s[0:1], 4
	s_wait_kmcnt 0x0
	s_mul_i32 s2, s18, s2
	v_mul_lo_u32 v7, v0, s11
	s_add_co_i32 s5, s2, s16
	s_ashr_i32 s3, s10, 31
	s_mul_i32 s5, s5, s12
	s_mov_b32 s2, s10
	s_mul_i32 s5, s5, s12
	s_add_nc_u64 s[0:1], s[8:9], s[0:1]
	s_lshl_b32 s8, s5, 2
	s_lshl_b64 s[2:3], s[2:3], 4
	s_ashr_i32 s9, s8, 31
	s_add_nc_u64 s[0:1], s[0:1], s[2:3]
	s_and_b32 s5, 0xffff, s17
	s_lshl_b64 s[2:3], s[8:9], 4
	s_cmp_gt_u32 s5, 1
	s_add_nc_u64 s[2:3], s[6:7], s[2:3]
	s_cbranch_scc0 .LBB137_11
; %bb.8:
	v_mul_lo_u32 v6, v0, s11
	v_mov_b64_e32 v[2:3], 0
	v_mov_b64_e32 v[0:1], 0
	s_mov_b32 s5, s12
	s_delay_alu instid0(VALU_DEP_3)
	v_dual_mov_b32 v9, v5 :: v_dual_add_nc_u32 v8, s15, v6
.LBB137_9:                              ; =>This Inner Loop Header: Depth=1
	global_load_b128 v[10:13], v9, s[2:3] scale_offset
	global_load_b128 v[14:17], v8, s[0:1] scale_offset
	s_add_co_i32 s5, s5, -1
	s_wait_xcnt 0x1
	v_add_nc_u32_e32 v9, s4, v9
	s_cmp_eq_u32 s5, 0
	s_wait_xcnt 0x0
	v_add_nc_u32_e32 v8, 1, v8
	s_wait_loadcnt 0x0
	v_mul_f64_e32 v[18:19], v[12:13], v[16:17]
	v_mul_f64_e32 v[12:13], v[12:13], v[14:15]
	s_delay_alu instid0(VALU_DEP_2) | instskip(NEXT) | instid1(VALU_DEP_2)
	v_fmac_f64_e32 v[18:19], v[10:11], v[14:15]
	v_fma_f64 v[10:11], v[10:11], v[16:17], -v[12:13]
	s_delay_alu instid0(VALU_DEP_2) | instskip(NEXT) | instid1(VALU_DEP_2)
	v_add_f64_e32 v[0:1], v[0:1], v[18:19]
	v_add_f64_e32 v[2:3], v[2:3], v[10:11]
	s_cbranch_scc0 .LBB137_9
; %bb.10:
	s_mov_b32 s5, 0
	s_branch .LBB137_12
.LBB137_11:
	s_mov_b32 s5, -1
                                        ; implicit-def: $vgpr2_vgpr3
                                        ; implicit-def: $vgpr6
.LBB137_12:
	s_delay_alu instid0(SALU_CYCLE_1)
	s_and_b32 vcc_lo, exec_lo, s5
	s_cbranch_vccz .LBB137_14
; %bb.13:
	v_mov_b64_e32 v[0:1], 0
	v_mov_b64_e32 v[2:3], 0
	v_mov_b32_e32 v6, v7
.LBB137_14:
	s_sub_co_i32 s5, s14, s13
	s_delay_alu instid0(SALU_CYCLE_1) | instskip(NEXT) | instid1(SALU_CYCLE_1)
	s_min_i32 s5, s5, s12
	s_cmp_lt_i32 s5, 1
	s_cbranch_scc1 .LBB137_17
; %bb.15:
	s_mul_i32 s12, s12, s12
	v_add_nc_u32_e32 v7, s13, v6
	v_lshl_add_u32 v5, s12, 1, v5
.LBB137_16:                             ; =>This Inner Loop Header: Depth=1
	global_load_b128 v[8:11], v5, s[2:3] scale_offset
	global_load_b128 v[12:15], v7, s[0:1] scale_offset
	s_add_co_i32 s5, s5, -1
	s_wait_xcnt 0x0
	v_dual_add_nc_u32 v5, s4, v5 :: v_dual_add_nc_u32 v7, 1, v7
	s_cmp_lg_u32 s5, 0
	s_wait_loadcnt 0x0
	v_mul_f64_e32 v[16:17], v[10:11], v[14:15]
	v_mul_f64_e32 v[10:11], v[10:11], v[12:13]
	s_delay_alu instid0(VALU_DEP_2) | instskip(NEXT) | instid1(VALU_DEP_2)
	v_fmac_f64_e32 v[16:17], v[8:9], v[12:13]
	v_fma_f64 v[8:9], v[8:9], v[14:15], -v[10:11]
	s_delay_alu instid0(VALU_DEP_2) | instskip(NEXT) | instid1(VALU_DEP_2)
	v_add_f64_e32 v[0:1], v[0:1], v[16:17]
	v_add_f64_e32 v[2:3], v[2:3], v[8:9]
	s_cbranch_scc1 .LBB137_16
.LBB137_17:
	v_add_nc_u32_e32 v4, v4, v6
	s_barrier_signal -1
	s_barrier_wait -1
	global_store_b128 v4, v[0:3], s[0:1] scale_offset
	s_endpgm
	.section	.rodata,"a",@progbits
	.p2align	6, 0x0
	.amdhsa_kernel _ZN9rocsolver6v33100L21syevj_offd_rotate_orgILb1E19rocblas_complex_numIdEdPS3_EEvbiiT2_iilPT0_PiS8_S8_
		.amdhsa_group_segment_fixed_size 0
		.amdhsa_private_segment_fixed_size 0
		.amdhsa_kernarg_size 328
		.amdhsa_user_sgpr_count 2
		.amdhsa_user_sgpr_dispatch_ptr 0
		.amdhsa_user_sgpr_queue_ptr 0
		.amdhsa_user_sgpr_kernarg_segment_ptr 1
		.amdhsa_user_sgpr_dispatch_id 0
		.amdhsa_user_sgpr_kernarg_preload_length 0
		.amdhsa_user_sgpr_kernarg_preload_offset 0
		.amdhsa_user_sgpr_private_segment_size 0
		.amdhsa_wavefront_size32 1
		.amdhsa_uses_dynamic_stack 0
		.amdhsa_enable_private_segment 0
		.amdhsa_system_sgpr_workgroup_id_x 1
		.amdhsa_system_sgpr_workgroup_id_y 1
		.amdhsa_system_sgpr_workgroup_id_z 1
		.amdhsa_system_sgpr_workgroup_info 0
		.amdhsa_system_vgpr_workitem_id 1
		.amdhsa_next_free_vgpr 20
		.amdhsa_next_free_sgpr 20
		.amdhsa_named_barrier_count 0
		.amdhsa_reserve_vcc 1
		.amdhsa_float_round_mode_32 0
		.amdhsa_float_round_mode_16_64 0
		.amdhsa_float_denorm_mode_32 3
		.amdhsa_float_denorm_mode_16_64 3
		.amdhsa_fp16_overflow 0
		.amdhsa_memory_ordered 1
		.amdhsa_forward_progress 1
		.amdhsa_inst_pref_size 7
		.amdhsa_round_robin_scheduling 0
		.amdhsa_exception_fp_ieee_invalid_op 0
		.amdhsa_exception_fp_denorm_src 0
		.amdhsa_exception_fp_ieee_div_zero 0
		.amdhsa_exception_fp_ieee_overflow 0
		.amdhsa_exception_fp_ieee_underflow 0
		.amdhsa_exception_fp_ieee_inexact 0
		.amdhsa_exception_int_div_zero 0
	.end_amdhsa_kernel
	.section	.text._ZN9rocsolver6v33100L21syevj_offd_rotate_orgILb1E19rocblas_complex_numIdEdPS3_EEvbiiT2_iilPT0_PiS8_S8_,"axG",@progbits,_ZN9rocsolver6v33100L21syevj_offd_rotate_orgILb1E19rocblas_complex_numIdEdPS3_EEvbiiT2_iilPT0_PiS8_S8_,comdat
.Lfunc_end137:
	.size	_ZN9rocsolver6v33100L21syevj_offd_rotate_orgILb1E19rocblas_complex_numIdEdPS3_EEvbiiT2_iilPT0_PiS8_S8_, .Lfunc_end137-_ZN9rocsolver6v33100L21syevj_offd_rotate_orgILb1E19rocblas_complex_numIdEdPS3_EEvbiiT2_iilPT0_PiS8_S8_
                                        ; -- End function
	.set _ZN9rocsolver6v33100L21syevj_offd_rotate_orgILb1E19rocblas_complex_numIdEdPS3_EEvbiiT2_iilPT0_PiS8_S8_.num_vgpr, 20
	.set _ZN9rocsolver6v33100L21syevj_offd_rotate_orgILb1E19rocblas_complex_numIdEdPS3_EEvbiiT2_iilPT0_PiS8_S8_.num_agpr, 0
	.set _ZN9rocsolver6v33100L21syevj_offd_rotate_orgILb1E19rocblas_complex_numIdEdPS3_EEvbiiT2_iilPT0_PiS8_S8_.numbered_sgpr, 20
	.set _ZN9rocsolver6v33100L21syevj_offd_rotate_orgILb1E19rocblas_complex_numIdEdPS3_EEvbiiT2_iilPT0_PiS8_S8_.num_named_barrier, 0
	.set _ZN9rocsolver6v33100L21syevj_offd_rotate_orgILb1E19rocblas_complex_numIdEdPS3_EEvbiiT2_iilPT0_PiS8_S8_.private_seg_size, 0
	.set _ZN9rocsolver6v33100L21syevj_offd_rotate_orgILb1E19rocblas_complex_numIdEdPS3_EEvbiiT2_iilPT0_PiS8_S8_.uses_vcc, 1
	.set _ZN9rocsolver6v33100L21syevj_offd_rotate_orgILb1E19rocblas_complex_numIdEdPS3_EEvbiiT2_iilPT0_PiS8_S8_.uses_flat_scratch, 0
	.set _ZN9rocsolver6v33100L21syevj_offd_rotate_orgILb1E19rocblas_complex_numIdEdPS3_EEvbiiT2_iilPT0_PiS8_S8_.has_dyn_sized_stack, 0
	.set _ZN9rocsolver6v33100L21syevj_offd_rotate_orgILb1E19rocblas_complex_numIdEdPS3_EEvbiiT2_iilPT0_PiS8_S8_.has_recursion, 0
	.set _ZN9rocsolver6v33100L21syevj_offd_rotate_orgILb1E19rocblas_complex_numIdEdPS3_EEvbiiT2_iilPT0_PiS8_S8_.has_indirect_call, 0
	.section	.AMDGPU.csdata,"",@progbits
; Kernel info:
; codeLenInByte = 852
; TotalNumSgprs: 22
; NumVgprs: 20
; ScratchSize: 0
; MemoryBound: 0
; FloatMode: 240
; IeeeMode: 1
; LDSByteSize: 0 bytes/workgroup (compile time only)
; SGPRBlocks: 0
; VGPRBlocks: 1
; NumSGPRsForWavesPerEU: 22
; NumVGPRsForWavesPerEU: 20
; NamedBarCnt: 0
; Occupancy: 16
; WaveLimiterHint : 0
; COMPUTE_PGM_RSRC2:SCRATCH_EN: 0
; COMPUTE_PGM_RSRC2:USER_SGPR: 2
; COMPUTE_PGM_RSRC2:TRAP_HANDLER: 0
; COMPUTE_PGM_RSRC2:TGID_X_EN: 1
; COMPUTE_PGM_RSRC2:TGID_Y_EN: 1
; COMPUTE_PGM_RSRC2:TGID_Z_EN: 1
; COMPUTE_PGM_RSRC2:TIDIG_COMP_CNT: 1
	.section	.text._ZN9rocsolver6v33100L17syevj_offd_rotateILb1E19rocblas_complex_numIdEdPS3_EEvbiiT2_iilPT0_PiS8_S8_i,"axG",@progbits,_ZN9rocsolver6v33100L17syevj_offd_rotateILb1E19rocblas_complex_numIdEdPS3_EEvbiiT2_iilPT0_PiS8_S8_i,comdat
	.globl	_ZN9rocsolver6v33100L17syevj_offd_rotateILb1E19rocblas_complex_numIdEdPS3_EEvbiiT2_iilPT0_PiS8_S8_i ; -- Begin function _ZN9rocsolver6v33100L17syevj_offd_rotateILb1E19rocblas_complex_numIdEdPS3_EEvbiiT2_iilPT0_PiS8_S8_i
	.p2align	8
	.type	_ZN9rocsolver6v33100L17syevj_offd_rotateILb1E19rocblas_complex_numIdEdPS3_EEvbiiT2_iilPT0_PiS8_S8_i,@function
_ZN9rocsolver6v33100L17syevj_offd_rotateILb1E19rocblas_complex_numIdEdPS3_EEvbiiT2_iilPT0_PiS8_S8_i: ; @_ZN9rocsolver6v33100L17syevj_offd_rotateILb1E19rocblas_complex_numIdEdPS3_EEvbiiT2_iilPT0_PiS8_S8_i
; %bb.0:
	s_clause 0x1
	s_load_b96 s[20:22], s[0:1], 0x0
	s_load_b32 s30, s[0:1], 0x48
	s_bfe_u32 s4, ttmp6, 0x40014
	s_lshr_b32 s3, ttmp7, 16
	s_add_co_i32 s4, s4, 1
	s_delay_alu instid0(SALU_CYCLE_1) | instskip(SKIP_3) | instid1(SALU_CYCLE_1)
	s_mul_i32 s6, s3, s4
	s_getreg_b32 s4, hwreg(HW_REG_IB_STS2, 6, 4)
	s_wait_kmcnt 0x0
	s_abs_i32 s5, s21
	s_cvt_f32_u32 s2, s5
	s_delay_alu instid0(SALU_CYCLE_3) | instskip(SKIP_1) | instid1(SALU_CYCLE_1)
	v_rcp_iflag_f32_e32 v1, s2
	s_bfe_u32 s2, ttmp6, 0x40008
	s_add_co_i32 s6, s2, s6
	s_cmp_eq_u32 s4, 0
	s_cselect_b32 s24, s3, s6
	v_nop
	s_delay_alu instid0(TRANS32_DEP_1)
	v_readfirstlane_b32 s2, v1
	s_cmp_ge_u32 s24, s30
	s_mov_b32 s3, 0
	s_cbranch_scc1 .LBB138_36
; %bb.1:
	s_mul_f32 s2, s2, 0x4f7ffffe
	s_add_co_i32 s6, s22, -1
	s_ashr_i32 s8, s21, 31
	s_mov_b32 s7, s3
	s_cvt_u32_f32 s9, s2
	s_sub_co_i32 s2, 0, s5
	s_ashr_i32 s10, s6, 31
	s_clause 0x1
	s_load_b128 s[12:15], s[0:1], 0x50
	s_load_b64 s[26:27], s[0:1], 0x40
	s_mul_i32 s2, s2, s9
	s_load_b128 s[16:19], s[0:1], 0x10
	s_mul_hi_u32 s11, s9, s2
	s_abs_i32 s2, s6
	s_add_co_i32 s6, s9, s11
	s_bitcmp1_b32 s20, 0
	s_mul_u64 s[6:7], s[2:3], s[6:7]
	s_cselect_b32 s6, -1, 0
	s_xor_b32 s8, s10, s8
	v_cndmask_b32_e64 v8, 0, 1, s6
	s_xor_b32 s20, s6, -1
	s_mul_i32 s6, s7, s5
	v_and_b32_e32 v9, 0x3ff, v0
	s_sub_co_i32 s2, s2, s6
	s_add_co_i32 s6, s7, 1
	s_sub_co_i32 s9, s2, s5
	s_cmp_ge_u32 s2, s5
	v_bfe_u32 v10, v0, 10, 10
	s_cselect_b32 s6, s6, s7
	s_cselect_b32 s2, s9, s2
	s_add_co_i32 s7, s6, 1
	s_cmp_ge_u32 s2, s5
	s_mov_b64 s[28:29], src_shared_base
	s_cselect_b32 s2, s7, s6
	s_bfe_u32 s5, ttmp6, 0x40010
	s_xor_b32 s2, s2, s8
	s_bfe_u32 s7, ttmp6, 0x4000c
	s_sub_co_i32 s31, s2, s8
	s_and_b32 s23, ttmp7, 0xffff
	s_add_co_i32 s34, s31, 1
	s_add_co_i32 s5, s5, 1
	s_lshr_b32 s2, s34, 31
	s_add_co_i32 s7, s7, 1
	s_add_co_i32 s2, s34, s2
	s_bfe_u32 s6, ttmp6, 0x40004
	s_and_b32 s2, s2, -2
	s_mul_i32 s5, s23, s5
	s_sub_co_i32 s2, s34, s2
	s_mul_i32 s7, ttmp9, s7
	s_add_co_i32 s2, s2, s34
	s_wait_kmcnt 0x0
	s_lshr_b32 s33, s15, 16
	s_lshr_b32 s8, s2, 31
	s_and_b32 s15, s15, 0xffff
	s_add_co_i32 s2, s2, s8
	s_add_co_i32 s25, s6, s5
	s_ashr_i32 s35, s2, 1
	s_and_b32 s2, ttmp6, 15
	v_mad_u32_u24 v11, v10, s15, v9
	s_add_co_i32 s2, s2, s7
	s_cmp_eq_u32 s4, 0
	s_load_b256 s[4:11], s[0:1], 0x20
	s_cselect_b32 s36, ttmp9, s2
	s_cselect_b32 s37, s23, s25
	s_lshl_b32 s38, s21, 1
	s_mov_b32 s40, s29
	s_wait_xcnt 0x0
	s_mul_i32 s0, s38, s21
	v_dual_lshlrev_b32 v0, 4, v11 :: v_dual_lshlrev_b32 v14, 4, v10
	s_lshl_b32 s1, s0, 4
	s_mul_i32 s0, s0, 3
	s_add_co_i32 s39, s1, 0
	s_cmp_lt_u32 s0, 0x1001
	s_mul_i32 s1, s21, s21
	s_cselect_b32 s41, -1, 0
	s_ashr_i32 s29, s18, 31
	s_lshl_b32 s42, s1, 2
	s_cmp_lt_u32 s36, s35
	s_mul_i32 s0, s31, s21
	s_cselect_b32 s43, -1, 0
	s_sub_co_i32 s44, s22, s0
	s_cmp_lt_u32 s37, s34
	s_mov_b32 s28, s18
	s_cselect_b32 s46, -1, 0
	s_lshl_b32 s1, s1, 5
	v_cmp_gt_u32_e64 s0, s42, v11
	v_add3_u32 v12, 0, s1, v0
	v_lshl_add_u32 v13, v9, 4, 0
	v_mov_b32_e32 v5, 0
	s_mul_i32 s45, s33, s15
	s_ashr_i32 s23, s19, 31
	s_mov_b32 s22, s19
	s_lshl_b64 s[18:19], s[28:29], 4
	s_lshl_b32 s47, s45, 4
	s_add_nc_u64 s[16:17], s[16:17], s[18:19]
	s_lshl_b32 s48, s33, 4
	s_lshl_b32 s49, s15, 4
	s_branch .LBB138_3
.LBB138_2:                              ;   in Loop: Header=BB138_3 Depth=1
	s_add_co_i32 s24, s24, s14
	s_delay_alu instid0(SALU_CYCLE_1)
	s_cmp_ge_u32 s24, s30
	s_cbranch_scc1 .LBB138_36
.LBB138_3:                              ; =>This Loop Header: Depth=1
                                        ;     Child Loop BB138_7 Depth 2
                                        ;       Child Loop BB138_11 Depth 3
                                        ;       Child Loop BB138_17 Depth 3
                                        ;         Child Loop BB138_23 Depth 4
                                        ;           Child Loop BB138_25 Depth 5
                                        ;         Child Loop BB138_29 Depth 4
                                        ;           Child Loop BB138_33 Depth 5
                                        ;             Child Loop BB138_35 Depth 6
	s_load_b32 s1, s[26:27], s24 offset:0x4 scale_offset
	s_wait_kmcnt 0x0
	s_cmp_lg_u32 s1, 0
	s_cbranch_scc1 .LBB138_2
; %bb.4:                                ;   in Loop: Header=BB138_3 Depth=1
	s_and_not1_b32 vcc_lo, exec_lo, s43
	s_cbranch_vccnz .LBB138_2
; %bb.5:                                ;   in Loop: Header=BB138_3 Depth=1
	s_mov_b32 s25, s3
	s_mov_b32 s50, s36
	s_mul_u64 s[18:19], s[4:5], s[24:25]
	s_mul_i32 s25, s24, s35
	s_lshl_b64 s[18:19], s[18:19], 4
	s_delay_alu instid0(SALU_CYCLE_1)
	s_add_nc_u64 s[18:19], s[16:17], s[18:19]
	s_branch .LBB138_7
.LBB138_6:                              ;   in Loop: Header=BB138_7 Depth=2
	s_add_co_i32 s50, s50, s12
	s_delay_alu instid0(SALU_CYCLE_1)
	s_cmp_lt_u32 s50, s35
	s_cbranch_scc0 .LBB138_2
.LBB138_7:                              ;   Parent Loop BB138_3 Depth=1
                                        ; =>  This Loop Header: Depth=2
                                        ;       Child Loop BB138_11 Depth 3
                                        ;       Child Loop BB138_17 Depth 3
                                        ;         Child Loop BB138_23 Depth 4
                                        ;           Child Loop BB138_25 Depth 5
                                        ;         Child Loop BB138_29 Depth 4
                                        ;           Child Loop BB138_33 Depth 5
                                        ;             Child Loop BB138_35 Depth 6
	s_load_b32 s1, s[10:11], s50 offset:0x0 scale_offset
	s_load_b32 s52, s[8:9], s50 offset:0x0 scale_offset
	s_wait_kmcnt 0x0
	s_max_i32 s51, s52, s1
	s_delay_alu instid0(SALU_CYCLE_1)
	s_cmp_gt_i32 s51, s31
	s_cbranch_scc1 .LBB138_6
; %bb.8:                                ;   in Loop: Header=BB138_7 Depth=2
	s_add_co_i32 s2, s50, s25
	s_and_not1_b32 vcc_lo, exec_lo, s41
	s_mul_i32 s2, s42, s2
	s_delay_alu instid0(SALU_CYCLE_1) | instskip(NEXT) | instid1(SALU_CYCLE_1)
	s_lshl_b64 s[28:29], s[2:3], 4
	s_add_nc_u64 s[28:29], s[6:7], s[28:29]
	s_cbranch_vccnz .LBB138_13
; %bb.9:                                ;   in Loop: Header=BB138_7 Depth=2
	s_barrier_signal -1
	s_barrier_wait -1
	s_and_saveexec_b32 s2, s0
	s_cbranch_execz .LBB138_12
; %bb.10:                               ;   in Loop: Header=BB138_7 Depth=2
	v_dual_mov_b32 v0, v12 :: v_dual_mov_b32 v1, v11
	s_mov_b32 s53, 0
.LBB138_11:                             ;   Parent Loop BB138_3 Depth=1
                                        ;     Parent Loop BB138_7 Depth=2
                                        ; =>    This Inner Loop Header: Depth=3
	global_load_b128 v[16:19], v1, s[28:29] scale_offset
	s_wait_xcnt 0x0
	v_add_nc_u32_e32 v1, s45, v1
	s_wait_loadcnt 0x0
	ds_store_2addr_b64 v0, v[16:17], v[18:19] offset1:1
	v_add_nc_u32_e32 v0, s47, v0
	v_cmp_le_u32_e32 vcc_lo, s42, v1
	s_or_b32 s53, vcc_lo, s53
	s_delay_alu instid0(SALU_CYCLE_1)
	s_and_not1_b32 exec_lo, exec_lo, s53
	s_cbranch_execnz .LBB138_11
.LBB138_12:                             ;   in Loop: Header=BB138_7 Depth=2
	s_or_b32 exec_lo, exec_lo, s2
	s_wait_dscnt 0x0
	s_barrier_signal -1
	s_barrier_wait -1
.LBB138_13:                             ;   in Loop: Header=BB138_7 Depth=2
	s_and_not1_b32 vcc_lo, exec_lo, s46
	s_cbranch_vccnz .LBB138_6
; %bb.14:                               ;   in Loop: Header=BB138_7 Depth=2
	s_min_i32 s52, s1, s52
	s_mul_i32 s2, s51, s21
	s_cmp_eq_u32 s52, s31
	s_mul_i32 s57, s52, s21
	s_cselect_b32 s53, s44, s21
	s_cmp_eq_u32 s51, s31
	s_mov_b32 s59, s37
	s_cselect_b32 s1, s44, s21
	s_delay_alu instid0(SALU_CYCLE_1)
	s_add_co_i32 s54, s53, s1
	s_and_b32 s1, s41, exec_lo
	v_mul_lo_u32 v0, v14, s54
	s_cselect_b32 s29, s40, s29
	s_cselect_b32 s28, s39, s28
	v_cmp_gt_u32_e64 s1, s54, v9
	s_sub_co_i32 s55, s2, s53
	s_cmp_gt_i32 s54, 0
	s_mul_i32 s58, s48, s54
	s_cselect_b32 s56, -1, 0
	v_dual_add_nc_u32 v15, v13, v0 :: v_dual_add_nc_u32 v16, 0, v0
	s_branch .LBB138_17
.LBB138_15:                             ;   in Loop: Header=BB138_17 Depth=3
	s_or_b32 exec_lo, exec_lo, s2
	s_wait_storecnt 0x0
	s_barrier_signal -1
	s_barrier_wait -1
.LBB138_16:                             ;   in Loop: Header=BB138_17 Depth=3
	s_add_co_i32 s59, s59, s13
	s_delay_alu instid0(SALU_CYCLE_1)
	s_cmp_lt_u32 s59, s34
	s_cbranch_scc0 .LBB138_6
.LBB138_17:                             ;   Parent Loop BB138_3 Depth=1
                                        ;     Parent Loop BB138_7 Depth=2
                                        ; =>    This Loop Header: Depth=3
                                        ;         Child Loop BB138_23 Depth 4
                                        ;           Child Loop BB138_25 Depth 5
                                        ;         Child Loop BB138_29 Depth 4
                                        ;           Child Loop BB138_33 Depth 5
                                        ;             Child Loop BB138_35 Depth 6
	v_cmp_ne_u32_e32 vcc_lo, 1, v8
	s_mov_b32 s2, s20
	s_cbranch_vccz .LBB138_19
; %bb.18:                               ;   in Loop: Header=BB138_17 Depth=3
	s_and_not1_b32 vcc_lo, exec_lo, s2
	s_cbranch_vccnz .LBB138_16
	s_branch .LBB138_20
.LBB138_19:                             ;   in Loop: Header=BB138_17 Depth=3
	s_cmp_lg_u32 s59, s52
	s_cselect_b32 s2, -1, 0
	s_cmp_lg_u32 s59, s51
	s_cselect_b32 s60, -1, 0
	s_delay_alu instid0(SALU_CYCLE_1) | instskip(NEXT) | instid1(SALU_CYCLE_1)
	s_and_b32 s2, s2, s60
	s_and_not1_b32 vcc_lo, exec_lo, s2
	s_cbranch_vccnz .LBB138_16
.LBB138_20:                             ;   in Loop: Header=BB138_17 Depth=3
	s_cmp_eq_u32 s59, s31
	s_mul_i32 s61, s59, s21
	s_cselect_b32 s60, s44, s21
	s_delay_alu instid0(SALU_CYCLE_1)
	v_cmp_gt_u32_e32 vcc_lo, s60, v10
	s_barrier_signal -1
	s_barrier_wait -1
	s_and_saveexec_b32 s62, vcc_lo
	s_cbranch_execz .LBB138_26
; %bb.21:                               ;   in Loop: Header=BB138_17 Depth=3
	v_dual_mov_b32 v2, v15 :: v_dual_mov_b32 v3, v10
	s_mov_b32 s63, 0
	s_branch .LBB138_23
.LBB138_22:                             ;   in Loop: Header=BB138_23 Depth=4
	s_or_b32 exec_lo, exec_lo, s64
	v_dual_add_nc_u32 v3, s33, v3 :: v_dual_add_nc_u32 v2, s58, v2
	s_delay_alu instid0(VALU_DEP_1) | instskip(SKIP_1) | instid1(SALU_CYCLE_1)
	v_cmp_le_u32_e64 s2, s60, v3
	s_or_b32 s63, s2, s63
	s_and_not1_b32 exec_lo, exec_lo, s63
	s_cbranch_execz .LBB138_26
.LBB138_23:                             ;   Parent Loop BB138_3 Depth=1
                                        ;     Parent Loop BB138_7 Depth=2
                                        ;       Parent Loop BB138_17 Depth=3
                                        ; =>      This Loop Header: Depth=4
                                        ;           Child Loop BB138_25 Depth 5
	s_and_saveexec_b32 s64, s1
	s_cbranch_execz .LBB138_22
; %bb.24:                               ;   in Loop: Header=BB138_23 Depth=4
	v_dual_add_nc_u32 v4, s61, v3 :: v_dual_mov_b32 v6, v2
	v_mov_b32_e32 v7, v9
	s_mov_b32 s65, 0
	s_delay_alu instid0(VALU_DEP_2) | instskip(NEXT) | instid1(VALU_DEP_1)
	v_mul_u64_e32 v[0:1], s[22:23], v[4:5]
	v_lshl_add_u64 v[0:1], v[0:1], 4, s[18:19]
.LBB138_25:                             ;   Parent Loop BB138_3 Depth=1
                                        ;     Parent Loop BB138_7 Depth=2
                                        ;       Parent Loop BB138_17 Depth=3
                                        ;         Parent Loop BB138_23 Depth=4
                                        ; =>        This Inner Loop Header: Depth=5
	v_mov_b32_e32 v4, s57
	v_cmp_gt_u32_e64 s2, s53, v7
	s_delay_alu instid0(VALU_DEP_1) | instskip(NEXT) | instid1(VALU_DEP_1)
	v_cndmask_b32_e64 v4, s55, v4, s2
	v_dual_add_nc_u32 v4, v4, v7 :: v_dual_add_nc_u32 v7, s15, v7
	s_delay_alu instid0(VALU_DEP_1) | instskip(NEXT) | instid1(VALU_DEP_2)
	v_lshl_add_u64 v[18:19], v[4:5], 4, v[0:1]
	v_cmp_le_u32_e64 s2, s54, v7
	global_load_b128 v[18:21], v[18:19], off
	s_or_b32 s65, s2, s65
	s_wait_loadcnt 0x0
	ds_store_2addr_b64 v6, v[18:19], v[20:21] offset1:1
	v_add_nc_u32_e32 v6, s49, v6
	s_wait_xcnt 0x0
	s_and_not1_b32 exec_lo, exec_lo, s65
	s_cbranch_execnz .LBB138_25
	s_branch .LBB138_22
.LBB138_26:                             ;   in Loop: Header=BB138_17 Depth=3
	s_or_b32 exec_lo, exec_lo, s62
	s_wait_dscnt 0x0
	s_barrier_signal -1
	s_barrier_wait -1
	s_and_saveexec_b32 s2, vcc_lo
	s_cbranch_execz .LBB138_15
; %bb.27:                               ;   in Loop: Header=BB138_17 Depth=3
	v_dual_mov_b32 v17, v16 :: v_dual_mov_b32 v18, v10
	s_mov_b32 s62, 0
	s_branch .LBB138_29
.LBB138_28:                             ;   in Loop: Header=BB138_29 Depth=4
	s_or_b32 exec_lo, exec_lo, s63
	v_dual_add_nc_u32 v18, s33, v18 :: v_dual_add_nc_u32 v17, s58, v17
	s_delay_alu instid0(VALU_DEP_1) | instskip(SKIP_1) | instid1(SALU_CYCLE_1)
	v_cmp_le_u32_e32 vcc_lo, s60, v18
	s_or_b32 s62, vcc_lo, s62
	s_and_not1_b32 exec_lo, exec_lo, s62
	s_cbranch_execz .LBB138_15
.LBB138_29:                             ;   Parent Loop BB138_3 Depth=1
                                        ;     Parent Loop BB138_7 Depth=2
                                        ;       Parent Loop BB138_17 Depth=3
                                        ; =>      This Loop Header: Depth=4
                                        ;           Child Loop BB138_33 Depth 5
                                        ;             Child Loop BB138_35 Depth 6
	s_and_saveexec_b32 s63, s1
	s_cbranch_execz .LBB138_28
; %bb.30:                               ;   in Loop: Header=BB138_29 Depth=4
	v_dual_mov_b32 v19, v9 :: v_dual_add_nc_u32 v4, s61, v18
	s_mov_b32 s64, 0
	s_delay_alu instid0(VALU_DEP_1) | instskip(NEXT) | instid1(VALU_DEP_1)
	v_mul_u64_e32 v[0:1], s[22:23], v[4:5]
	v_lshl_add_u64 v[6:7], v[0:1], 4, s[18:19]
	s_branch .LBB138_33
.LBB138_31:                             ;   in Loop: Header=BB138_33 Depth=5
	s_delay_alu instid0(VALU_DEP_1)
	v_mov_b64_e32 v[0:1], v[2:3]
.LBB138_32:                             ;   in Loop: Header=BB138_33 Depth=5
	v_mov_b32_e32 v4, s57
	v_cmp_gt_u32_e32 vcc_lo, s53, v19
	s_delay_alu instid0(VALU_DEP_2) | instskip(NEXT) | instid1(VALU_DEP_1)
	v_cndmask_b32_e32 v4, s55, v4, vcc_lo
	v_dual_add_nc_u32 v4, v19, v4 :: v_dual_add_nc_u32 v19, s15, v19
	s_delay_alu instid0(VALU_DEP_1) | instskip(NEXT) | instid1(VALU_DEP_2)
	v_lshl_add_u64 v[20:21], v[4:5], 4, v[6:7]
	v_cmp_le_u32_e32 vcc_lo, s54, v19
	global_store_b128 v[20:21], v[0:3], off
	s_or_b32 s64, vcc_lo, s64
	s_wait_xcnt 0x0
	s_and_not1_b32 exec_lo, exec_lo, s64
	s_cbranch_execz .LBB138_28
.LBB138_33:                             ;   Parent Loop BB138_3 Depth=1
                                        ;     Parent Loop BB138_7 Depth=2
                                        ;       Parent Loop BB138_17 Depth=3
                                        ;         Parent Loop BB138_29 Depth=4
                                        ; =>        This Loop Header: Depth=5
                                        ;             Child Loop BB138_35 Depth 6
	v_mov_b64_e32 v[2:3], 0
	s_and_not1_b32 vcc_lo, exec_lo, s56
	s_cbranch_vccnz .LBB138_31
; %bb.34:                               ;   in Loop: Header=BB138_33 Depth=5
	s_delay_alu instid0(VALU_DEP_1)
	v_mov_b64_e32 v[0:1], v[2:3]
	v_dual_mov_b32 v4, v19 :: v_dual_mov_b32 v20, v17
	s_mov_b32 s65, s54
.LBB138_35:                             ;   Parent Loop BB138_3 Depth=1
                                        ;     Parent Loop BB138_7 Depth=2
                                        ;       Parent Loop BB138_17 Depth=3
                                        ;         Parent Loop BB138_29 Depth=4
                                        ;           Parent Loop BB138_33 Depth=5
                                        ; =>          This Inner Loop Header: Depth=6
	flat_load_b128 v[22:25], v4, s[28:29] scale_offset
	ds_load_2addr_b64 v[26:29], v20 offset1:1
	s_add_co_i32 s65, s65, -1
	v_add_nc_u32_e32 v20, 16, v20
	s_cmp_eq_u32 s65, 0
	s_wait_xcnt 0x0
	v_add_nc_u32_e32 v4, s38, v4
	s_wait_loadcnt_dscnt 0x0
	v_mul_f64_e32 v[30:31], v[24:25], v[28:29]
	v_mul_f64_e32 v[24:25], v[24:25], v[26:27]
	s_delay_alu instid0(VALU_DEP_2) | instskip(NEXT) | instid1(VALU_DEP_2)
	v_fmac_f64_e32 v[30:31], v[22:23], v[26:27]
	v_fma_f64 v[22:23], v[22:23], v[28:29], -v[24:25]
	s_delay_alu instid0(VALU_DEP_2) | instskip(NEXT) | instid1(VALU_DEP_2)
	v_add_f64_e32 v[0:1], v[0:1], v[30:31]
	v_add_f64_e32 v[2:3], v[2:3], v[22:23]
	s_cbranch_scc0 .LBB138_35
	s_branch .LBB138_32
.LBB138_36:
	s_endpgm
	.section	.rodata,"a",@progbits
	.p2align	6, 0x0
	.amdhsa_kernel _ZN9rocsolver6v33100L17syevj_offd_rotateILb1E19rocblas_complex_numIdEdPS3_EEvbiiT2_iilPT0_PiS8_S8_i
		.amdhsa_group_segment_fixed_size 0
		.amdhsa_private_segment_fixed_size 0
		.amdhsa_kernarg_size 336
		.amdhsa_user_sgpr_count 2
		.amdhsa_user_sgpr_dispatch_ptr 0
		.amdhsa_user_sgpr_queue_ptr 0
		.amdhsa_user_sgpr_kernarg_segment_ptr 1
		.amdhsa_user_sgpr_dispatch_id 0
		.amdhsa_user_sgpr_kernarg_preload_length 0
		.amdhsa_user_sgpr_kernarg_preload_offset 0
		.amdhsa_user_sgpr_private_segment_size 0
		.amdhsa_wavefront_size32 1
		.amdhsa_uses_dynamic_stack 0
		.amdhsa_enable_private_segment 0
		.amdhsa_system_sgpr_workgroup_id_x 1
		.amdhsa_system_sgpr_workgroup_id_y 1
		.amdhsa_system_sgpr_workgroup_id_z 1
		.amdhsa_system_sgpr_workgroup_info 0
		.amdhsa_system_vgpr_workitem_id 1
		.amdhsa_next_free_vgpr 32
		.amdhsa_next_free_sgpr 66
		.amdhsa_named_barrier_count 0
		.amdhsa_reserve_vcc 1
		.amdhsa_float_round_mode_32 0
		.amdhsa_float_round_mode_16_64 0
		.amdhsa_float_denorm_mode_32 3
		.amdhsa_float_denorm_mode_16_64 3
		.amdhsa_fp16_overflow 0
		.amdhsa_memory_ordered 1
		.amdhsa_forward_progress 1
		.amdhsa_inst_pref_size 13
		.amdhsa_round_robin_scheduling 0
		.amdhsa_exception_fp_ieee_invalid_op 0
		.amdhsa_exception_fp_denorm_src 0
		.amdhsa_exception_fp_ieee_div_zero 0
		.amdhsa_exception_fp_ieee_overflow 0
		.amdhsa_exception_fp_ieee_underflow 0
		.amdhsa_exception_fp_ieee_inexact 0
		.amdhsa_exception_int_div_zero 0
	.end_amdhsa_kernel
	.section	.text._ZN9rocsolver6v33100L17syevj_offd_rotateILb1E19rocblas_complex_numIdEdPS3_EEvbiiT2_iilPT0_PiS8_S8_i,"axG",@progbits,_ZN9rocsolver6v33100L17syevj_offd_rotateILb1E19rocblas_complex_numIdEdPS3_EEvbiiT2_iilPT0_PiS8_S8_i,comdat
.Lfunc_end138:
	.size	_ZN9rocsolver6v33100L17syevj_offd_rotateILb1E19rocblas_complex_numIdEdPS3_EEvbiiT2_iilPT0_PiS8_S8_i, .Lfunc_end138-_ZN9rocsolver6v33100L17syevj_offd_rotateILb1E19rocblas_complex_numIdEdPS3_EEvbiiT2_iilPT0_PiS8_S8_i
                                        ; -- End function
	.set _ZN9rocsolver6v33100L17syevj_offd_rotateILb1E19rocblas_complex_numIdEdPS3_EEvbiiT2_iilPT0_PiS8_S8_i.num_vgpr, 32
	.set _ZN9rocsolver6v33100L17syevj_offd_rotateILb1E19rocblas_complex_numIdEdPS3_EEvbiiT2_iilPT0_PiS8_S8_i.num_agpr, 0
	.set _ZN9rocsolver6v33100L17syevj_offd_rotateILb1E19rocblas_complex_numIdEdPS3_EEvbiiT2_iilPT0_PiS8_S8_i.numbered_sgpr, 66
	.set _ZN9rocsolver6v33100L17syevj_offd_rotateILb1E19rocblas_complex_numIdEdPS3_EEvbiiT2_iilPT0_PiS8_S8_i.num_named_barrier, 0
	.set _ZN9rocsolver6v33100L17syevj_offd_rotateILb1E19rocblas_complex_numIdEdPS3_EEvbiiT2_iilPT0_PiS8_S8_i.private_seg_size, 0
	.set _ZN9rocsolver6v33100L17syevj_offd_rotateILb1E19rocblas_complex_numIdEdPS3_EEvbiiT2_iilPT0_PiS8_S8_i.uses_vcc, 1
	.set _ZN9rocsolver6v33100L17syevj_offd_rotateILb1E19rocblas_complex_numIdEdPS3_EEvbiiT2_iilPT0_PiS8_S8_i.uses_flat_scratch, 0
	.set _ZN9rocsolver6v33100L17syevj_offd_rotateILb1E19rocblas_complex_numIdEdPS3_EEvbiiT2_iilPT0_PiS8_S8_i.has_dyn_sized_stack, 0
	.set _ZN9rocsolver6v33100L17syevj_offd_rotateILb1E19rocblas_complex_numIdEdPS3_EEvbiiT2_iilPT0_PiS8_S8_i.has_recursion, 0
	.set _ZN9rocsolver6v33100L17syevj_offd_rotateILb1E19rocblas_complex_numIdEdPS3_EEvbiiT2_iilPT0_PiS8_S8_i.has_indirect_call, 0
	.section	.AMDGPU.csdata,"",@progbits
; Kernel info:
; codeLenInByte = 1600
; TotalNumSgprs: 68
; NumVgprs: 32
; ScratchSize: 0
; MemoryBound: 0
; FloatMode: 240
; IeeeMode: 1
; LDSByteSize: 0 bytes/workgroup (compile time only)
; SGPRBlocks: 0
; VGPRBlocks: 1
; NumSGPRsForWavesPerEU: 68
; NumVGPRsForWavesPerEU: 32
; NamedBarCnt: 0
; Occupancy: 16
; WaveLimiterHint : 1
; COMPUTE_PGM_RSRC2:SCRATCH_EN: 0
; COMPUTE_PGM_RSRC2:USER_SGPR: 2
; COMPUTE_PGM_RSRC2:TRAP_HANDLER: 0
; COMPUTE_PGM_RSRC2:TGID_X_EN: 1
; COMPUTE_PGM_RSRC2:TGID_Y_EN: 1
; COMPUTE_PGM_RSRC2:TGID_Z_EN: 1
; COMPUTE_PGM_RSRC2:TIDIG_COMP_CNT: 1
	.section	.text._ZN9rocsolver6v33100L17syevj_cycle_pairsI19rocblas_complex_numIdEEEviPiS4_,"axG",@progbits,_ZN9rocsolver6v33100L17syevj_cycle_pairsI19rocblas_complex_numIdEEEviPiS4_,comdat
	.globl	_ZN9rocsolver6v33100L17syevj_cycle_pairsI19rocblas_complex_numIdEEEviPiS4_ ; -- Begin function _ZN9rocsolver6v33100L17syevj_cycle_pairsI19rocblas_complex_numIdEEEviPiS4_
	.p2align	8
	.type	_ZN9rocsolver6v33100L17syevj_cycle_pairsI19rocblas_complex_numIdEEEviPiS4_,@function
_ZN9rocsolver6v33100L17syevj_cycle_pairsI19rocblas_complex_numIdEEEviPiS4_: ; @_ZN9rocsolver6v33100L17syevj_cycle_pairsI19rocblas_complex_numIdEEEviPiS4_
; %bb.0:
	s_clause 0x2
	s_load_b32 s8, s[0:1], 0x0
	s_load_b128 s[4:7], s[0:1], 0x8
	s_load_b32 s2, s[0:1], 0x24
	s_mov_b32 s3, -1
	s_wait_xcnt 0x0
	s_mov_b32 s1, exec_lo
	s_wait_kmcnt 0x0
	s_add_co_i32 s0, s8, -1
	v_cmpx_eq_u32_e32 0, v0
	s_cbranch_execz .LBB139_6
; %bb.1:
	s_lshl_b32 s9, s0, 1
	s_bfe_i32 s11, s0, 0x1001e
	s_or_b32 s10, s9, 1
	s_delay_alu instid0(SALU_CYCLE_1) | instskip(NEXT) | instid1(SALU_CYCLE_1)
	s_add_co_i32 s12, s10, s11
	s_xor_b32 s11, s12, s11
	s_delay_alu instid0(SALU_CYCLE_1) | instskip(SKIP_1) | instid1(SALU_CYCLE_2)
	s_cvt_f32_u32 s12, s11
	s_sub_co_i32 s14, 0, s11
	v_rcp_iflag_f32_e32 v1, s12
	s_load_b32 s12, s[6:7], 0x0
	v_nop
	s_delay_alu instid0(TRANS32_DEP_1) | instskip(SKIP_1) | instid1(SALU_CYCLE_3)
	v_readfirstlane_b32 s13, v1
	s_mul_f32 s13, s13, 0x4f7ffffe
	s_cvt_u32_f32 s13, s13
	s_delay_alu instid0(SALU_CYCLE_3)
	s_mul_i32 s14, s14, s13
	s_wait_kmcnt 0x0
	s_add_co_i32 s12, s12, -1
	s_mul_hi_u32 s14, s13, s14
	s_abs_i32 s15, s12
	s_add_co_i32 s13, s13, s14
	s_ashr_i32 s12, s12, 31
	s_mul_hi_u32 s13, s15, s13
	s_delay_alu instid0(SALU_CYCLE_1) | instskip(NEXT) | instid1(SALU_CYCLE_1)
	s_mul_i32 s13, s13, s11
	s_sub_co_i32 s13, s15, s13
	s_delay_alu instid0(SALU_CYCLE_1) | instskip(SKIP_2) | instid1(SALU_CYCLE_1)
	s_sub_co_i32 s14, s13, s11
	s_cmp_ge_u32 s13, s11
	s_cselect_b32 s13, s14, s13
	s_sub_co_i32 s14, s13, s11
	s_cmp_ge_u32 s13, s11
	s_cselect_b32 s11, s14, s13
	s_delay_alu instid0(SALU_CYCLE_1) | instskip(NEXT) | instid1(SALU_CYCLE_1)
	s_xor_b32 s11, s11, s12
	s_sub_co_i32 s11, s11, s12
                                        ; implicit-def: $sgpr12
	s_delay_alu instid0(SALU_CYCLE_1)
	s_bitcmp0_b32 s11, 0
	s_cbranch_scc1 .LBB139_3
; %bb.2:
	s_add_co_i32 s3, s11, 3
	s_delay_alu instid0(SALU_CYCLE_1)
	s_cmp_gt_i32 s3, s9
	s_cselect_b32 s12, s10, s3
	s_mov_b32 s3, 0
.LBB139_3:
	s_delay_alu instid0(SALU_CYCLE_1)
	s_and_not1_b32 vcc_lo, exec_lo, s3
	s_cbranch_vccnz .LBB139_5
; %bb.4:
	s_add_co_i32 s3, s11, -1
	s_cmp_gt_i32 s11, 1
	s_cselect_b32 s12, s3, 2
.LBB139_5:
	s_delay_alu instid0(SALU_CYCLE_1)
	v_dual_mov_b32 v1, 0 :: v_dual_mov_b32 v2, s12
	global_store_b32 v1, v2, s[6:7]
.LBB139_6:
	s_wait_xcnt 0x0
	s_or_b32 exec_lo, exec_lo, s1
	v_add_nc_u32_e32 v8, 1, v0
	s_mov_b32 s1, exec_lo
	s_delay_alu instid0(VALU_DEP_1)
	v_cmpx_gt_i32_e64 s8, v8
	s_cbranch_execz .LBB139_17
; %bb.7:
	s_lshl_b32 s9, s0, 1
	v_lshlrev_b32_e32 v0, 2, v0
	s_or_b32 s10, s9, 1
	s_and_b32 s11, 0xffff, s2
	s_cvt_f32_u32 s0, s10
	s_sub_co_i32 s2, 0, s10
	s_mov_b32 s1, 0
	s_delay_alu instid0(SALU_CYCLE_1) | instskip(SKIP_1) | instid1(TRANS32_DEP_1)
	v_rcp_iflag_f32_e32 v1, s0
	v_nop
	v_readfirstlane_b32 s0, v1
	v_mov_b32_e32 v1, 0
	s_mul_f32 s0, s0, 0x4f7ffffe
	s_delay_alu instid0(VALU_DEP_1) | instskip(NEXT) | instid1(SALU_CYCLE_2)
	v_add_nc_u64_e32 v[2:3], 4, v[0:1]
	s_cvt_u32_f32 s0, s0
	s_delay_alu instid0(SALU_CYCLE_3)
	s_mul_i32 s3, s2, s0
	s_lshl_b32 s2, s11, 2
	s_mul_hi_u32 s12, s0, s3
	s_mov_b32 s3, s1
	s_add_co_i32 s0, s0, s12
	s_mov_b32 s12, s1
	s_branch .LBB139_9
.LBB139_8:                              ;   in Loop: Header=BB139_9 Depth=1
	s_or_b32 exec_lo, exec_lo, s13
	v_add_nc_u32_e32 v8, s11, v8
	v_add_nc_u64_e32 v[2:3], s[2:3], v[2:3]
	global_store_b32 v[4:5], v0, off
	v_cmp_le_i32_e32 vcc_lo, s8, v8
	s_or_b32 s12, vcc_lo, s12
	s_wait_xcnt 0x0
	s_and_not1_b32 exec_lo, exec_lo, s12
	s_cbranch_execz .LBB139_17
.LBB139_9:                              ; =>This Inner Loop Header: Depth=1
	v_add_nc_u64_e32 v[6:7], s[4:5], v[2:3]
	global_load_b32 v0, v[6:7], off
	s_wait_loadcnt 0x0
	v_add_nc_u32_e32 v9, -1, v0
	s_delay_alu instid0(VALU_DEP_1) | instskip(NEXT) | instid1(VALU_DEP_1)
	v_sub_nc_u32_e32 v0, 0, v9
	v_max_i32_e32 v0, v9, v0
	s_delay_alu instid0(VALU_DEP_1) | instskip(NEXT) | instid1(VALU_DEP_1)
	v_mul_u64_e32 v[4:5], s[0:1], v[0:1]
	v_mul_lo_u32 v4, v5, s10
	s_delay_alu instid0(VALU_DEP_1) | instskip(NEXT) | instid1(VALU_DEP_1)
	v_dual_ashrrev_i32 v5, 31, v9 :: v_dual_sub_nc_u32 v0, v0, v4
	v_subrev_nc_u32_e32 v4, s10, v0
	v_cmp_le_u32_e32 vcc_lo, s10, v0
	s_delay_alu instid0(VALU_DEP_2) | instskip(NEXT) | instid1(VALU_DEP_1)
	v_cndmask_b32_e32 v0, v0, v4, vcc_lo
	v_subrev_nc_u32_e32 v4, s10, v0
	v_cmp_le_u32_e32 vcc_lo, s10, v0
	s_delay_alu instid0(VALU_DEP_2) | instskip(NEXT) | instid1(VALU_DEP_1)
	v_cndmask_b32_e32 v0, v0, v4, vcc_lo
	v_xor_b32_e32 v0, v0, v5
	s_delay_alu instid0(VALU_DEP_1) | instskip(NEXT) | instid1(VALU_DEP_1)
	v_sub_nc_u32_e32 v4, v0, v5
	v_and_b32_e32 v0, 1, v4
	s_delay_alu instid0(VALU_DEP_1) | instskip(SKIP_2) | instid1(SALU_CYCLE_1)
	v_cmp_eq_u32_e32 vcc_lo, 1, v0
                                        ; implicit-def: $vgpr0
	s_wait_xcnt 0x0
	s_and_saveexec_b32 s13, vcc_lo
	s_xor_b32 s13, exec_lo, s13
; %bb.10:                               ;   in Loop: Header=BB139_9 Depth=1
	v_add_nc_u32_e32 v0, 3, v4
                                        ; implicit-def: $vgpr4
	s_delay_alu instid0(VALU_DEP_1)
	v_cmp_lt_i32_e32 vcc_lo, s9, v0
	v_cndmask_b32_e64 v0, v0, s10, vcc_lo
; %bb.11:                               ;   in Loop: Header=BB139_9 Depth=1
	s_and_not1_saveexec_b32 s13, s13
; %bb.12:                               ;   in Loop: Header=BB139_9 Depth=1
	v_add_nc_u32_e32 v0, -1, v4
	v_cmp_lt_i32_e32 vcc_lo, 1, v4
	s_delay_alu instid0(VALU_DEP_2)
	v_cndmask_b32_e32 v0, 2, v0, vcc_lo
; %bb.13:                               ;   in Loop: Header=BB139_9 Depth=1
	s_or_b32 exec_lo, exec_lo, s13
	v_add_nc_u64_e32 v[4:5], s[6:7], v[2:3]
	global_store_b32 v[6:7], v0, off
	global_load_b32 v0, v[4:5], off
	s_wait_loadcnt 0x0
	v_add_nc_u32_e32 v9, -1, v0
	s_delay_alu instid0(VALU_DEP_1) | instskip(NEXT) | instid1(VALU_DEP_1)
	v_sub_nc_u32_e32 v0, 0, v9
	v_max_i32_e32 v0, v9, v0
	s_delay_alu instid0(VALU_DEP_1) | instskip(NEXT) | instid1(VALU_DEP_1)
	v_mul_u64_e32 v[6:7], s[0:1], v[0:1]
	v_mul_lo_u32 v6, v7, s10
	s_delay_alu instid0(VALU_DEP_1) | instskip(NEXT) | instid1(VALU_DEP_1)
	v_dual_sub_nc_u32 v0, v0, v6 :: v_dual_ashrrev_i32 v7, 31, v9
	v_subrev_nc_u32_e32 v6, s10, v0
	v_cmp_le_u32_e32 vcc_lo, s10, v0
	s_delay_alu instid0(VALU_DEP_2) | instskip(NEXT) | instid1(VALU_DEP_1)
	v_cndmask_b32_e32 v0, v0, v6, vcc_lo
	v_subrev_nc_u32_e32 v6, s10, v0
	v_cmp_le_u32_e32 vcc_lo, s10, v0
	s_delay_alu instid0(VALU_DEP_2) | instskip(NEXT) | instid1(VALU_DEP_1)
	v_cndmask_b32_e32 v0, v0, v6, vcc_lo
	v_xor_b32_e32 v0, v0, v7
	s_delay_alu instid0(VALU_DEP_1) | instskip(NEXT) | instid1(VALU_DEP_1)
	v_sub_nc_u32_e32 v6, v0, v7
	v_and_b32_e32 v0, 1, v6
	s_delay_alu instid0(VALU_DEP_1) | instskip(SKIP_2) | instid1(SALU_CYCLE_1)
	v_cmp_eq_u32_e32 vcc_lo, 1, v0
                                        ; implicit-def: $vgpr0
	s_wait_xcnt 0x0
	s_and_saveexec_b32 s13, vcc_lo
	s_xor_b32 s13, exec_lo, s13
; %bb.14:                               ;   in Loop: Header=BB139_9 Depth=1
	v_add_nc_u32_e32 v0, 3, v6
                                        ; implicit-def: $vgpr6
	s_delay_alu instid0(VALU_DEP_1)
	v_cmp_lt_i32_e32 vcc_lo, s9, v0
	v_cndmask_b32_e64 v0, v0, s10, vcc_lo
; %bb.15:                               ;   in Loop: Header=BB139_9 Depth=1
	s_and_not1_saveexec_b32 s13, s13
	s_cbranch_execz .LBB139_8
; %bb.16:                               ;   in Loop: Header=BB139_9 Depth=1
	v_add_nc_u32_e32 v0, -1, v6
	v_cmp_lt_i32_e32 vcc_lo, 1, v6
	s_delay_alu instid0(VALU_DEP_2)
	v_cndmask_b32_e32 v0, 2, v0, vcc_lo
	s_branch .LBB139_8
.LBB139_17:
	s_endpgm
	.section	.rodata,"a",@progbits
	.p2align	6, 0x0
	.amdhsa_kernel _ZN9rocsolver6v33100L17syevj_cycle_pairsI19rocblas_complex_numIdEEEviPiS4_
		.amdhsa_group_segment_fixed_size 0
		.amdhsa_private_segment_fixed_size 0
		.amdhsa_kernarg_size 280
		.amdhsa_user_sgpr_count 2
		.amdhsa_user_sgpr_dispatch_ptr 0
		.amdhsa_user_sgpr_queue_ptr 0
		.amdhsa_user_sgpr_kernarg_segment_ptr 1
		.amdhsa_user_sgpr_dispatch_id 0
		.amdhsa_user_sgpr_kernarg_preload_length 0
		.amdhsa_user_sgpr_kernarg_preload_offset 0
		.amdhsa_user_sgpr_private_segment_size 0
		.amdhsa_wavefront_size32 1
		.amdhsa_uses_dynamic_stack 0
		.amdhsa_enable_private_segment 0
		.amdhsa_system_sgpr_workgroup_id_x 1
		.amdhsa_system_sgpr_workgroup_id_y 0
		.amdhsa_system_sgpr_workgroup_id_z 0
		.amdhsa_system_sgpr_workgroup_info 0
		.amdhsa_system_vgpr_workitem_id 0
		.amdhsa_next_free_vgpr 10
		.amdhsa_next_free_sgpr 16
		.amdhsa_named_barrier_count 0
		.amdhsa_reserve_vcc 1
		.amdhsa_float_round_mode_32 0
		.amdhsa_float_round_mode_16_64 0
		.amdhsa_float_denorm_mode_32 3
		.amdhsa_float_denorm_mode_16_64 3
		.amdhsa_fp16_overflow 0
		.amdhsa_memory_ordered 1
		.amdhsa_forward_progress 1
		.amdhsa_inst_pref_size 7
		.amdhsa_round_robin_scheduling 0
		.amdhsa_exception_fp_ieee_invalid_op 0
		.amdhsa_exception_fp_denorm_src 0
		.amdhsa_exception_fp_ieee_div_zero 0
		.amdhsa_exception_fp_ieee_overflow 0
		.amdhsa_exception_fp_ieee_underflow 0
		.amdhsa_exception_fp_ieee_inexact 0
		.amdhsa_exception_int_div_zero 0
	.end_amdhsa_kernel
	.section	.text._ZN9rocsolver6v33100L17syevj_cycle_pairsI19rocblas_complex_numIdEEEviPiS4_,"axG",@progbits,_ZN9rocsolver6v33100L17syevj_cycle_pairsI19rocblas_complex_numIdEEEviPiS4_,comdat
.Lfunc_end139:
	.size	_ZN9rocsolver6v33100L17syevj_cycle_pairsI19rocblas_complex_numIdEEEviPiS4_, .Lfunc_end139-_ZN9rocsolver6v33100L17syevj_cycle_pairsI19rocblas_complex_numIdEEEviPiS4_
                                        ; -- End function
	.set _ZN9rocsolver6v33100L17syevj_cycle_pairsI19rocblas_complex_numIdEEEviPiS4_.num_vgpr, 10
	.set _ZN9rocsolver6v33100L17syevj_cycle_pairsI19rocblas_complex_numIdEEEviPiS4_.num_agpr, 0
	.set _ZN9rocsolver6v33100L17syevj_cycle_pairsI19rocblas_complex_numIdEEEviPiS4_.numbered_sgpr, 16
	.set _ZN9rocsolver6v33100L17syevj_cycle_pairsI19rocblas_complex_numIdEEEviPiS4_.num_named_barrier, 0
	.set _ZN9rocsolver6v33100L17syevj_cycle_pairsI19rocblas_complex_numIdEEEviPiS4_.private_seg_size, 0
	.set _ZN9rocsolver6v33100L17syevj_cycle_pairsI19rocblas_complex_numIdEEEviPiS4_.uses_vcc, 1
	.set _ZN9rocsolver6v33100L17syevj_cycle_pairsI19rocblas_complex_numIdEEEviPiS4_.uses_flat_scratch, 0
	.set _ZN9rocsolver6v33100L17syevj_cycle_pairsI19rocblas_complex_numIdEEEviPiS4_.has_dyn_sized_stack, 0
	.set _ZN9rocsolver6v33100L17syevj_cycle_pairsI19rocblas_complex_numIdEEEviPiS4_.has_recursion, 0
	.set _ZN9rocsolver6v33100L17syevj_cycle_pairsI19rocblas_complex_numIdEEEviPiS4_.has_indirect_call, 0
	.section	.AMDGPU.csdata,"",@progbits
; Kernel info:
; codeLenInByte = 860
; TotalNumSgprs: 18
; NumVgprs: 10
; ScratchSize: 0
; MemoryBound: 0
; FloatMode: 240
; IeeeMode: 1
; LDSByteSize: 0 bytes/workgroup (compile time only)
; SGPRBlocks: 0
; VGPRBlocks: 0
; NumSGPRsForWavesPerEU: 18
; NumVGPRsForWavesPerEU: 10
; NamedBarCnt: 0
; Occupancy: 16
; WaveLimiterHint : 0
; COMPUTE_PGM_RSRC2:SCRATCH_EN: 0
; COMPUTE_PGM_RSRC2:USER_SGPR: 2
; COMPUTE_PGM_RSRC2:TRAP_HANDLER: 0
; COMPUTE_PGM_RSRC2:TGID_X_EN: 1
; COMPUTE_PGM_RSRC2:TGID_Y_EN: 0
; COMPUTE_PGM_RSRC2:TGID_Z_EN: 0
; COMPUTE_PGM_RSRC2:TIDIG_COMP_CNT: 0
	.section	.text._ZN9rocsolver6v33100L15syevj_calc_normI19rocblas_complex_numIdEdEEviiPT0_PT_S5_Pi,"axG",@progbits,_ZN9rocsolver6v33100L15syevj_calc_normI19rocblas_complex_numIdEdEEviiPT0_PT_S5_Pi,comdat
	.globl	_ZN9rocsolver6v33100L15syevj_calc_normI19rocblas_complex_numIdEdEEviiPT0_PT_S5_Pi ; -- Begin function _ZN9rocsolver6v33100L15syevj_calc_normI19rocblas_complex_numIdEdEEviiPT0_PT_S5_Pi
	.p2align	8
	.type	_ZN9rocsolver6v33100L15syevj_calc_normI19rocblas_complex_numIdEdEEviiPT0_PT_S5_Pi,@function
_ZN9rocsolver6v33100L15syevj_calc_normI19rocblas_complex_numIdEdEEviiPT0_PT_S5_Pi: ; @_ZN9rocsolver6v33100L15syevj_calc_normI19rocblas_complex_numIdEdEEviiPT0_PT_S5_Pi
; %bb.0:
	s_load_b256 s[4:11], s[0:1], 0x8
	s_bfe_u32 s2, ttmp6, 0x40010
	s_bfe_u32 s3, ttmp6, 0x40004
	s_add_co_i32 s2, s2, 1
	s_getreg_b32 s12, hwreg(HW_REG_IB_STS2, 6, 4)
	s_mul_i32 s2, ttmp7, s2
	s_delay_alu instid0(SALU_CYCLE_1) | instskip(SKIP_2) | instid1(SALU_CYCLE_1)
	s_add_co_i32 s3, s3, s2
	s_cmp_eq_u32 s12, 0
	s_cselect_b32 s14, ttmp7, s3
	s_ashr_i32 s15, s14, 31
	s_delay_alu instid0(SALU_CYCLE_1)
	s_lshl_b64 s[2:3], s[14:15], 2
	s_wait_kmcnt 0x0
	s_add_nc_u64 s[2:3], s[10:11], s[2:3]
	s_load_b32 s12, s[2:3], 0x4
	s_wait_kmcnt 0x0
	s_cmp_lg_u32 s12, 0
	s_cbranch_scc0 .LBB140_2
.LBB140_1:
	s_endpgm
.LBB140_2:
	s_clause 0x1
	s_load_b64 s[12:13], s[0:1], 0x0
	s_load_b32 s16, s[0:1], 0x34
	v_mov_b64_e32 v[2:3], 0
	s_mov_b32 s17, exec_lo
	s_wait_kmcnt 0x0
	s_and_b32 s16, s16, 0xffff
	v_cmpx_gt_i32_e64 s12, v0
	s_cbranch_execz .LBB140_10
; %bb.3:
	s_mul_i32 s0, s12, s14
	v_dual_mov_b32 v3, 0 :: v_dual_lshlrev_b32 v2, 4, v0
	s_mul_i32 s0, s0, s12
	v_mov_b32_e32 v1, v0
	s_ashr_i32 s1, s0, 31
	s_delay_alu instid0(SALU_CYCLE_1) | instskip(NEXT) | instid1(SALU_CYCLE_1)
	s_lshl_b64 s[0:1], s[0:1], 4
	s_add_nc_u64 s[0:1], s[6:7], s[0:1]
	s_ashr_i32 s7, s12, 31
	v_add_nc_u64_e32 v[2:3], s[0:1], v[2:3]
	s_mov_b32 s1, 0
	s_mov_b32 s6, s12
	s_lshl_b32 s0, s16, 4
	s_lshl_b64 s[6:7], s[6:7], 4
	s_mov_b32 s18, s1
	s_delay_alu instid0(VALU_DEP_1)
	v_add_nc_u64_e32 v[4:5], 8, v[2:3]
	v_mov_b64_e32 v[2:3], 0
	s_branch .LBB140_6
.LBB140_4:                              ;   in Loop: Header=BB140_6 Depth=1
	s_or_b32 exec_lo, exec_lo, s20
.LBB140_5:                              ;   in Loop: Header=BB140_6 Depth=1
	s_delay_alu instid0(SALU_CYCLE_1) | instskip(SKIP_2) | instid1(VALU_DEP_2)
	s_or_b32 exec_lo, exec_lo, s19
	v_add_nc_u32_e32 v1, s16, v1
	v_add_nc_u64_e32 v[4:5], s[0:1], v[4:5]
	v_cmp_le_i32_e32 vcc_lo, s12, v1
	s_or_b32 s18, vcc_lo, s18
	s_delay_alu instid0(SALU_CYCLE_1)
	s_and_not1_b32 exec_lo, exec_lo, s18
	s_cbranch_execz .LBB140_9
.LBB140_6:                              ; =>This Loop Header: Depth=1
                                        ;     Child Loop BB140_8 Depth 2
	s_mov_b32 s19, exec_lo
	v_cmpx_ne_u32_e32 0, v1
	s_cbranch_execz .LBB140_5
; %bb.7:                                ;   in Loop: Header=BB140_6 Depth=1
	s_delay_alu instid0(VALU_DEP_3)
	v_mov_b64_e32 v[6:7], v[4:5]
	v_mov_b32_e32 v8, v1
	s_mov_b32 s20, 0
.LBB140_8:                              ;   Parent Loop BB140_6 Depth=1
                                        ; =>  This Inner Loop Header: Depth=2
	global_load_b128 v[10:13], v[6:7], off offset:-8
	v_add_nc_u32_e32 v8, -1, v8
	s_wait_xcnt 0x0
	v_add_nc_u64_e32 v[6:7], s[6:7], v[6:7]
	s_delay_alu instid0(VALU_DEP_2) | instskip(SKIP_3) | instid1(VALU_DEP_1)
	v_cmp_eq_u32_e32 vcc_lo, 0, v8
	s_or_b32 s20, vcc_lo, s20
	s_wait_loadcnt 0x0
	v_mul_f64_e32 v[12:13], v[12:13], v[12:13]
	v_fmac_f64_e32 v[12:13], v[10:11], v[10:11]
	s_delay_alu instid0(VALU_DEP_1)
	v_fmac_f64_e32 v[2:3], 2.0, v[12:13]
	s_and_not1_b32 exec_lo, exec_lo, s20
	s_cbranch_execnz .LBB140_8
	s_branch .LBB140_4
.LBB140_9:
	s_or_b32 exec_lo, exec_lo, s18
.LBB140_10:
	s_delay_alu instid0(SALU_CYCLE_1)
	s_or_b32 exec_lo, exec_lo, s17
	v_lshl_add_u32 v1, v0, 3, 0
	s_mov_b32 s0, exec_lo
	ds_store_b64 v1, v[2:3]
	s_wait_dscnt 0x0
	s_barrier_signal -1
	s_barrier_wait -1
	v_cmpx_eq_u32_e32 0, v0
	s_cbranch_execz .LBB140_1
; %bb.11:
	s_min_i32 s0, s12, s16
	s_delay_alu instid0(SALU_CYCLE_1)
	s_cmp_lt_i32 s0, 2
	s_cbranch_scc1 .LBB140_20
; %bb.12:
	s_add_co_i32 s1, s0, -2
	s_add_co_i32 s0, s0, -1
	s_cmp_lt_u32 s1, 7
	s_cbranch_scc1 .LBB140_16
; %bb.13:
	s_mov_b32 s6, 0
	s_add_co_i32 s1, 0, 8
	s_and_b32 s7, s0, -8
.LBB140_14:                             ; =>This Inner Loop Header: Depth=1
	v_mov_b32_e32 v12, s1
	s_mov_b32 s12, s6
	s_add_co_i32 s6, s6, 8
	s_add_co_i32 s1, s1, 64
	s_cmp_lg_u32 s7, s6
	ds_load_2addr_b64 v[4:7], v12 offset1:1
	ds_load_2addr_b64 v[8:11], v12 offset0:2 offset1:3
	s_wait_dscnt 0x1
	v_add_f64_e32 v[0:1], v[2:3], v[4:5]
	s_delay_alu instid0(VALU_DEP_1) | instskip(SKIP_1) | instid1(VALU_DEP_1)
	v_add_f64_e32 v[0:1], v[0:1], v[6:7]
	s_wait_dscnt 0x0
	v_add_f64_e32 v[0:1], v[0:1], v[8:9]
	s_delay_alu instid0(VALU_DEP_1) | instskip(SKIP_4) | instid1(VALU_DEP_1)
	v_add_f64_e32 v[8:9], v[0:1], v[10:11]
	ds_load_2addr_b64 v[0:3], v12 offset0:4 offset1:5
	ds_load_2addr_b64 v[4:7], v12 offset0:6 offset1:7
	s_wait_dscnt 0x1
	v_add_f64_e32 v[0:1], v[8:9], v[0:1]
	v_add_f64_e32 v[0:1], v[0:1], v[2:3]
	s_wait_dscnt 0x0
	s_delay_alu instid0(VALU_DEP_1) | instskip(NEXT) | instid1(VALU_DEP_1)
	v_add_f64_e32 v[0:1], v[0:1], v[4:5]
	v_add_f64_e32 v[2:3], v[0:1], v[6:7]
	s_cbranch_scc1 .LBB140_14
; %bb.15:
	s_add_co_i32 s1, s12, 9
	s_branch .LBB140_17
.LBB140_16:
	s_mov_b32 s1, 1
.LBB140_17:
	s_and_b32 s0, s0, 7
	s_delay_alu instid0(SALU_CYCLE_1)
	s_cmp_eq_u32 s0, 0
	s_cbranch_scc1 .LBB140_20
; %bb.18:
	s_lshl_b32 s1, s1, 3
	s_delay_alu instid0(SALU_CYCLE_1)
	s_add_co_i32 s1, s1, 0
.LBB140_19:                             ; =>This Inner Loop Header: Depth=1
	s_delay_alu instid0(SALU_CYCLE_1)
	v_mov_b32_e32 v0, s1
	s_add_co_i32 s0, s0, -1
	s_add_co_i32 s1, s1, 8
	s_cmp_lg_u32 s0, 0
	ds_load_b64 v[0:1], v0
	s_wait_dscnt 0x0
	v_add_f64_e32 v[2:3], v[2:3], v[0:1]
	s_cbranch_scc1 .LBB140_19
.LBB140_20:
	v_mov_b32_e32 v0, 0
	s_lshl_b64 s[0:1], s[14:15], 3
	s_delay_alu instid0(SALU_CYCLE_1)
	s_add_nc_u64 s[4:5], s[4:5], s[0:1]
	s_add_nc_u64 s[0:1], s[8:9], s[0:1]
	s_clause 0x1
	global_store_b64 v0, v[2:3], s[4:5]
	global_load_b64 v[4:5], v0, s[0:1]
	s_wait_loadcnt 0x0
	v_cmp_lt_f64_e32 vcc_lo, v[2:3], v[4:5]
	s_wait_xcnt 0x0
	s_and_b32 exec_lo, exec_lo, vcc_lo
	s_cbranch_execz .LBB140_1
; %bb.21:
	s_mov_b32 s0, exec_lo
	s_add_co_i32 s1, s13, 1
	v_mbcnt_lo_u32_b32 v1, s0, 0
	v_mov_b32_e32 v2, s1
	s_delay_alu instid0(VALU_DEP_2)
	v_cmp_eq_u32_e32 vcc_lo, 0, v1
	global_store_b32 v0, v2, s[2:3] offset:4
	s_and_b32 s1, exec_lo, vcc_lo
	s_wait_xcnt 0x0
	s_mov_b32 exec_lo, s1
	s_cbranch_execz .LBB140_1
; %bb.22:
	s_bcnt1_i32_b32 s0, s0
	s_delay_alu instid0(SALU_CYCLE_1)
	v_dual_mov_b32 v0, 0 :: v_dual_mov_b32 v1, s0
	global_atomic_add_u32 v0, v1, s[10:11] scope:SCOPE_DEV
	s_endpgm
	.section	.rodata,"a",@progbits
	.p2align	6, 0x0
	.amdhsa_kernel _ZN9rocsolver6v33100L15syevj_calc_normI19rocblas_complex_numIdEdEEviiPT0_PT_S5_Pi
		.amdhsa_group_segment_fixed_size 0
		.amdhsa_private_segment_fixed_size 0
		.amdhsa_kernarg_size 296
		.amdhsa_user_sgpr_count 2
		.amdhsa_user_sgpr_dispatch_ptr 0
		.amdhsa_user_sgpr_queue_ptr 0
		.amdhsa_user_sgpr_kernarg_segment_ptr 1
		.amdhsa_user_sgpr_dispatch_id 0
		.amdhsa_user_sgpr_kernarg_preload_length 0
		.amdhsa_user_sgpr_kernarg_preload_offset 0
		.amdhsa_user_sgpr_private_segment_size 0
		.amdhsa_wavefront_size32 1
		.amdhsa_uses_dynamic_stack 0
		.amdhsa_enable_private_segment 0
		.amdhsa_system_sgpr_workgroup_id_x 1
		.amdhsa_system_sgpr_workgroup_id_y 1
		.amdhsa_system_sgpr_workgroup_id_z 0
		.amdhsa_system_sgpr_workgroup_info 0
		.amdhsa_system_vgpr_workitem_id 0
		.amdhsa_next_free_vgpr 14
		.amdhsa_next_free_sgpr 21
		.amdhsa_named_barrier_count 0
		.amdhsa_reserve_vcc 1
		.amdhsa_float_round_mode_32 0
		.amdhsa_float_round_mode_16_64 0
		.amdhsa_float_denorm_mode_32 3
		.amdhsa_float_denorm_mode_16_64 3
		.amdhsa_fp16_overflow 0
		.amdhsa_memory_ordered 1
		.amdhsa_forward_progress 1
		.amdhsa_inst_pref_size 7
		.amdhsa_round_robin_scheduling 0
		.amdhsa_exception_fp_ieee_invalid_op 0
		.amdhsa_exception_fp_denorm_src 0
		.amdhsa_exception_fp_ieee_div_zero 0
		.amdhsa_exception_fp_ieee_overflow 0
		.amdhsa_exception_fp_ieee_underflow 0
		.amdhsa_exception_fp_ieee_inexact 0
		.amdhsa_exception_int_div_zero 0
	.end_amdhsa_kernel
	.section	.text._ZN9rocsolver6v33100L15syevj_calc_normI19rocblas_complex_numIdEdEEviiPT0_PT_S5_Pi,"axG",@progbits,_ZN9rocsolver6v33100L15syevj_calc_normI19rocblas_complex_numIdEdEEviiPT0_PT_S5_Pi,comdat
.Lfunc_end140:
	.size	_ZN9rocsolver6v33100L15syevj_calc_normI19rocblas_complex_numIdEdEEviiPT0_PT_S5_Pi, .Lfunc_end140-_ZN9rocsolver6v33100L15syevj_calc_normI19rocblas_complex_numIdEdEEviiPT0_PT_S5_Pi
                                        ; -- End function
	.set _ZN9rocsolver6v33100L15syevj_calc_normI19rocblas_complex_numIdEdEEviiPT0_PT_S5_Pi.num_vgpr, 14
	.set _ZN9rocsolver6v33100L15syevj_calc_normI19rocblas_complex_numIdEdEEviiPT0_PT_S5_Pi.num_agpr, 0
	.set _ZN9rocsolver6v33100L15syevj_calc_normI19rocblas_complex_numIdEdEEviiPT0_PT_S5_Pi.numbered_sgpr, 21
	.set _ZN9rocsolver6v33100L15syevj_calc_normI19rocblas_complex_numIdEdEEviiPT0_PT_S5_Pi.num_named_barrier, 0
	.set _ZN9rocsolver6v33100L15syevj_calc_normI19rocblas_complex_numIdEdEEviiPT0_PT_S5_Pi.private_seg_size, 0
	.set _ZN9rocsolver6v33100L15syevj_calc_normI19rocblas_complex_numIdEdEEviiPT0_PT_S5_Pi.uses_vcc, 1
	.set _ZN9rocsolver6v33100L15syevj_calc_normI19rocblas_complex_numIdEdEEviiPT0_PT_S5_Pi.uses_flat_scratch, 0
	.set _ZN9rocsolver6v33100L15syevj_calc_normI19rocblas_complex_numIdEdEEviiPT0_PT_S5_Pi.has_dyn_sized_stack, 0
	.set _ZN9rocsolver6v33100L15syevj_calc_normI19rocblas_complex_numIdEdEEviiPT0_PT_S5_Pi.has_recursion, 0
	.set _ZN9rocsolver6v33100L15syevj_calc_normI19rocblas_complex_numIdEdEEviiPT0_PT_S5_Pi.has_indirect_call, 0
	.section	.AMDGPU.csdata,"",@progbits
; Kernel info:
; codeLenInByte = 812
; TotalNumSgprs: 23
; NumVgprs: 14
; ScratchSize: 0
; MemoryBound: 0
; FloatMode: 240
; IeeeMode: 1
; LDSByteSize: 0 bytes/workgroup (compile time only)
; SGPRBlocks: 0
; VGPRBlocks: 0
; NumSGPRsForWavesPerEU: 23
; NumVGPRsForWavesPerEU: 14
; NamedBarCnt: 0
; Occupancy: 16
; WaveLimiterHint : 0
; COMPUTE_PGM_RSRC2:SCRATCH_EN: 0
; COMPUTE_PGM_RSRC2:USER_SGPR: 2
; COMPUTE_PGM_RSRC2:TRAP_HANDLER: 0
; COMPUTE_PGM_RSRC2:TGID_X_EN: 1
; COMPUTE_PGM_RSRC2:TGID_Y_EN: 1
; COMPUTE_PGM_RSRC2:TGID_Z_EN: 0
; COMPUTE_PGM_RSRC2:TIDIG_COMP_CNT: 0
	.section	.text._ZN9rocsolver6v33100L14syevj_finalizeI19rocblas_complex_numIdEdPS3_EEv14rocblas_esort_14rocblas_evect_iT1_iilPT0_iPiS9_lSA_PT_SA_,"axG",@progbits,_ZN9rocsolver6v33100L14syevj_finalizeI19rocblas_complex_numIdEdPS3_EEv14rocblas_esort_14rocblas_evect_iT1_iilPT0_iPiS9_lSA_PT_SA_,comdat
	.globl	_ZN9rocsolver6v33100L14syevj_finalizeI19rocblas_complex_numIdEdPS3_EEv14rocblas_esort_14rocblas_evect_iT1_iilPT0_iPiS9_lSA_PT_SA_ ; -- Begin function _ZN9rocsolver6v33100L14syevj_finalizeI19rocblas_complex_numIdEdPS3_EEv14rocblas_esort_14rocblas_evect_iT1_iilPT0_iPiS9_lSA_PT_SA_
	.p2align	8
	.type	_ZN9rocsolver6v33100L14syevj_finalizeI19rocblas_complex_numIdEdPS3_EEv14rocblas_esort_14rocblas_evect_iT1_iilPT0_iPiS9_lSA_PT_SA_,@function
_ZN9rocsolver6v33100L14syevj_finalizeI19rocblas_complex_numIdEdPS3_EEv14rocblas_esort_14rocblas_evect_iT1_iilPT0_iPiS9_lSA_PT_SA_: ; @_ZN9rocsolver6v33100L14syevj_finalizeI19rocblas_complex_numIdEdPS3_EEv14rocblas_esort_14rocblas_evect_iT1_iilPT0_iPiS9_lSA_PT_SA_
; %bb.0:
	s_clause 0x2
	s_load_b128 s[16:19], s[2:3], 0x20
	s_load_b256 s[8:15], s[2:3], 0x38
	s_load_b128 s[20:23], s[2:3], 0x58
	s_bfe_u32 s4, ttmp6, 0x40010
	v_and_b32_e32 v4, 0x3ff, v0
	s_add_co_i32 s4, s4, 1
	s_bfe_u32 s5, ttmp6, 0x40004
	s_mul_i32 s4, ttmp7, s4
	s_getreg_b32 s6, hwreg(HW_REG_IB_STS2, 6, 4)
	s_add_co_i32 s5, s5, s4
	s_cmp_eq_u32 s6, 0
	v_cmp_eq_u32_e64 s4, 0, v4
	s_cselect_b32 s28, ttmp7, s5
	s_delay_alu instid0(SALU_CYCLE_1)
	s_ashr_i32 s29, s28, 31
	s_and_saveexec_b32 s5, s4
	s_cbranch_execz .LBB141_2
; %bb.1:
	s_lshl_b64 s[6:7], s[28:29], 3
	s_lshl_b64 s[24:25], s[28:29], 2
	s_wait_kmcnt 0x0
	s_add_nc_u64 s[6:7], s[18:19], s[6:7]
	s_add_nc_u64 s[8:9], s[8:9], s[24:25]
	s_load_b64 s[18:19], s[6:7], 0x0
	s_add_nc_u64 s[14:15], s[14:15], s[24:25]
	v_mov_b32_e32 v1, 0
	s_wait_kmcnt 0x0
	v_cmp_gt_f64_e64 s26, 0x10000000, s[18:19]
	s_and_b32 s26, s26, exec_lo
	s_cselect_b32 s26, 0x100, 0
	s_delay_alu instid0(SALU_CYCLE_1) | instskip(SKIP_1) | instid1(VALU_DEP_1)
	v_ldexp_f64 v[2:3], s[18:19], s26
	s_cselect_b32 s18, 0xffffff80, 0
	v_rsq_f64_e32 v[6:7], v[2:3]
	v_cmp_class_f64_e64 vcc_lo, v[2:3], 0x260
	s_delay_alu instid0(TRANS32_DEP_1) | instskip(SKIP_1) | instid1(VALU_DEP_1)
	v_mul_f64_e32 v[8:9], v[2:3], v[6:7]
	v_mul_f64_e32 v[6:7], 0.5, v[6:7]
	v_fma_f64 v[10:11], -v[6:7], v[8:9], 0.5
	s_delay_alu instid0(VALU_DEP_1) | instskip(SKIP_1) | instid1(VALU_DEP_2)
	v_fmac_f64_e32 v[8:9], v[8:9], v[10:11]
	v_fmac_f64_e32 v[6:7], v[6:7], v[10:11]
	v_fma_f64 v[10:11], -v[8:9], v[8:9], v[2:3]
	s_delay_alu instid0(VALU_DEP_1) | instskip(NEXT) | instid1(VALU_DEP_1)
	v_fmac_f64_e32 v[8:9], v[10:11], v[6:7]
	v_fma_f64 v[10:11], -v[8:9], v[8:9], v[2:3]
	s_delay_alu instid0(VALU_DEP_1) | instskip(NEXT) | instid1(VALU_DEP_1)
	v_fmac_f64_e32 v[8:9], v[10:11], v[6:7]
	v_ldexp_f64 v[6:7], v[8:9], s18
	s_add_nc_u64 s[18:19], s[22:23], s[24:25]
	s_load_b32 s22, s[18:19], 0x4
	s_load_b32 s23, s[2:3], 0x30
	s_wait_kmcnt 0x0
	s_add_co_i32 s18, s22, -1
	s_cmp_lt_i32 s22, 1
	s_cselect_b32 s19, -1, 0
	s_delay_alu instid0(SALU_CYCLE_1) | instskip(SKIP_2) | instid1(VALU_DEP_2)
	v_cndmask_b32_e64 v5, 0, 1, s19
	s_and_b32 s19, s19, exec_lo
	s_cselect_b32 s18, s23, s18
	v_dual_cndmask_b32 v3, v7, v3 :: v_dual_cndmask_b32 v2, v6, v2
	v_mov_b32_e32 v6, s18
	s_clause 0x2
	global_store_b64 v1, v[2:3], s[6:7]
	global_store_b32 v1, v6, s[8:9]
	global_store_b32 v1, v5, s[14:15]
.LBB141_2:
	s_wait_xcnt 0x0
	s_or_b32 exec_lo, exec_lo, s5
	s_load_b96 s[24:26], s[2:3], 0x0
	s_wait_kmcnt 0x0
	s_mul_u64 s[6:7], s[12:13], s[28:29]
	s_delay_alu instid0(SALU_CYCLE_1) | instskip(NEXT) | instid1(SALU_CYCLE_1)
	s_lshl_b64 s[6:7], s[6:7], 3
	s_add_nc_u64 s[6:7], s[10:11], s[6:7]
	v_cmp_gt_i32_e64 s5, s26, v4
	s_and_saveexec_b32 s10, s5
	s_cbranch_execz .LBB141_5
; %bb.3:
	s_load_b32 s11, s[2:3], 0x74
	v_mad_u32 v2, v4, s26, v4
	s_mul_i32 s8, s26, s28
	v_mov_b32_e32 v1, v4
	s_mul_i32 s8, s8, s26
	s_add_co_i32 s12, s26, 1
	s_ashr_i32 s9, s8, 31
	s_mov_b32 s13, 0
	s_lshl_b64 s[8:9], s[8:9], 4
	s_delay_alu instid0(SALU_CYCLE_1) | instskip(SKIP_2) | instid1(SALU_CYCLE_1)
	s_add_nc_u64 s[8:9], s[20:21], s[8:9]
	s_wait_kmcnt 0x0
	s_and_b32 s11, s11, 0xffff
	s_mul_i32 s12, s12, s11
.LBB141_4:                              ; =>This Inner Loop Header: Depth=1
	v_ashrrev_i32_e32 v3, 31, v2
	s_delay_alu instid0(VALU_DEP_1)
	v_lshl_add_u64 v[6:7], v[2:3], 4, s[8:9]
	v_add_nc_u32_e32 v2, s12, v2
	global_load_b64 v[6:7], v[6:7], off
	s_wait_loadcnt 0x0
	global_store_b64 v1, v[6:7], s[6:7] scale_offset
	s_wait_xcnt 0x0
	v_add_nc_u32_e32 v1, s11, v1
	s_delay_alu instid0(VALU_DEP_1) | instskip(SKIP_1) | instid1(SALU_CYCLE_1)
	v_cmp_le_i32_e32 vcc_lo, s26, v1
	s_or_b32 s13, vcc_lo, s13
	s_and_not1_b32 exec_lo, exec_lo, s13
	s_cbranch_execnz .LBB141_4
.LBB141_5:
	s_or_b32 exec_lo, exec_lo, s10
	v_cmp_eq_u32_e32 vcc_lo, 0, v4
	s_cmp_lg_u32 s25, 0xd5
	s_mov_b32 s13, 0
	s_cselect_b32 s18, -1, 0
	s_wait_storecnt 0x0
	s_or_b32 s8, vcc_lo, s18
	s_cmp_lg_u32 s24, 0xfb
	s_barrier_signal -1
	s_cselect_b32 s9, -1, 0
	s_barrier_wait -1
	s_and_b32 s8, s9, s8
	s_cmp_gt_i32 s26, 1
	s_cselect_b32 s9, -1, 0
	s_delay_alu instid0(SALU_CYCLE_1) | instskip(NEXT) | instid1(SALU_CYCLE_1)
	s_and_b32 s8, s9, s8
	s_and_saveexec_b32 s9, s8
	s_cbranch_execz .LBB141_18
; %bb.6:
	s_load_b64 s[14:15], s[0:1], 0x4
	s_load_b128 s[8:11], s[2:3], 0x10
	v_bfe_u32 v1, v0, 10, 10
	v_bfe_u32 v0, v0, 20, 10
	v_mov_b32_e32 v2, 0
	s_add_co_i32 s19, s26, -2
	s_mov_b32 s20, 0
	s_wait_kmcnt 0x0
	v_mul_u32_u24_e32 v1, s15, v1
	s_lshr_b32 s0, s14, 16
	s_delay_alu instid0(SALU_CYCLE_1) | instskip(SKIP_1) | instid1(VALU_DEP_1)
	s_mul_i32 s0, s0, s15
	s_mul_u64 s[14:15], s[16:17], s[28:29]
	v_mad_u32 v1, s0, v4, v1
	s_add_nc_u64 s[0:1], s[2:3], 0x68
	s_lshl_b64 s[2:3], s[14:15], 4
	s_ashr_i32 s15, s10, 31
	s_mov_b32 s14, s10
	s_add_nc_u64 s[2:3], s[8:9], s[2:3]
	s_lshl_b64 s[8:9], s[14:15], 4
	s_mov_b32 s10, 0
	s_add_nc_u64 s[2:3], s[2:3], s[8:9]
	s_add_nc_u64 s[8:9], s[6:7], 8
	s_delay_alu instid0(VALU_DEP_1)
	v_add_lshl_u32 v3, v1, v0, 4
	s_branch .LBB141_9
.LBB141_7:                              ;   in Loop: Header=BB141_9 Depth=1
	s_or_b32 exec_lo, exec_lo, s14
	s_wait_storecnt_dscnt 0x0
	s_barrier_signal -1
	s_barrier_wait -1
.LBB141_8:                              ;   in Loop: Header=BB141_9 Depth=1
	s_add_co_i32 s10, s10, s11
	s_cmp_lg_u32 s12, s19
	s_add_nc_u64 s[8:9], s[8:9], 8
	s_cbranch_scc0 .LBB141_18
.LBB141_9:                              ; =>This Loop Header: Depth=1
                                        ;     Child Loop BB141_10 Depth 2
                                        ;     Child Loop BB141_17 Depth 2
	v_mov_b32_e32 v0, s20
	s_mov_b32 s12, s20
	s_add_co_i32 s20, s20, 1
	s_lshl_b64 s[14:15], s[12:13], 3
	s_mov_b64 s[16:17], s[8:9]
	global_load_b64 v[0:1], v0, s[6:7] scale_offset
	s_add_nc_u64 s[14:15], s[6:7], s[14:15]
	s_mov_b32 s22, s20
	s_mov_b32 s21, s12
.LBB141_10:                             ;   Parent Loop BB141_9 Depth=1
                                        ; =>  This Inner Loop Header: Depth=2
	global_load_b64 v[6:7], v2, s[16:17]
	s_wait_xcnt 0x0
	s_add_nc_u64 s[16:17], s[16:17], 8
	s_wait_loadcnt 0x0
	v_cmp_lt_f64_e32 vcc_lo, v[6:7], v[0:1]
	v_dual_cndmask_b32 v1, v1, v7 :: v_dual_cndmask_b32 v0, v0, v6
	s_and_b32 s23, vcc_lo, exec_lo
	s_cselect_b32 s21, s22, s21
	s_add_co_i32 s22, s22, 1
	s_delay_alu instid0(SALU_CYCLE_1)
	s_cmp_lg_u32 s26, s22
	s_cbranch_scc1 .LBB141_10
; %bb.11:                               ;   in Loop: Header=BB141_9 Depth=1
	s_cmp_eq_u32 s21, s12
	s_barrier_signal -1
	s_barrier_wait -1
	s_cbranch_scc1 .LBB141_8
; %bb.12:                               ;   in Loop: Header=BB141_9 Depth=1
	s_and_saveexec_b32 s16, s4
	s_cbranch_execz .LBB141_14
; %bb.13:                               ;   in Loop: Header=BB141_9 Depth=1
	global_load_b64 v[6:7], v2, s[14:15]
	v_mov_b32_e32 v5, s21
	s_wait_loadcnt 0x0
	s_clause 0x1
	global_store_b64 v5, v[6:7], s[6:7] scale_offset
	global_store_b64 v2, v[0:1], s[14:15]
.LBB141_14:                             ;   in Loop: Header=BB141_9 Depth=1
	s_wait_xcnt 0x0
	s_or_b32 exec_lo, exec_lo, s16
	s_delay_alu instid0(SALU_CYCLE_1)
	s_and_not1_b32 vcc_lo, exec_lo, s18
	s_cbranch_vccnz .LBB141_8
; %bb.15:                               ;   in Loop: Header=BB141_9 Depth=1
	s_and_saveexec_b32 s14, s5
	s_cbranch_execz .LBB141_7
; %bb.16:                               ;   in Loop: Header=BB141_9 Depth=1
	s_load_b32 s16, s[0:1], 0xc
	v_mov_b32_e32 v0, v4
	s_mul_i32 s15, s21, s11
	s_mov_b32 s17, 0
	s_wait_kmcnt 0x0
	s_and_b32 s16, s16, 0xffff
.LBB141_17:                             ;   Parent Loop BB141_9 Depth=1
                                        ; =>  This Inner Loop Header: Depth=2
	v_dual_add_nc_u32 v1, s15, v0 :: v_dual_add_nc_u32 v5, s10, v0
	v_add_nc_u32_e32 v0, s16, v0
	s_clause 0x1
	global_load_b128 v[6:9], v1, s[2:3] scale_offset
	global_load_b128 v[10:13], v5, s[2:3] scale_offset
	v_cmp_le_i32_e32 vcc_lo, s26, v0
	s_or_b32 s17, vcc_lo, s17
	s_wait_loadcnt 0x1
	ds_store_2addr_b64 v3, v[6:7], v[8:9] offset1:1
	s_wait_loadcnt 0x0
	s_clause 0x1
	global_store_b128 v1, v[10:13], s[2:3] scale_offset
	global_store_b128 v5, v[6:9], s[2:3] scale_offset
	s_wait_xcnt 0x0
	s_and_not1_b32 exec_lo, exec_lo, s17
	s_cbranch_execnz .LBB141_17
	s_branch .LBB141_7
.LBB141_18:
	s_endpgm
	.section	.rodata,"a",@progbits
	.p2align	6, 0x0
	.amdhsa_kernel _ZN9rocsolver6v33100L14syevj_finalizeI19rocblas_complex_numIdEdPS3_EEv14rocblas_esort_14rocblas_evect_iT1_iilPT0_iPiS9_lSA_PT_SA_
		.amdhsa_group_segment_fixed_size 16384
		.amdhsa_private_segment_fixed_size 0
		.amdhsa_kernarg_size 360
		.amdhsa_user_sgpr_count 4
		.amdhsa_user_sgpr_dispatch_ptr 1
		.amdhsa_user_sgpr_queue_ptr 0
		.amdhsa_user_sgpr_kernarg_segment_ptr 1
		.amdhsa_user_sgpr_dispatch_id 0
		.amdhsa_user_sgpr_kernarg_preload_length 0
		.amdhsa_user_sgpr_kernarg_preload_offset 0
		.amdhsa_user_sgpr_private_segment_size 0
		.amdhsa_wavefront_size32 1
		.amdhsa_uses_dynamic_stack 0
		.amdhsa_enable_private_segment 0
		.amdhsa_system_sgpr_workgroup_id_x 1
		.amdhsa_system_sgpr_workgroup_id_y 1
		.amdhsa_system_sgpr_workgroup_id_z 0
		.amdhsa_system_sgpr_workgroup_info 0
		.amdhsa_system_vgpr_workitem_id 2
		.amdhsa_next_free_vgpr 14
		.amdhsa_next_free_sgpr 30
		.amdhsa_named_barrier_count 0
		.amdhsa_reserve_vcc 1
		.amdhsa_float_round_mode_32 0
		.amdhsa_float_round_mode_16_64 0
		.amdhsa_float_denorm_mode_32 3
		.amdhsa_float_denorm_mode_16_64 3
		.amdhsa_fp16_overflow 0
		.amdhsa_memory_ordered 1
		.amdhsa_forward_progress 1
		.amdhsa_inst_pref_size 10
		.amdhsa_round_robin_scheduling 0
		.amdhsa_exception_fp_ieee_invalid_op 0
		.amdhsa_exception_fp_denorm_src 0
		.amdhsa_exception_fp_ieee_div_zero 0
		.amdhsa_exception_fp_ieee_overflow 0
		.amdhsa_exception_fp_ieee_underflow 0
		.amdhsa_exception_fp_ieee_inexact 0
		.amdhsa_exception_int_div_zero 0
	.end_amdhsa_kernel
	.section	.text._ZN9rocsolver6v33100L14syevj_finalizeI19rocblas_complex_numIdEdPS3_EEv14rocblas_esort_14rocblas_evect_iT1_iilPT0_iPiS9_lSA_PT_SA_,"axG",@progbits,_ZN9rocsolver6v33100L14syevj_finalizeI19rocblas_complex_numIdEdPS3_EEv14rocblas_esort_14rocblas_evect_iT1_iilPT0_iPiS9_lSA_PT_SA_,comdat
.Lfunc_end141:
	.size	_ZN9rocsolver6v33100L14syevj_finalizeI19rocblas_complex_numIdEdPS3_EEv14rocblas_esort_14rocblas_evect_iT1_iilPT0_iPiS9_lSA_PT_SA_, .Lfunc_end141-_ZN9rocsolver6v33100L14syevj_finalizeI19rocblas_complex_numIdEdPS3_EEv14rocblas_esort_14rocblas_evect_iT1_iilPT0_iPiS9_lSA_PT_SA_
                                        ; -- End function
	.set _ZN9rocsolver6v33100L14syevj_finalizeI19rocblas_complex_numIdEdPS3_EEv14rocblas_esort_14rocblas_evect_iT1_iilPT0_iPiS9_lSA_PT_SA_.num_vgpr, 14
	.set _ZN9rocsolver6v33100L14syevj_finalizeI19rocblas_complex_numIdEdPS3_EEv14rocblas_esort_14rocblas_evect_iT1_iilPT0_iPiS9_lSA_PT_SA_.num_agpr, 0
	.set _ZN9rocsolver6v33100L14syevj_finalizeI19rocblas_complex_numIdEdPS3_EEv14rocblas_esort_14rocblas_evect_iT1_iilPT0_iPiS9_lSA_PT_SA_.numbered_sgpr, 30
	.set _ZN9rocsolver6v33100L14syevj_finalizeI19rocblas_complex_numIdEdPS3_EEv14rocblas_esort_14rocblas_evect_iT1_iilPT0_iPiS9_lSA_PT_SA_.num_named_barrier, 0
	.set _ZN9rocsolver6v33100L14syevj_finalizeI19rocblas_complex_numIdEdPS3_EEv14rocblas_esort_14rocblas_evect_iT1_iilPT0_iPiS9_lSA_PT_SA_.private_seg_size, 0
	.set _ZN9rocsolver6v33100L14syevj_finalizeI19rocblas_complex_numIdEdPS3_EEv14rocblas_esort_14rocblas_evect_iT1_iilPT0_iPiS9_lSA_PT_SA_.uses_vcc, 1
	.set _ZN9rocsolver6v33100L14syevj_finalizeI19rocblas_complex_numIdEdPS3_EEv14rocblas_esort_14rocblas_evect_iT1_iilPT0_iPiS9_lSA_PT_SA_.uses_flat_scratch, 0
	.set _ZN9rocsolver6v33100L14syevj_finalizeI19rocblas_complex_numIdEdPS3_EEv14rocblas_esort_14rocblas_evect_iT1_iilPT0_iPiS9_lSA_PT_SA_.has_dyn_sized_stack, 0
	.set _ZN9rocsolver6v33100L14syevj_finalizeI19rocblas_complex_numIdEdPS3_EEv14rocblas_esort_14rocblas_evect_iT1_iilPT0_iPiS9_lSA_PT_SA_.has_recursion, 0
	.set _ZN9rocsolver6v33100L14syevj_finalizeI19rocblas_complex_numIdEdPS3_EEv14rocblas_esort_14rocblas_evect_iT1_iilPT0_iPiS9_lSA_PT_SA_.has_indirect_call, 0
	.section	.AMDGPU.csdata,"",@progbits
; Kernel info:
; codeLenInByte = 1172
; TotalNumSgprs: 32
; NumVgprs: 14
; ScratchSize: 0
; MemoryBound: 0
; FloatMode: 240
; IeeeMode: 1
; LDSByteSize: 16384 bytes/workgroup (compile time only)
; SGPRBlocks: 0
; VGPRBlocks: 0
; NumSGPRsForWavesPerEU: 32
; NumVGPRsForWavesPerEU: 14
; NamedBarCnt: 0
; Occupancy: 16
; WaveLimiterHint : 0
; COMPUTE_PGM_RSRC2:SCRATCH_EN: 0
; COMPUTE_PGM_RSRC2:USER_SGPR: 4
; COMPUTE_PGM_RSRC2:TRAP_HANDLER: 0
; COMPUTE_PGM_RSRC2:TGID_X_EN: 1
; COMPUTE_PGM_RSRC2:TGID_Y_EN: 1
; COMPUTE_PGM_RSRC2:TGID_Z_EN: 0
; COMPUTE_PGM_RSRC2:TIDIG_COMP_CNT: 2
	.section	.text._ZN9rocsolver6v33100L18geqr2_kernel_smallILi256E19rocblas_complex_numIdEidPS3_EEvT1_S5_T3_lS5_lPT2_lPT0_l,"axG",@progbits,_ZN9rocsolver6v33100L18geqr2_kernel_smallILi256E19rocblas_complex_numIdEidPS3_EEvT1_S5_T3_lS5_lPT2_lPT0_l,comdat
	.globl	_ZN9rocsolver6v33100L18geqr2_kernel_smallILi256E19rocblas_complex_numIdEidPS3_EEvT1_S5_T3_lS5_lPT2_lPT0_l ; -- Begin function _ZN9rocsolver6v33100L18geqr2_kernel_smallILi256E19rocblas_complex_numIdEidPS3_EEvT1_S5_T3_lS5_lPT2_lPT0_l
	.p2align	8
	.type	_ZN9rocsolver6v33100L18geqr2_kernel_smallILi256E19rocblas_complex_numIdEidPS3_EEvT1_S5_T3_lS5_lPT2_lPT0_l,@function
_ZN9rocsolver6v33100L18geqr2_kernel_smallILi256E19rocblas_complex_numIdEidPS3_EEvT1_S5_T3_lS5_lPT2_lPT0_l: ; @_ZN9rocsolver6v33100L18geqr2_kernel_smallILi256E19rocblas_complex_numIdEidPS3_EEvT1_S5_T3_lS5_lPT2_lPT0_l
; %bb.0:
	s_clause 0x4
	s_load_b256 s[4:11], s[0:1], 0x20
	s_load_b64 s[16:17], s[0:1], 0x0
	s_load_b128 s[12:15], s[0:1], 0x8
	s_load_b32 s20, s[0:1], 0x18
	s_load_b64 s[2:3], s[0:1], 0x40
	s_bfe_u32 s19, ttmp6, 0x40014
	s_lshr_b32 s18, ttmp7, 16
	s_add_co_i32 s19, s19, 1
	s_wait_xcnt 0x0
	s_bfe_u32 s0, ttmp6, 0x40008
	s_mul_i32 s19, s18, s19
	s_getreg_b32 s1, hwreg(HW_REG_IB_STS2, 6, 4)
	s_add_co_i32 s0, s0, s19
	s_cmp_eq_u32 s1, 0
	v_and_b32_e32 v1, 0x7f, v0
	s_mov_b32 s19, 0
	s_cselect_b32 s18, s18, s0
	s_delay_alu instid0(VALU_DEP_1) | instskip(SKIP_2) | instid1(SALU_CYCLE_1)
	v_dual_lshrrev_b32 v16, 7, v0 :: v_dual_lshlrev_b32 v17, 4, v1
	s_wait_kmcnt 0x0
	s_mul_u64 s[0:1], s[4:5], s[18:19]
	s_lshl_b64 s[4:5], s[0:1], 4
	v_cmp_gt_i32_e64 s0, s16, v1
	s_add_nc_u64 s[4:5], s[12:13], s[4:5]
	s_lshl_b64 s[12:13], s[14:15], 4
	s_delay_alu instid0(SALU_CYCLE_1)
	s_add_nc_u64 s[12:13], s[4:5], s[12:13]
	s_and_saveexec_b32 s4, s0
	s_cbranch_execz .LBB142_6
; %bb.1:
	v_dual_mov_b32 v5, v1 :: v_dual_lshrrev_b32 v2, 7, v0
	s_lshl_b32 s5, s16, 5
	s_lshl_b32 s14, s20, 1
	s_mov_b32 s15, s19
	s_delay_alu instid0(VALU_DEP_1) | instskip(SKIP_2) | instid1(VALU_DEP_3)
	v_mul_lo_u32 v4, s16, v2
	v_mad_u32 v3, s20, v2, v1
	v_cmp_gt_i32_e32 vcc_lo, s17, v2
	v_lshlrev_b32_e32 v4, 4, v4
	s_delay_alu instid0(VALU_DEP_1)
	v_add3_u32 v4, v4, v17, 0
	s_branch .LBB142_3
.LBB142_2:                              ;   in Loop: Header=BB142_3 Depth=1
	s_or_b32 exec_lo, exec_lo, s21
	v_add_nc_u32_e32 v5, 0x80, v5
	v_add_nc_u32_e32 v4, 0x800, v4
	;; [unrolled: 1-line block ×3, first 2 shown]
	s_delay_alu instid0(VALU_DEP_3) | instskip(SKIP_1) | instid1(SALU_CYCLE_1)
	v_cmp_le_i32_e64 s1, s16, v5
	s_or_b32 s15, s1, s15
	s_and_not1_b32 exec_lo, exec_lo, s15
	s_cbranch_execz .LBB142_6
.LBB142_3:                              ; =>This Loop Header: Depth=1
                                        ;     Child Loop BB142_5 Depth 2
	s_and_saveexec_b32 s21, vcc_lo
	s_cbranch_execz .LBB142_2
; %bb.4:                                ;   in Loop: Header=BB142_3 Depth=1
	s_delay_alu instid0(VALU_DEP_1)
	v_dual_mov_b32 v6, v3 :: v_dual_mov_b32 v7, v4
	v_mov_b32_e32 v8, v2
	s_mov_b32 s22, 0
.LBB142_5:                              ;   Parent Loop BB142_3 Depth=1
                                        ; =>  This Inner Loop Header: Depth=2
	global_load_b128 v[10:13], v6, s[12:13] scale_offset
	s_wait_xcnt 0x0
	v_dual_add_nc_u32 v8, 2, v8 :: v_dual_add_nc_u32 v6, s14, v6
	s_delay_alu instid0(VALU_DEP_1)
	v_cmp_le_i32_e64 s1, s17, v8
	s_or_b32 s22, s1, s22
	s_wait_loadcnt 0x0
	ds_store_2addr_b64 v7, v[10:11], v[12:13] offset1:1
	v_add_nc_u32_e32 v7, s5, v7
	s_and_not1_b32 exec_lo, exec_lo, s22
	s_cbranch_execnz .LBB142_5
	s_branch .LBB142_2
.LBB142_6:
	s_or_b32 exec_lo, exec_lo, s4
	s_min_i32 s21, s17, s16
	s_wait_dscnt 0x0
	s_cmp_lt_i32 s21, 1
	s_barrier_signal -1
	s_barrier_wait -1
	s_cbranch_scc1 .LBB142_43
; %bb.7:
	v_mbcnt_lo_u32_b32 v2, -1, 0
	s_mul_i32 s1, s17, s16
	s_mul_u64 s[4:5], s[8:9], s[18:19]
	s_lshl_b32 s1, s1, 4
	s_mul_u64 s[2:3], s[2:3], s[18:19]
	v_cmp_ne_u32_e32 vcc_lo, 31, v2
	v_lshl_or_b32 v22, v2, 2, 64
	s_add_co_i32 s18, s1, 0
	s_lshl_b32 s1, s17, 4
	s_lshl_b64 s[4:5], s[4:5], 3
	v_add_co_ci_u32_e64 v3, null, 0, v2, vcc_lo
	v_cmp_gt_u32_e32 vcc_lo, 30, v2
	s_lshl_b64 s[2:3], s[2:3], 4
	s_add_co_i32 s19, s18, s1
	s_delay_alu instid0(VALU_DEP_2)
	v_dual_lshlrev_b32 v18, 2, v3 :: v_dual_bitop2_b32 v3, 31, v0 bitop3:0x40
	v_cndmask_b32_e64 v4, 0, 2, vcc_lo
	v_cmp_gt_u32_e32 vcc_lo, 28, v2
	s_cmp_eq_u64 s[6:7], 0
	s_add_nc_u64 s[8:9], s[6:7], s[4:5]
	v_cmp_eq_u32_e64 s1, 0, v3
	v_add_lshl_u32 v19, v4, v2, 2
	v_cndmask_b32_e64 v5, 0, 4, vcc_lo
	v_cmp_gt_u32_e32 vcc_lo, 24, v2
	v_dual_lshrrev_b32 v3, 1, v0 :: v_dual_lshlrev_b32 v4, 4, v0
	s_cselect_b32 s22, -1, 0
	s_delay_alu instid0(VALU_DEP_3)
	v_add_lshl_u32 v20, v5, v2, 2
	v_cndmask_b32_e64 v6, 0, 8, vcc_lo
	s_cmp_lg_u64 s[6:7], 0
	s_add_nc_u64 s[10:11], s[10:11], s[2:3]
	s_cselect_b32 s7, -1, 0
	s_lshl_b32 s23, s16, 4
	v_add_lshl_u32 v21, v6, v2, 2
	v_mad_u32 v2, s16, v0, s16
	v_cmp_eq_u32_e64 s2, 0, v0
	v_add3_u32 v23, v4, 0, 16
	v_add3_u32 v25, 0, s23, v4
	v_add_nc_u32_e32 v26, s19, v3
	s_mov_b32 s15, 0
	s_add_co_i32 s24, s23, 16
	s_lshl_b32 s25, s16, 12
	s_mov_b32 s26, 0
	s_mov_b32 s27, s17
	;; [unrolled: 1-line block ×3, first 2 shown]
	v_lshl_add_u32 v24, v2, 4, 0
	v_mov_b32_e32 v2, 0
	s_mov_b32 s14, s15
	s_branch .LBB142_9
.LBB142_8:                              ;   in Loop: Header=BB142_9 Depth=1
	s_or_b32 exec_lo, exec_lo, s4
	v_dual_add_nc_u32 v23, s24, v23 :: v_dual_add_nc_u32 v24, s24, v24
	v_add_nc_u32_e32 v25, s24, v25
	s_add_co_i32 s14, s14, 1
	s_add_co_i32 s27, s27, -1
	s_add_co_i32 s28, s28, -1
	s_add_co_i32 s26, s26, s24
	s_cmp_eq_u32 s14, s21
	s_wait_dscnt 0x0
	s_barrier_signal -1
	s_barrier_wait -1
	s_cbranch_scc1 .LBB142_43
.LBB142_9:                              ; =>This Loop Header: Depth=1
                                        ;     Child Loop BB142_11 Depth 2
                                        ;     Child Loop BB142_28 Depth 2
                                        ;     Child Loop BB142_32 Depth 2
                                        ;       Child Loop BB142_34 Depth 3
                                        ;     Child Loop BB142_38 Depth 2
                                        ;       Child Loop BB142_40 Depth 3
	s_sub_co_i32 s29, s16, s14
	v_mov_b64_e32 v[4:5], 0
	s_add_co_i32 s31, s29, -1
	v_mov_b64_e32 v[6:7], 0
	v_cmp_gt_i32_e64 s3, s31, v0
	s_and_saveexec_b32 s4, s3
	s_cbranch_execz .LBB142_13
; %bb.10:                               ;   in Loop: Header=BB142_9 Depth=1
	v_mov_b64_e32 v[4:5], 0
	v_mov_b64_e32 v[6:7], 0
	v_dual_mov_b32 v3, v23 :: v_dual_mov_b32 v8, v0
	s_mov_b32 s5, 0
.LBB142_11:                             ;   Parent Loop BB142_9 Depth=1
                                        ; =>  This Inner Loop Header: Depth=2
	ds_load_2addr_b64 v[10:13], v3 offset1:1
	v_add_nc_u32_e32 v8, 0x100, v8
	v_add_nc_u32_e32 v3, 0x1000, v3
	s_delay_alu instid0(VALU_DEP_2) | instskip(SKIP_4) | instid1(VALU_DEP_2)
	v_cmp_le_i32_e32 vcc_lo, s31, v8
	s_or_b32 s5, vcc_lo, s5
	s_wait_dscnt 0x0
	v_mul_f64_e32 v[14:15], v[12:13], v[12:13]
	v_mul_f64_e32 v[28:29], v[10:11], v[12:13]
	v_fmac_f64_e32 v[14:15], v[10:11], v[10:11]
	s_delay_alu instid0(VALU_DEP_2) | instskip(NEXT) | instid1(VALU_DEP_2)
	v_fma_f64 v[10:11], v[10:11], v[12:13], -v[28:29]
	v_add_f64_e32 v[6:7], v[6:7], v[14:15]
	s_delay_alu instid0(VALU_DEP_2)
	v_add_f64_e32 v[4:5], v[4:5], v[10:11]
	s_and_not1_b32 exec_lo, exec_lo, s5
	s_cbranch_execnz .LBB142_11
; %bb.12:                               ;   in Loop: Header=BB142_9 Depth=1
	s_or_b32 exec_lo, exec_lo, s5
.LBB142_13:                             ;   in Loop: Header=BB142_9 Depth=1
	s_delay_alu instid0(SALU_CYCLE_1)
	s_or_b32 exec_lo, exec_lo, s4
	ds_bpermute_b32 v8, v18, v6
	ds_bpermute_b32 v9, v18, v7
	s_wait_dscnt 0x0
	v_add_f64_e32 v[6:7], v[6:7], v[8:9]
	ds_bpermute_b32 v8, v18, v4
	ds_bpermute_b32 v9, v18, v5
	s_wait_dscnt 0x0
	v_add_f64_e32 v[4:5], v[4:5], v[8:9]
	;; [unrolled: 4-line block ×9, first 2 shown]
	ds_bpermute_b32 v8, v22, v6
	ds_bpermute_b32 v9, v22, v7
	s_and_saveexec_b32 s4, s1
	s_cbranch_execz .LBB142_15
; %bb.14:                               ;   in Loop: Header=BB142_9 Depth=1
	s_wait_dscnt 0x0
	v_add_f64_e32 v[6:7], v[6:7], v[8:9]
	ds_store_2addr_b64 v26, v[4:5], v[6:7] offset0:2 offset1:3
.LBB142_15:                             ;   in Loop: Header=BB142_9 Depth=1
	s_or_b32 exec_lo, exec_lo, s4
	s_lshl_b32 s4, s14, 4
	s_mul_i32 s5, s14, s16
	s_add_co_i32 s30, s4, 0
	s_lshl_b32 s4, s5, 4
	s_wait_dscnt 0x0
	s_add_co_i32 s30, s30, s4
	s_barrier_signal -1
	s_barrier_wait -1
	s_and_saveexec_b32 s33, s2
	s_cbranch_execz .LBB142_26
; %bb.16:                               ;   in Loop: Header=BB142_9 Depth=1
	v_mov_b32_e32 v3, s19
	s_mov_b32 s4, 0
	s_mov_b32 s34, 0
	s_mov_b32 s5, exec_lo
	ds_load_2addr_b64 v[6:9], v3 offset0:4 offset1:6
	s_wait_dscnt 0x0
	v_add_f64_e32 v[4:5], v[4:5], v[6:7]
	s_delay_alu instid0(VALU_DEP_1) | instskip(SKIP_3) | instid1(VALU_DEP_1)
	v_add_f64_e32 v[8:9], v[4:5], v[8:9]
	ds_load_2addr_b64 v[4:7], v3 offset0:8 offset1:10
	s_wait_dscnt 0x0
	v_add_f64_e32 v[4:5], v[8:9], v[4:5]
	v_add_f64_e32 v[8:9], v[4:5], v[6:7]
	ds_load_2addr_b64 v[4:7], v3 offset0:12 offset1:14
	s_wait_dscnt 0x0
	v_dual_add_f64 v[4:5], v[8:9], v[4:5] :: v_dual_mov_b32 v8, s30
	s_delay_alu instid0(VALU_DEP_1)
	v_add_f64_e32 v[4:5], v[4:5], v[6:7]
	ds_load_b64 v[6:7], v3 offset:128
	ds_load_b64 v[8:9], v8 offset:8
	s_wait_dscnt 0x1
	v_add_f64_e32 v[14:15], v[4:5], v[6:7]
	s_wait_dscnt 0x0
	v_mul_f64_e32 v[6:7], v[8:9], v[8:9]
	s_delay_alu instid0(VALU_DEP_1) | instskip(NEXT) | instid1(VALU_DEP_1)
	v_max_num_f64_e32 v[4:5], v[14:15], v[6:7]
	v_cmpx_nlt_f64_e32 0, v[4:5]
	s_xor_b32 s5, exec_lo, s5
                                        ; implicit-def: $vgpr4_vgpr5
	s_cbranch_execz .LBB142_21
; %bb.17:                               ;   in Loop: Header=BB142_9 Depth=1
	s_mov_b32 s34, s15
	s_mov_b32 s35, s15
	;; [unrolled: 1-line block ×4, first 2 shown]
	v_mov_b64_e32 v[4:5], s[34:35]
	v_mov_b64_e32 v[6:7], s[36:37]
	v_mov_b32_e32 v3, s19
	s_and_b32 vcc_lo, exec_lo, s7
	ds_store_2addr_b64 v3, v[4:5], v[6:7] offset1:1
	s_cbranch_vccz .LBB142_19
; %bb.18:                               ;   in Loop: Header=BB142_9 Depth=1
	v_mov_b32_e32 v3, s30
	s_mov_b32 s6, -1
	ds_load_b64 v[4:5], v3
	s_branch .LBB142_20
.LBB142_19:                             ;   in Loop: Header=BB142_9 Depth=1
	s_mov_b32 s6, 0
                                        ; implicit-def: $vgpr4_vgpr5
.LBB142_20:                             ;   in Loop: Header=BB142_9 Depth=1
	s_delay_alu instid0(SALU_CYCLE_1)
	s_and_b32 s34, s6, exec_lo
                                        ; implicit-def: $vgpr6_vgpr7
                                        ; implicit-def: $vgpr14_vgpr15
                                        ; implicit-def: $vgpr8_vgpr9
.LBB142_21:                             ;   in Loop: Header=BB142_9 Depth=1
	s_or_saveexec_b32 s35, s5
	v_mov_b64_e32 v[10:11], 1.0
	v_mov_b64_e32 v[12:13], 0
	s_xor_b32 exec_lo, exec_lo, s35
	s_cbranch_execnz .LBB142_41
; %bb.22:                               ;   in Loop: Header=BB142_9 Depth=1
	s_or_b32 exec_lo, exec_lo, s35
	s_and_saveexec_b32 s5, s34
	s_cbranch_execnz .LBB142_42
.LBB142_23:                             ;   in Loop: Header=BB142_9 Depth=1
	s_or_b32 exec_lo, exec_lo, s5
	v_mov_b64_e32 v[6:7], 0
	s_and_saveexec_b32 s5, s4
	s_cbranch_execz .LBB142_25
.LBB142_24:                             ;   in Loop: Header=BB142_9 Depth=1
	v_dual_mov_b32 v3, v2 :: v_dual_mov_b32 v6, s30
	v_mov_b32_e32 v7, s19
	s_wait_dscnt 0x0
	ds_store_2addr_b64 v6, v[4:5], v[2:3] offset1:1
	ds_load_b64 v[6:7], v7 offset:8
.LBB142_25:                             ;   in Loop: Header=BB142_9 Depth=1
	s_or_b32 exec_lo, exec_lo, s5
	v_mov_b32_e32 v3, s19
	s_lshl_b64 s[4:5], s[14:15], 4
	s_wait_dscnt 0x0
	v_xor_b32_e32 v7, 0x80000000, v7
	s_add_nc_u64 s[4:5], s[10:11], s[4:5]
	ds_load_2addr_b64 v[28:31], v3 offset1:1
	s_wait_dscnt 0x0
	global_store_b128 v2, v[28:31], s[4:5]
	ds_store_b64 v3, v[12:13] offset:24
	ds_store_2addr_b64 v3, v[6:7], v[10:11] offset0:1 offset1:2
.LBB142_26:                             ;   in Loop: Header=BB142_9 Depth=1
	s_wait_xcnt 0x0
	s_or_b32 exec_lo, exec_lo, s33
	s_wait_storecnt_dscnt 0x0
	s_barrier_signal -1
	s_barrier_wait -1
	s_and_saveexec_b32 s4, s3
	s_cbranch_execz .LBB142_29
; %bb.27:                               ;   in Loop: Header=BB142_9 Depth=1
	v_mov_b32_e32 v3, v0
	s_mov_b32 s3, 0
	s_mov_b32 s5, 0
.LBB142_28:                             ;   Parent Loop BB142_9 Depth=1
                                        ; =>  This Inner Loop Header: Depth=2
	s_delay_alu instid0(SALU_CYCLE_1) | instskip(NEXT) | instid1(VALU_DEP_2)
	v_dual_mov_b32 v4, s19 :: v_dual_add_nc_u32 v14, s5, v23
	v_add_nc_u32_e32 v3, 0x100, v3
	s_addk_co_i32 s5, 0x1000
	ds_load_2addr_b64 v[4:7], v4 offset0:2 offset1:3
	ds_load_2addr_b64 v[8:11], v14 offset1:1
	v_cmp_le_i32_e32 vcc_lo, s31, v3
	s_or_b32 s3, vcc_lo, s3
	s_wait_dscnt 0x0
	v_mul_f64_e32 v[12:13], v[6:7], v[10:11]
	v_mul_f64_e32 v[10:11], v[4:5], v[10:11]
	s_delay_alu instid0(VALU_DEP_2) | instskip(NEXT) | instid1(VALU_DEP_2)
	v_fma_f64 v[4:5], v[4:5], v[8:9], -v[12:13]
	v_fmac_f64_e32 v[10:11], v[6:7], v[8:9]
	ds_store_2addr_b64 v14, v[4:5], v[10:11] offset1:1
	s_and_not1_b32 exec_lo, exec_lo, s3
	s_cbranch_execnz .LBB142_28
.LBB142_29:                             ;   in Loop: Header=BB142_9 Depth=1
	s_or_b32 exec_lo, exec_lo, s4
	s_not_b32 s3, s14
	s_mov_b32 s4, exec_lo
	s_add_co_i32 s3, s17, s3
	s_wait_dscnt 0x0
	s_barrier_signal -1
	s_barrier_wait -1
	v_cmpx_gt_i32_e64 s3, v0
	s_cbranch_execz .LBB142_35
; %bb.30:                               ;   in Loop: Header=BB142_9 Depth=1
	v_dual_mov_b32 v3, v24 :: v_dual_mov_b32 v8, v0
	s_cmp_gt_i32 s29, 0
	s_mov_b32 s5, 0
	s_cselect_b32 s6, -1, 0
	s_branch .LBB142_32
.LBB142_31:                             ;   in Loop: Header=BB142_32 Depth=2
	v_dual_mov_b32 v9, s19 :: v_dual_add_nc_u32 v3, s25, v3
	ds_load_2addr_b64 v[10:13], v9 offset1:1
	s_wait_dscnt 0x0
	v_mul_f64_e32 v[14:15], v[4:5], v[12:13]
	v_mul_f64_e32 v[12:13], v[6:7], v[12:13]
	s_delay_alu instid0(VALU_DEP_2) | instskip(NEXT) | instid1(VALU_DEP_2)
	v_fma_f64 v[6:7], v[6:7], v[10:11], -v[14:15]
	v_fmac_f64_e32 v[12:13], v[4:5], v[10:11]
	v_lshl_add_u32 v4, v8, 4, s18
	v_add_nc_u32_e32 v8, 0x100, v8
	s_delay_alu instid0(VALU_DEP_1)
	v_cmp_le_i32_e32 vcc_lo, s3, v8
	s_or_b32 s5, vcc_lo, s5
	ds_store_2addr_b64 v4, v[6:7], v[12:13] offset1:1
	s_and_not1_b32 exec_lo, exec_lo, s5
	s_cbranch_execz .LBB142_35
.LBB142_32:                             ;   Parent Loop BB142_9 Depth=1
                                        ; =>  This Loop Header: Depth=2
                                        ;       Child Loop BB142_34 Depth 3
	v_mov_b64_e32 v[4:5], 0
	v_mov_b64_e32 v[6:7], 0
	s_and_not1_b32 vcc_lo, exec_lo, s6
	s_cbranch_vccnz .LBB142_31
; %bb.33:                               ;   in Loop: Header=BB142_32 Depth=2
	v_mov_b32_e32 v9, v3
	s_mov_b32 s31, s26
	s_mov_b32 s33, s28
.LBB142_34:                             ;   Parent Loop BB142_9 Depth=1
                                        ;     Parent Loop BB142_32 Depth=2
                                        ; =>    This Inner Loop Header: Depth=3
	v_mov_b32_e32 v14, s31
	s_add_co_i32 s33, s33, -1
	s_add_co_i32 s31, s31, 16
	s_cmp_eq_u32 s33, 0
	ds_load_2addr_b64 v[10:13], v9 offset1:1
	ds_load_2addr_b64 v[28:31], v14 offset1:1
	v_add_nc_u32_e32 v9, 16, v9
	s_wait_dscnt 0x0
	v_mul_f64_e32 v[14:15], v[30:31], v[12:13]
	v_mul_f64_e32 v[30:31], v[30:31], v[10:11]
	s_delay_alu instid0(VALU_DEP_2) | instskip(NEXT) | instid1(VALU_DEP_2)
	v_fmac_f64_e32 v[14:15], v[28:29], v[10:11]
	v_fma_f64 v[10:11], v[28:29], v[12:13], -v[30:31]
	s_delay_alu instid0(VALU_DEP_2) | instskip(NEXT) | instid1(VALU_DEP_2)
	v_add_f64_e32 v[6:7], v[6:7], v[14:15]
	v_add_f64_e32 v[4:5], v[4:5], v[10:11]
	s_cbranch_scc0 .LBB142_34
	s_branch .LBB142_31
.LBB142_35:                             ;   in Loop: Header=BB142_9 Depth=1
	s_or_b32 exec_lo, exec_lo, s4
	s_delay_alu instid0(SALU_CYCLE_1)
	s_mov_b32 s4, exec_lo
	s_wait_dscnt 0x0
	s_barrier_signal -1
	s_barrier_wait -1
	v_cmpx_gt_i32_e64 s29, v0
	s_cbranch_execz .LBB142_8
; %bb.36:                               ;   in Loop: Header=BB142_9 Depth=1
	v_dual_mov_b32 v3, v25 :: v_dual_mov_b32 v4, v0
	s_cmp_gt_i32 s3, 0
	s_mov_b32 s3, 0
	s_cselect_b32 s5, -1, 0
	s_branch .LBB142_38
.LBB142_37:                             ;   in Loop: Header=BB142_38 Depth=2
	v_add_nc_u32_e32 v4, 0x100, v4
	v_add_nc_u32_e32 v3, 0x1000, v3
	s_delay_alu instid0(VALU_DEP_2) | instskip(SKIP_1) | instid1(SALU_CYCLE_1)
	v_cmp_le_i32_e32 vcc_lo, s29, v4
	s_or_b32 s3, vcc_lo, s3
	s_and_not1_b32 exec_lo, exec_lo, s3
	s_cbranch_execz .LBB142_8
.LBB142_38:                             ;   Parent Loop BB142_9 Depth=1
                                        ; =>  This Loop Header: Depth=2
                                        ;       Child Loop BB142_40 Depth 3
	s_and_not1_b32 vcc_lo, exec_lo, s5
	s_cbranch_vccnz .LBB142_37
; %bb.39:                               ;   in Loop: Header=BB142_38 Depth=2
	v_lshl_add_u32 v5, v4, 4, s30
	v_mov_b32_e32 v6, v3
	s_mov_b32 s6, 1
	s_mov_b32 s31, s18
.LBB142_40:                             ;   Parent Loop BB142_9 Depth=1
                                        ;     Parent Loop BB142_38 Depth=2
                                        ; =>    This Inner Loop Header: Depth=3
	s_delay_alu instid0(SALU_CYCLE_1)
	v_mov_b32_e32 v7, s31
	s_add_co_i32 s6, s6, 1
	s_add_co_i32 s31, s31, 16
	s_cmp_eq_u32 s27, s6
	ds_load_2addr_b64 v[8:11], v5 offset1:1
	ds_load_2addr_b64 v[12:15], v7 offset1:1
	s_wait_dscnt 0x0
	v_mul_f64_e32 v[28:29], v[14:15], v[10:11]
	v_mul_f64_e32 v[30:31], v[12:13], v[10:11]
	s_delay_alu instid0(VALU_DEP_2) | instskip(NEXT) | instid1(VALU_DEP_2)
	v_fma_f64 v[12:13], v[12:13], v[8:9], -v[28:29]
	v_fmac_f64_e32 v[30:31], v[14:15], v[8:9]
	ds_load_2addr_b64 v[8:11], v6 offset1:1
	s_wait_dscnt 0x0
	v_add_f64_e64 v[8:9], v[8:9], -v[12:13]
	v_add_f64_e64 v[10:11], v[10:11], -v[30:31]
	ds_store_2addr_b64 v6, v[8:9], v[10:11] offset1:1
	v_add_nc_u32_e32 v6, s23, v6
	s_cbranch_scc0 .LBB142_40
	s_branch .LBB142_37
.LBB142_41:                             ;   in Loop: Header=BB142_9 Depth=1
	v_mov_b32_e32 v3, s30
	ds_load_b64 v[10:11], v3
	s_wait_dscnt 0x0
	v_fma_f64 v[4:5], v[10:11], v[10:11], v[6:7]
	s_delay_alu instid0(VALU_DEP_1) | instskip(NEXT) | instid1(VALU_DEP_1)
	v_add_f64_e32 v[4:5], v[14:15], v[4:5]
	v_cmp_gt_f64_e32 vcc_lo, 0x10000000, v[4:5]
	v_cndmask_b32_e64 v3, 0, 0x100, vcc_lo
	s_delay_alu instid0(VALU_DEP_1) | instskip(SKIP_1) | instid1(VALU_DEP_2)
	v_ldexp_f64 v[4:5], v[4:5], v3
	v_cndmask_b32_e64 v3, 0, 0xffffff80, vcc_lo
	v_rsq_f64_e32 v[12:13], v[4:5]
	v_cmp_class_f64_e64 vcc_lo, v[4:5], 0x260
	s_delay_alu instid0(TRANS32_DEP_1) | instskip(SKIP_1) | instid1(VALU_DEP_1)
	v_mul_f64_e32 v[14:15], v[4:5], v[12:13]
	v_mul_f64_e32 v[12:13], 0.5, v[12:13]
	v_fma_f64 v[28:29], -v[12:13], v[14:15], 0.5
	s_delay_alu instid0(VALU_DEP_1) | instskip(SKIP_1) | instid1(VALU_DEP_2)
	v_fmac_f64_e32 v[14:15], v[14:15], v[28:29]
	v_fmac_f64_e32 v[12:13], v[12:13], v[28:29]
	v_fma_f64 v[28:29], -v[14:15], v[14:15], v[4:5]
	s_delay_alu instid0(VALU_DEP_1) | instskip(NEXT) | instid1(VALU_DEP_1)
	v_fmac_f64_e32 v[14:15], v[28:29], v[12:13]
	v_fma_f64 v[28:29], -v[14:15], v[14:15], v[4:5]
	s_delay_alu instid0(VALU_DEP_1) | instskip(NEXT) | instid1(VALU_DEP_1)
	v_fmac_f64_e32 v[14:15], v[28:29], v[12:13]
	v_ldexp_f64 v[12:13], v[14:15], v3
	s_delay_alu instid0(VALU_DEP_1) | instskip(SKIP_1) | instid1(VALU_DEP_2)
	v_dual_cndmask_b32 v4, v12, v4 :: v_dual_cndmask_b32 v3, v13, v5
	v_cmp_le_f64_e32 vcc_lo, 0, v[10:11]
	v_xor_b32_e32 v5, 0x80000000, v3
	s_delay_alu instid0(VALU_DEP_1) | instskip(NEXT) | instid1(VALU_DEP_1)
	v_dual_cndmask_b32 v5, v3, v5, vcc_lo :: v_dual_mov_b32 v3, s19
	v_add_f64_e64 v[12:13], v[10:11], -v[4:5]
	v_add_f64_e64 v[14:15], v[4:5], -v[10:11]
	s_delay_alu instid0(VALU_DEP_2) | instskip(NEXT) | instid1(VALU_DEP_2)
	v_fmac_f64_e32 v[6:7], v[12:13], v[12:13]
	v_div_scale_f64 v[30:31], null, v[4:5], v[4:5], v[14:15]
	s_delay_alu instid0(VALU_DEP_2) | instskip(NEXT) | instid1(VALU_DEP_2)
	v_div_scale_f64 v[28:29], null, v[6:7], v[6:7], -v[8:9]
	v_rcp_f64_e32 v[38:39], v[30:31]
	v_div_scale_f64 v[10:11], null, v[6:7], v[6:7], v[12:13]
	v_div_scale_f64 v[50:51], vcc_lo, v[12:13], v[6:7], v[12:13]
	s_delay_alu instid0(VALU_DEP_3) | instskip(NEXT) | instid1(VALU_DEP_2)
	v_rcp_f64_e32 v[36:37], v[28:29]
	v_rcp_f64_e32 v[34:35], v[10:11]
	s_delay_alu instid0(TRANS32_DEP_3) | instskip(NEXT) | instid1(TRANS32_DEP_2)
	v_fma_f64 v[46:47], -v[30:31], v[38:39], 1.0
	v_fma_f64 v[44:45], -v[28:29], v[36:37], 1.0
	s_delay_alu instid0(VALU_DEP_2) | instskip(NEXT) | instid1(TRANS32_DEP_1)
	v_fmac_f64_e32 v[38:39], v[38:39], v[46:47]
	v_fma_f64 v[42:43], -v[10:11], v[34:35], 1.0
	s_delay_alu instid0(VALU_DEP_3) | instskip(NEXT) | instid1(VALU_DEP_3)
	v_fmac_f64_e32 v[36:37], v[36:37], v[44:45]
	v_fma_f64 v[46:47], -v[30:31], v[38:39], 1.0
	s_delay_alu instid0(VALU_DEP_3) | instskip(NEXT) | instid1(VALU_DEP_3)
	;; [unrolled: 3-line block ×3, first 2 shown]
	v_fmac_f64_e32 v[38:39], v[38:39], v[46:47]
	v_fma_f64 v[42:43], -v[10:11], v[34:35], 1.0
	s_delay_alu instid0(VALU_DEP_3) | instskip(SKIP_1) | instid1(VALU_DEP_3)
	v_fmac_f64_e32 v[36:37], v[36:37], v[44:45]
	v_div_scale_f64 v[44:45], s5, v[14:15], v[4:5], v[14:15]
	v_fmac_f64_e32 v[34:35], v[34:35], v[42:43]
	v_div_scale_f64 v[42:43], s4, -v[8:9], v[6:7], -v[8:9]
	s_delay_alu instid0(VALU_DEP_3) | instskip(SKIP_2) | instid1(VALU_DEP_4)
	v_mul_f64_e32 v[54:55], v[44:45], v[38:39]
	v_div_scale_f64 v[32:33], null, v[4:5], v[4:5], -v[8:9]
	v_div_scale_f64 v[46:47], s6, -v[8:9], v[4:5], -v[8:9]
	v_mul_f64_e32 v[52:53], v[42:43], v[36:37]
	s_delay_alu instid0(VALU_DEP_4) | instskip(NEXT) | instid1(VALU_DEP_4)
	v_fma_f64 v[30:31], -v[30:31], v[54:55], v[44:45]
	v_rcp_f64_e32 v[40:41], v[32:33]
	s_delay_alu instid0(VALU_DEP_2) | instskip(NEXT) | instid1(TRANS32_DEP_1)
	v_fma_f64 v[28:29], -v[28:29], v[52:53], v[42:43]
	v_fma_f64 v[48:49], -v[32:33], v[40:41], 1.0
	s_delay_alu instid0(VALU_DEP_1) | instskip(NEXT) | instid1(VALU_DEP_1)
	v_fmac_f64_e32 v[40:41], v[40:41], v[48:49]
	v_fma_f64 v[48:49], -v[32:33], v[40:41], 1.0
	s_delay_alu instid0(VALU_DEP_1) | instskip(SKIP_1) | instid1(VALU_DEP_2)
	v_fmac_f64_e32 v[40:41], v[40:41], v[48:49]
	v_mul_f64_e32 v[48:49], v[50:51], v[34:35]
	v_mul_f64_e32 v[56:57], v[46:47], v[40:41]
	s_delay_alu instid0(VALU_DEP_2) | instskip(NEXT) | instid1(VALU_DEP_2)
	v_fma_f64 v[10:11], -v[10:11], v[48:49], v[50:51]
	v_fma_f64 v[32:33], -v[32:33], v[56:57], v[46:47]
	s_delay_alu instid0(VALU_DEP_2)
	v_div_fmas_f64 v[10:11], v[10:11], v[34:35], v[48:49]
	s_mov_b32 vcc_lo, s4
	s_and_b32 s4, s22, exec_lo
	v_div_fmas_f64 v[28:29], v[28:29], v[36:37], v[52:53]
	s_mov_b32 vcc_lo, s5
	s_and_not1_b32 s5, s34, exec_lo
	v_div_fmas_f64 v[30:31], v[30:31], v[38:39], v[54:55]
	s_mov_b32 vcc_lo, s6
	s_and_b32 s6, s7, exec_lo
	s_delay_alu instid0(SALU_CYCLE_1) | instskip(NEXT) | instid1(VALU_DEP_4)
	s_or_b32 s34, s5, s6
	v_div_fmas_f64 v[32:33], v[32:33], v[40:41], v[56:57]
	s_delay_alu instid0(VALU_DEP_4) | instskip(NEXT) | instid1(VALU_DEP_4)
	v_div_fixup_f64 v[10:11], v[10:11], v[6:7], v[12:13]
	v_div_fixup_f64 v[12:13], v[28:29], v[6:7], -v[8:9]
	s_delay_alu instid0(VALU_DEP_4) | instskip(NEXT) | instid1(VALU_DEP_4)
	v_div_fixup_f64 v[14:15], v[30:31], v[4:5], v[14:15]
	v_div_fixup_f64 v[30:31], v[32:33], v[4:5], -v[8:9]
	ds_store_2addr_b64 v3, v[14:15], v[30:31] offset1:1
	s_or_b32 exec_lo, exec_lo, s35
	s_and_saveexec_b32 s5, s34
	s_cbranch_execz .LBB142_23
.LBB142_42:                             ;   in Loop: Header=BB142_9 Depth=1
	s_lshl_b64 s[34:35], s[14:15], 3
	s_or_b32 s4, s4, exec_lo
	s_add_nc_u64 s[34:35], s[8:9], s[34:35]
	s_wait_dscnt 0x0
	global_store_b64 v2, v[4:5], s[34:35]
	s_wait_xcnt 0x0
	v_mov_b64_e32 v[4:5], 1.0
	s_or_b32 exec_lo, exec_lo, s5
	v_mov_b64_e32 v[6:7], 0
	s_and_saveexec_b32 s5, s4
	s_cbranch_execnz .LBB142_24
	s_branch .LBB142_25
.LBB142_43:
	s_and_saveexec_b32 s1, s0
	s_cbranch_execz .LBB142_49
; %bb.44:
	v_mul_lo_u32 v2, s16, v16
	v_mad_u32 v0, s20, v16, v1
	s_lshl_b32 s1, s20, 1
	s_mov_b32 s2, 0
	s_lshl_b32 s3, s16, 5
	v_cmp_gt_i32_e32 vcc_lo, s17, v16
	s_delay_alu instid0(VALU_DEP_3) | instskip(NEXT) | instid1(VALU_DEP_1)
	v_lshlrev_b32_e32 v2, 4, v2
	v_add3_u32 v2, v2, v17, 0
	s_branch .LBB142_46
.LBB142_45:                             ;   in Loop: Header=BB142_46 Depth=1
	s_or_b32 exec_lo, exec_lo, s4
	v_add_nc_u32_e32 v1, 0x80, v1
	v_add_nc_u32_e32 v0, 0x80, v0
	;; [unrolled: 1-line block ×3, first 2 shown]
	s_delay_alu instid0(VALU_DEP_3) | instskip(SKIP_1) | instid1(SALU_CYCLE_1)
	v_cmp_le_i32_e64 s0, s16, v1
	s_or_b32 s2, s0, s2
	s_and_not1_b32 exec_lo, exec_lo, s2
	s_cbranch_execz .LBB142_49
.LBB142_46:                             ; =>This Loop Header: Depth=1
                                        ;     Child Loop BB142_48 Depth 2
	s_and_saveexec_b32 s4, vcc_lo
	s_cbranch_execz .LBB142_45
; %bb.47:                               ;   in Loop: Header=BB142_46 Depth=1
	s_delay_alu instid0(VALU_DEP_1)
	v_dual_mov_b32 v3, v2 :: v_dual_mov_b32 v4, v0
	v_mov_b32_e32 v5, v16
	s_mov_b32 s5, 0
.LBB142_48:                             ;   Parent Loop BB142_46 Depth=1
                                        ; =>  This Inner Loop Header: Depth=2
	ds_load_2addr_b64 v[6:9], v3 offset1:1
	v_dual_add_nc_u32 v5, 2, v5 :: v_dual_add_nc_u32 v3, s3, v3
	s_delay_alu instid0(VALU_DEP_1)
	v_cmp_le_i32_e64 s0, s17, v5
	s_or_b32 s5, s0, s5
	s_wait_dscnt 0x0
	global_store_b128 v4, v[6:9], s[12:13] scale_offset
	s_wait_xcnt 0x0
	v_add_nc_u32_e32 v4, s1, v4
	s_and_not1_b32 exec_lo, exec_lo, s5
	s_cbranch_execnz .LBB142_48
	s_branch .LBB142_45
.LBB142_49:
	s_endpgm
	.section	.rodata,"a",@progbits
	.p2align	6, 0x0
	.amdhsa_kernel _ZN9rocsolver6v33100L18geqr2_kernel_smallILi256E19rocblas_complex_numIdEidPS3_EEvT1_S5_T3_lS5_lPT2_lPT0_l
		.amdhsa_group_segment_fixed_size 0
		.amdhsa_private_segment_fixed_size 0
		.amdhsa_kernarg_size 72
		.amdhsa_user_sgpr_count 2
		.amdhsa_user_sgpr_dispatch_ptr 0
		.amdhsa_user_sgpr_queue_ptr 0
		.amdhsa_user_sgpr_kernarg_segment_ptr 1
		.amdhsa_user_sgpr_dispatch_id 0
		.amdhsa_user_sgpr_kernarg_preload_length 0
		.amdhsa_user_sgpr_kernarg_preload_offset 0
		.amdhsa_user_sgpr_private_segment_size 0
		.amdhsa_wavefront_size32 1
		.amdhsa_uses_dynamic_stack 0
		.amdhsa_enable_private_segment 0
		.amdhsa_system_sgpr_workgroup_id_x 1
		.amdhsa_system_sgpr_workgroup_id_y 0
		.amdhsa_system_sgpr_workgroup_id_z 1
		.amdhsa_system_sgpr_workgroup_info 0
		.amdhsa_system_vgpr_workitem_id 0
		.amdhsa_next_free_vgpr 58
		.amdhsa_next_free_sgpr 38
		.amdhsa_named_barrier_count 0
		.amdhsa_reserve_vcc 1
		.amdhsa_float_round_mode_32 0
		.amdhsa_float_round_mode_16_64 0
		.amdhsa_float_denorm_mode_32 3
		.amdhsa_float_denorm_mode_16_64 3
		.amdhsa_fp16_overflow 0
		.amdhsa_memory_ordered 1
		.amdhsa_forward_progress 1
		.amdhsa_inst_pref_size 25
		.amdhsa_round_robin_scheduling 0
		.amdhsa_exception_fp_ieee_invalid_op 0
		.amdhsa_exception_fp_denorm_src 0
		.amdhsa_exception_fp_ieee_div_zero 0
		.amdhsa_exception_fp_ieee_overflow 0
		.amdhsa_exception_fp_ieee_underflow 0
		.amdhsa_exception_fp_ieee_inexact 0
		.amdhsa_exception_int_div_zero 0
	.end_amdhsa_kernel
	.section	.text._ZN9rocsolver6v33100L18geqr2_kernel_smallILi256E19rocblas_complex_numIdEidPS3_EEvT1_S5_T3_lS5_lPT2_lPT0_l,"axG",@progbits,_ZN9rocsolver6v33100L18geqr2_kernel_smallILi256E19rocblas_complex_numIdEidPS3_EEvT1_S5_T3_lS5_lPT2_lPT0_l,comdat
.Lfunc_end142:
	.size	_ZN9rocsolver6v33100L18geqr2_kernel_smallILi256E19rocblas_complex_numIdEidPS3_EEvT1_S5_T3_lS5_lPT2_lPT0_l, .Lfunc_end142-_ZN9rocsolver6v33100L18geqr2_kernel_smallILi256E19rocblas_complex_numIdEidPS3_EEvT1_S5_T3_lS5_lPT2_lPT0_l
                                        ; -- End function
	.set _ZN9rocsolver6v33100L18geqr2_kernel_smallILi256E19rocblas_complex_numIdEidPS3_EEvT1_S5_T3_lS5_lPT2_lPT0_l.num_vgpr, 58
	.set _ZN9rocsolver6v33100L18geqr2_kernel_smallILi256E19rocblas_complex_numIdEidPS3_EEvT1_S5_T3_lS5_lPT2_lPT0_l.num_agpr, 0
	.set _ZN9rocsolver6v33100L18geqr2_kernel_smallILi256E19rocblas_complex_numIdEidPS3_EEvT1_S5_T3_lS5_lPT2_lPT0_l.numbered_sgpr, 38
	.set _ZN9rocsolver6v33100L18geqr2_kernel_smallILi256E19rocblas_complex_numIdEidPS3_EEvT1_S5_T3_lS5_lPT2_lPT0_l.num_named_barrier, 0
	.set _ZN9rocsolver6v33100L18geqr2_kernel_smallILi256E19rocblas_complex_numIdEidPS3_EEvT1_S5_T3_lS5_lPT2_lPT0_l.private_seg_size, 0
	.set _ZN9rocsolver6v33100L18geqr2_kernel_smallILi256E19rocblas_complex_numIdEidPS3_EEvT1_S5_T3_lS5_lPT2_lPT0_l.uses_vcc, 1
	.set _ZN9rocsolver6v33100L18geqr2_kernel_smallILi256E19rocblas_complex_numIdEidPS3_EEvT1_S5_T3_lS5_lPT2_lPT0_l.uses_flat_scratch, 0
	.set _ZN9rocsolver6v33100L18geqr2_kernel_smallILi256E19rocblas_complex_numIdEidPS3_EEvT1_S5_T3_lS5_lPT2_lPT0_l.has_dyn_sized_stack, 0
	.set _ZN9rocsolver6v33100L18geqr2_kernel_smallILi256E19rocblas_complex_numIdEidPS3_EEvT1_S5_T3_lS5_lPT2_lPT0_l.has_recursion, 0
	.set _ZN9rocsolver6v33100L18geqr2_kernel_smallILi256E19rocblas_complex_numIdEidPS3_EEvT1_S5_T3_lS5_lPT2_lPT0_l.has_indirect_call, 0
	.section	.AMDGPU.csdata,"",@progbits
; Kernel info:
; codeLenInByte = 3100
; TotalNumSgprs: 40
; NumVgprs: 58
; ScratchSize: 0
; MemoryBound: 0
; FloatMode: 240
; IeeeMode: 1
; LDSByteSize: 0 bytes/workgroup (compile time only)
; SGPRBlocks: 0
; VGPRBlocks: 3
; NumSGPRsForWavesPerEU: 40
; NumVGPRsForWavesPerEU: 58
; NamedBarCnt: 0
; Occupancy: 16
; WaveLimiterHint : 0
; COMPUTE_PGM_RSRC2:SCRATCH_EN: 0
; COMPUTE_PGM_RSRC2:USER_SGPR: 2
; COMPUTE_PGM_RSRC2:TRAP_HANDLER: 0
; COMPUTE_PGM_RSRC2:TGID_X_EN: 1
; COMPUTE_PGM_RSRC2:TGID_Y_EN: 0
; COMPUTE_PGM_RSRC2:TGID_Z_EN: 1
; COMPUTE_PGM_RSRC2:TIDIG_COMP_CNT: 0
	.section	.text._ZN9rocsolver6v33100L16reset_batch_infoI19rocblas_complex_numIdEiiPS3_EEvT2_lT0_T1_,"axG",@progbits,_ZN9rocsolver6v33100L16reset_batch_infoI19rocblas_complex_numIdEiiPS3_EEvT2_lT0_T1_,comdat
	.globl	_ZN9rocsolver6v33100L16reset_batch_infoI19rocblas_complex_numIdEiiPS3_EEvT2_lT0_T1_ ; -- Begin function _ZN9rocsolver6v33100L16reset_batch_infoI19rocblas_complex_numIdEiiPS3_EEvT2_lT0_T1_
	.p2align	8
	.type	_ZN9rocsolver6v33100L16reset_batch_infoI19rocblas_complex_numIdEiiPS3_EEvT2_lT0_T1_,@function
_ZN9rocsolver6v33100L16reset_batch_infoI19rocblas_complex_numIdEiiPS3_EEvT2_lT0_T1_: ; @_ZN9rocsolver6v33100L16reset_batch_infoI19rocblas_complex_numIdEiiPS3_EEvT2_lT0_T1_
; %bb.0:
	s_clause 0x1
	s_load_b32 s5, s[0:1], 0x24
	s_load_b64 s[2:3], s[0:1], 0x10
	s_bfe_u32 s4, ttmp6, 0x4000c
	s_and_b32 s6, ttmp6, 15
	s_add_co_i32 s7, s4, 1
	s_getreg_b32 s4, hwreg(HW_REG_IB_STS2, 6, 4)
	s_mul_i32 s7, ttmp9, s7
	s_delay_alu instid0(SALU_CYCLE_1) | instskip(SKIP_4) | instid1(SALU_CYCLE_1)
	s_add_co_i32 s6, s6, s7
	s_wait_kmcnt 0x0
	s_and_b32 s5, s5, 0xffff
	s_cmp_eq_u32 s4, 0
	s_cselect_b32 s6, ttmp9, s6
	v_mad_u32 v0, s6, s5, v0
	s_delay_alu instid0(VALU_DEP_1)
	v_cmp_gt_i32_e32 vcc_lo, s2, v0
	s_and_saveexec_b32 s2, vcc_lo
	s_cbranch_execz .LBB143_2
; %bb.1:
	v_cvt_f64_i32_e32 v[2:3], s3
	s_load_b128 s[0:3], s[0:1], 0x0
	s_bfe_u32 s5, ttmp6, 0x40010
	s_bfe_u32 s6, ttmp6, 0x40004
	s_add_co_i32 s5, s5, 1
	v_mov_b32_e32 v4, 0
	s_mul_i32 s5, ttmp7, s5
	s_delay_alu instid0(SALU_CYCLE_1) | instskip(SKIP_1) | instid1(VALU_DEP_1)
	s_add_co_i32 s6, s6, s5
	s_cmp_eq_u32 s4, 0
	v_mov_b32_e32 v5, v4
	s_cselect_b32 s4, ttmp7, s6
	s_delay_alu instid0(SALU_CYCLE_1) | instskip(SKIP_2) | instid1(SALU_CYCLE_1)
	s_ashr_i32 s5, s4, 31
	s_wait_kmcnt 0x0
	s_mul_u64 s[2:3], s[2:3], s[4:5]
	s_lshl_b64 s[2:3], s[2:3], 4
	s_delay_alu instid0(SALU_CYCLE_1)
	s_add_nc_u64 s[0:1], s[0:1], s[2:3]
	global_store_b128 v0, v[2:5], s[0:1] scale_offset
.LBB143_2:
	s_endpgm
	.section	.rodata,"a",@progbits
	.p2align	6, 0x0
	.amdhsa_kernel _ZN9rocsolver6v33100L16reset_batch_infoI19rocblas_complex_numIdEiiPS3_EEvT2_lT0_T1_
		.amdhsa_group_segment_fixed_size 0
		.amdhsa_private_segment_fixed_size 0
		.amdhsa_kernarg_size 280
		.amdhsa_user_sgpr_count 2
		.amdhsa_user_sgpr_dispatch_ptr 0
		.amdhsa_user_sgpr_queue_ptr 0
		.amdhsa_user_sgpr_kernarg_segment_ptr 1
		.amdhsa_user_sgpr_dispatch_id 0
		.amdhsa_user_sgpr_kernarg_preload_length 0
		.amdhsa_user_sgpr_kernarg_preload_offset 0
		.amdhsa_user_sgpr_private_segment_size 0
		.amdhsa_wavefront_size32 1
		.amdhsa_uses_dynamic_stack 0
		.amdhsa_enable_private_segment 0
		.amdhsa_system_sgpr_workgroup_id_x 1
		.amdhsa_system_sgpr_workgroup_id_y 1
		.amdhsa_system_sgpr_workgroup_id_z 0
		.amdhsa_system_sgpr_workgroup_info 0
		.amdhsa_system_vgpr_workitem_id 0
		.amdhsa_next_free_vgpr 6
		.amdhsa_next_free_sgpr 8
		.amdhsa_named_barrier_count 0
		.amdhsa_reserve_vcc 1
		.amdhsa_float_round_mode_32 0
		.amdhsa_float_round_mode_16_64 0
		.amdhsa_float_denorm_mode_32 3
		.amdhsa_float_denorm_mode_16_64 3
		.amdhsa_fp16_overflow 0
		.amdhsa_memory_ordered 1
		.amdhsa_forward_progress 1
		.amdhsa_inst_pref_size 2
		.amdhsa_round_robin_scheduling 0
		.amdhsa_exception_fp_ieee_invalid_op 0
		.amdhsa_exception_fp_denorm_src 0
		.amdhsa_exception_fp_ieee_div_zero 0
		.amdhsa_exception_fp_ieee_overflow 0
		.amdhsa_exception_fp_ieee_underflow 0
		.amdhsa_exception_fp_ieee_inexact 0
		.amdhsa_exception_int_div_zero 0
	.end_amdhsa_kernel
	.section	.text._ZN9rocsolver6v33100L16reset_batch_infoI19rocblas_complex_numIdEiiPS3_EEvT2_lT0_T1_,"axG",@progbits,_ZN9rocsolver6v33100L16reset_batch_infoI19rocblas_complex_numIdEiiPS3_EEvT2_lT0_T1_,comdat
.Lfunc_end143:
	.size	_ZN9rocsolver6v33100L16reset_batch_infoI19rocblas_complex_numIdEiiPS3_EEvT2_lT0_T1_, .Lfunc_end143-_ZN9rocsolver6v33100L16reset_batch_infoI19rocblas_complex_numIdEiiPS3_EEvT2_lT0_T1_
                                        ; -- End function
	.set _ZN9rocsolver6v33100L16reset_batch_infoI19rocblas_complex_numIdEiiPS3_EEvT2_lT0_T1_.num_vgpr, 6
	.set _ZN9rocsolver6v33100L16reset_batch_infoI19rocblas_complex_numIdEiiPS3_EEvT2_lT0_T1_.num_agpr, 0
	.set _ZN9rocsolver6v33100L16reset_batch_infoI19rocblas_complex_numIdEiiPS3_EEvT2_lT0_T1_.numbered_sgpr, 8
	.set _ZN9rocsolver6v33100L16reset_batch_infoI19rocblas_complex_numIdEiiPS3_EEvT2_lT0_T1_.num_named_barrier, 0
	.set _ZN9rocsolver6v33100L16reset_batch_infoI19rocblas_complex_numIdEiiPS3_EEvT2_lT0_T1_.private_seg_size, 0
	.set _ZN9rocsolver6v33100L16reset_batch_infoI19rocblas_complex_numIdEiiPS3_EEvT2_lT0_T1_.uses_vcc, 1
	.set _ZN9rocsolver6v33100L16reset_batch_infoI19rocblas_complex_numIdEiiPS3_EEvT2_lT0_T1_.uses_flat_scratch, 0
	.set _ZN9rocsolver6v33100L16reset_batch_infoI19rocblas_complex_numIdEiiPS3_EEvT2_lT0_T1_.has_dyn_sized_stack, 0
	.set _ZN9rocsolver6v33100L16reset_batch_infoI19rocblas_complex_numIdEiiPS3_EEvT2_lT0_T1_.has_recursion, 0
	.set _ZN9rocsolver6v33100L16reset_batch_infoI19rocblas_complex_numIdEiiPS3_EEvT2_lT0_T1_.has_indirect_call, 0
	.section	.AMDGPU.csdata,"",@progbits
; Kernel info:
; codeLenInByte = 200
; TotalNumSgprs: 10
; NumVgprs: 6
; ScratchSize: 0
; MemoryBound: 0
; FloatMode: 240
; IeeeMode: 1
; LDSByteSize: 0 bytes/workgroup (compile time only)
; SGPRBlocks: 0
; VGPRBlocks: 0
; NumSGPRsForWavesPerEU: 10
; NumVGPRsForWavesPerEU: 6
; NamedBarCnt: 0
; Occupancy: 16
; WaveLimiterHint : 0
; COMPUTE_PGM_RSRC2:SCRATCH_EN: 0
; COMPUTE_PGM_RSRC2:USER_SGPR: 2
; COMPUTE_PGM_RSRC2:TRAP_HANDLER: 0
; COMPUTE_PGM_RSRC2:TGID_X_EN: 1
; COMPUTE_PGM_RSRC2:TGID_Y_EN: 1
; COMPUTE_PGM_RSRC2:TGID_Z_EN: 0
; COMPUTE_PGM_RSRC2:TIDIG_COMP_CNT: 0
	.section	.text._ZN9rocsolver6v33100L8set_diagI19rocblas_complex_numIdEidPS3_TnNSt9enable_ifIXaa18rocblas_is_complexIT_Ent18rocblas_is_complexIT1_EEiE4typeELi0EEEvPS7_llT2_lT0_lSC_b,"axG",@progbits,_ZN9rocsolver6v33100L8set_diagI19rocblas_complex_numIdEidPS3_TnNSt9enable_ifIXaa18rocblas_is_complexIT_Ent18rocblas_is_complexIT1_EEiE4typeELi0EEEvPS7_llT2_lT0_lSC_b,comdat
	.globl	_ZN9rocsolver6v33100L8set_diagI19rocblas_complex_numIdEidPS3_TnNSt9enable_ifIXaa18rocblas_is_complexIT_Ent18rocblas_is_complexIT1_EEiE4typeELi0EEEvPS7_llT2_lT0_lSC_b ; -- Begin function _ZN9rocsolver6v33100L8set_diagI19rocblas_complex_numIdEidPS3_TnNSt9enable_ifIXaa18rocblas_is_complexIT_Ent18rocblas_is_complexIT1_EEiE4typeELi0EEEvPS7_llT2_lT0_lSC_b
	.p2align	8
	.type	_ZN9rocsolver6v33100L8set_diagI19rocblas_complex_numIdEidPS3_TnNSt9enable_ifIXaa18rocblas_is_complexIT_Ent18rocblas_is_complexIT1_EEiE4typeELi0EEEvPS7_llT2_lT0_lSC_b,@function
_ZN9rocsolver6v33100L8set_diagI19rocblas_complex_numIdEidPS3_TnNSt9enable_ifIXaa18rocblas_is_complexIT_Ent18rocblas_is_complexIT1_EEiE4typeELi0EEEvPS7_llT2_lT0_lSC_b: ; @_ZN9rocsolver6v33100L8set_diagI19rocblas_complex_numIdEidPS3_TnNSt9enable_ifIXaa18rocblas_is_complexIT_Ent18rocblas_is_complexIT1_EEiE4typeELi0EEEvPS7_llT2_lT0_lSC_b
; %bb.0:
	s_load_u16 s4, s[0:1], 0x4e
	s_bfe_u32 s2, ttmp6, 0x40010
	s_bfe_u32 s6, ttmp6, 0x40004
	s_add_co_i32 s5, s2, 1
	s_load_b64 s[2:3], s[0:1], 0x38
	s_mul_i32 s5, ttmp7, s5
	s_getreg_b32 s12, hwreg(HW_REG_IB_STS2, 6, 4)
	s_add_co_i32 s6, s6, s5
	v_bfe_u32 v0, v0, 10, 10
	s_cmp_eq_u32 s12, 0
	s_cselect_b32 s5, ttmp7, s6
	s_wait_kmcnt 0x0
	s_delay_alu instid0(VALU_DEP_1) | instskip(NEXT) | instid1(VALU_DEP_1)
	v_mad_u32 v2, s5, s4, v0
	v_cmp_gt_i32_e32 vcc_lo, s2, v2
	s_and_saveexec_b32 s2, vcc_lo
	s_cbranch_execz .LBB144_5
; %bb.1:
	s_clause 0x2
	s_load_b96 s[16:18], s[0:1], 0x20
	s_load_b64 s[14:15], s[0:1], 0x30
	s_load_b256 s[4:11], s[0:1], 0x0
	s_bitcmp1_b32 s3, 0
	s_cselect_b32 s19, -1, 0
	s_wait_xcnt 0x0
	s_bfe_u32 s0, ttmp6, 0x4000c
	s_and_b32 s1, ttmp6, 15
	s_add_co_i32 s0, s0, 1
	s_delay_alu instid0(SALU_CYCLE_1) | instskip(NEXT) | instid1(SALU_CYCLE_1)
	s_mul_i32 s0, ttmp9, s0
	s_add_co_i32 s1, s1, s0
	s_cmp_eq_u32 s12, 0
	s_cselect_b32 s0, ttmp9, s1
	s_and_b32 vcc_lo, exec_lo, s19
	s_ashr_i32 s1, s0, 31
	s_wait_kmcnt 0x0
	v_mad_u32 v0, v2, s18, v2
	s_mul_u64 s[2:3], s[14:15], s[0:1]
	s_lshl_b64 s[12:13], s[16:17], 4
	s_lshl_b64 s[2:3], s[2:3], 4
	s_mul_u64 s[0:1], s[8:9], s[0:1]
	s_add_nc_u64 s[2:3], s[10:11], s[2:3]
	s_lshl_b64 s[0:1], s[0:1], 3
	s_add_nc_u64 s[2:3], s[2:3], s[12:13]
	s_add_nc_u64 s[0:1], s[4:5], s[0:1]
	s_delay_alu instid0(VALU_DEP_1) | instskip(NEXT) | instid1(VALU_DEP_1)
	v_ashrrev_i32_e32 v1, 31, v0
	v_lshl_add_u64 v[4:5], v[0:1], 4, s[2:3]
	s_lshl_b64 s[2:3], s[6:7], 3
	s_delay_alu instid0(SALU_CYCLE_1)
	s_add_nc_u64 s[0:1], s[0:1], s[2:3]
	global_load_b64 v[0:1], v[4:5], off
	s_wait_loadcnt 0x0
	global_store_b64 v2, v[0:1], s[0:1] scale_offset
	s_cbranch_vccnz .LBB144_3
; %bb.2:
	global_load_b64 v[2:3], v[4:5], off offset:8
	s_branch .LBB144_4
.LBB144_3:
	s_wait_xcnt 0x0
	v_mov_b64_e32 v[0:1], 1.0
	v_mov_b64_e32 v[2:3], 0
.LBB144_4:
	s_wait_loadcnt 0x0
	global_store_b128 v[4:5], v[0:3], off
.LBB144_5:
	s_endpgm
	.section	.rodata,"a",@progbits
	.p2align	6, 0x0
	.amdhsa_kernel _ZN9rocsolver6v33100L8set_diagI19rocblas_complex_numIdEidPS3_TnNSt9enable_ifIXaa18rocblas_is_complexIT_Ent18rocblas_is_complexIT1_EEiE4typeELi0EEEvPS7_llT2_lT0_lSC_b
		.amdhsa_group_segment_fixed_size 0
		.amdhsa_private_segment_fixed_size 0
		.amdhsa_kernarg_size 320
		.amdhsa_user_sgpr_count 2
		.amdhsa_user_sgpr_dispatch_ptr 0
		.amdhsa_user_sgpr_queue_ptr 0
		.amdhsa_user_sgpr_kernarg_segment_ptr 1
		.amdhsa_user_sgpr_dispatch_id 0
		.amdhsa_user_sgpr_kernarg_preload_length 0
		.amdhsa_user_sgpr_kernarg_preload_offset 0
		.amdhsa_user_sgpr_private_segment_size 0
		.amdhsa_wavefront_size32 1
		.amdhsa_uses_dynamic_stack 0
		.amdhsa_enable_private_segment 0
		.amdhsa_system_sgpr_workgroup_id_x 1
		.amdhsa_system_sgpr_workgroup_id_y 1
		.amdhsa_system_sgpr_workgroup_id_z 0
		.amdhsa_system_sgpr_workgroup_info 0
		.amdhsa_system_vgpr_workitem_id 1
		.amdhsa_next_free_vgpr 6
		.amdhsa_next_free_sgpr 20
		.amdhsa_named_barrier_count 0
		.amdhsa_reserve_vcc 1
		.amdhsa_float_round_mode_32 0
		.amdhsa_float_round_mode_16_64 0
		.amdhsa_float_denorm_mode_32 3
		.amdhsa_float_denorm_mode_16_64 3
		.amdhsa_fp16_overflow 0
		.amdhsa_memory_ordered 1
		.amdhsa_forward_progress 1
		.amdhsa_inst_pref_size 3
		.amdhsa_round_robin_scheduling 0
		.amdhsa_exception_fp_ieee_invalid_op 0
		.amdhsa_exception_fp_denorm_src 0
		.amdhsa_exception_fp_ieee_div_zero 0
		.amdhsa_exception_fp_ieee_overflow 0
		.amdhsa_exception_fp_ieee_underflow 0
		.amdhsa_exception_fp_ieee_inexact 0
		.amdhsa_exception_int_div_zero 0
	.end_amdhsa_kernel
	.section	.text._ZN9rocsolver6v33100L8set_diagI19rocblas_complex_numIdEidPS3_TnNSt9enable_ifIXaa18rocblas_is_complexIT_Ent18rocblas_is_complexIT1_EEiE4typeELi0EEEvPS7_llT2_lT0_lSC_b,"axG",@progbits,_ZN9rocsolver6v33100L8set_diagI19rocblas_complex_numIdEidPS3_TnNSt9enable_ifIXaa18rocblas_is_complexIT_Ent18rocblas_is_complexIT1_EEiE4typeELi0EEEvPS7_llT2_lT0_lSC_b,comdat
.Lfunc_end144:
	.size	_ZN9rocsolver6v33100L8set_diagI19rocblas_complex_numIdEidPS3_TnNSt9enable_ifIXaa18rocblas_is_complexIT_Ent18rocblas_is_complexIT1_EEiE4typeELi0EEEvPS7_llT2_lT0_lSC_b, .Lfunc_end144-_ZN9rocsolver6v33100L8set_diagI19rocblas_complex_numIdEidPS3_TnNSt9enable_ifIXaa18rocblas_is_complexIT_Ent18rocblas_is_complexIT1_EEiE4typeELi0EEEvPS7_llT2_lT0_lSC_b
                                        ; -- End function
	.set _ZN9rocsolver6v33100L8set_diagI19rocblas_complex_numIdEidPS3_TnNSt9enable_ifIXaa18rocblas_is_complexIT_Ent18rocblas_is_complexIT1_EEiE4typeELi0EEEvPS7_llT2_lT0_lSC_b.num_vgpr, 6
	.set _ZN9rocsolver6v33100L8set_diagI19rocblas_complex_numIdEidPS3_TnNSt9enable_ifIXaa18rocblas_is_complexIT_Ent18rocblas_is_complexIT1_EEiE4typeELi0EEEvPS7_llT2_lT0_lSC_b.num_agpr, 0
	.set _ZN9rocsolver6v33100L8set_diagI19rocblas_complex_numIdEidPS3_TnNSt9enable_ifIXaa18rocblas_is_complexIT_Ent18rocblas_is_complexIT1_EEiE4typeELi0EEEvPS7_llT2_lT0_lSC_b.numbered_sgpr, 20
	.set _ZN9rocsolver6v33100L8set_diagI19rocblas_complex_numIdEidPS3_TnNSt9enable_ifIXaa18rocblas_is_complexIT_Ent18rocblas_is_complexIT1_EEiE4typeELi0EEEvPS7_llT2_lT0_lSC_b.num_named_barrier, 0
	.set _ZN9rocsolver6v33100L8set_diagI19rocblas_complex_numIdEidPS3_TnNSt9enable_ifIXaa18rocblas_is_complexIT_Ent18rocblas_is_complexIT1_EEiE4typeELi0EEEvPS7_llT2_lT0_lSC_b.private_seg_size, 0
	.set _ZN9rocsolver6v33100L8set_diagI19rocblas_complex_numIdEidPS3_TnNSt9enable_ifIXaa18rocblas_is_complexIT_Ent18rocblas_is_complexIT1_EEiE4typeELi0EEEvPS7_llT2_lT0_lSC_b.uses_vcc, 1
	.set _ZN9rocsolver6v33100L8set_diagI19rocblas_complex_numIdEidPS3_TnNSt9enable_ifIXaa18rocblas_is_complexIT_Ent18rocblas_is_complexIT1_EEiE4typeELi0EEEvPS7_llT2_lT0_lSC_b.uses_flat_scratch, 0
	.set _ZN9rocsolver6v33100L8set_diagI19rocblas_complex_numIdEidPS3_TnNSt9enable_ifIXaa18rocblas_is_complexIT_Ent18rocblas_is_complexIT1_EEiE4typeELi0EEEvPS7_llT2_lT0_lSC_b.has_dyn_sized_stack, 0
	.set _ZN9rocsolver6v33100L8set_diagI19rocblas_complex_numIdEidPS3_TnNSt9enable_ifIXaa18rocblas_is_complexIT_Ent18rocblas_is_complexIT1_EEiE4typeELi0EEEvPS7_llT2_lT0_lSC_b.has_recursion, 0
	.set _ZN9rocsolver6v33100L8set_diagI19rocblas_complex_numIdEidPS3_TnNSt9enable_ifIXaa18rocblas_is_complexIT_Ent18rocblas_is_complexIT1_EEiE4typeELi0EEEvPS7_llT2_lT0_lSC_b.has_indirect_call, 0
	.section	.AMDGPU.csdata,"",@progbits
; Kernel info:
; codeLenInByte = 328
; TotalNumSgprs: 22
; NumVgprs: 6
; ScratchSize: 0
; MemoryBound: 0
; FloatMode: 240
; IeeeMode: 1
; LDSByteSize: 0 bytes/workgroup (compile time only)
; SGPRBlocks: 0
; VGPRBlocks: 0
; NumSGPRsForWavesPerEU: 22
; NumVGPRsForWavesPerEU: 6
; NamedBarCnt: 0
; Occupancy: 16
; WaveLimiterHint : 0
; COMPUTE_PGM_RSRC2:SCRATCH_EN: 0
; COMPUTE_PGM_RSRC2:USER_SGPR: 2
; COMPUTE_PGM_RSRC2:TRAP_HANDLER: 0
; COMPUTE_PGM_RSRC2:TGID_X_EN: 1
; COMPUTE_PGM_RSRC2:TGID_Y_EN: 1
; COMPUTE_PGM_RSRC2:TGID_Z_EN: 0
; COMPUTE_PGM_RSRC2:TIDIG_COMP_CNT: 1
	.section	.text._ZN9rocsolver6v33100L11set_taubetaI19rocblas_complex_numIdEidPS3_EEvPT_lS6_T2_llPT1_ll,"axG",@progbits,_ZN9rocsolver6v33100L11set_taubetaI19rocblas_complex_numIdEidPS3_EEvPT_lS6_T2_llPT1_ll,comdat
	.globl	_ZN9rocsolver6v33100L11set_taubetaI19rocblas_complex_numIdEidPS3_EEvPT_lS6_T2_llPT1_ll ; -- Begin function _ZN9rocsolver6v33100L11set_taubetaI19rocblas_complex_numIdEidPS3_EEvPT_lS6_T2_llPT1_ll
	.p2align	8
	.type	_ZN9rocsolver6v33100L11set_taubetaI19rocblas_complex_numIdEidPS3_EEvPT_lS6_T2_llPT1_ll,@function
_ZN9rocsolver6v33100L11set_taubetaI19rocblas_complex_numIdEidPS3_EEvPT_lS6_T2_llPT1_ll: ; @_ZN9rocsolver6v33100L11set_taubetaI19rocblas_complex_numIdEidPS3_EEvPT_lS6_T2_llPT1_ll
; %bb.0:
	s_load_b512 s[4:19], s[0:1], 0x0
	s_bfe_u32 s2, ttmp6, 0x4000c
	s_and_b32 s3, ttmp6, 15
	s_add_co_i32 s2, s2, 1
	s_getreg_b32 s20, hwreg(HW_REG_IB_STS2, 6, 4)
	s_mul_i32 s2, ttmp9, s2
	s_mov_b32 s22, 0
	s_add_co_i32 s3, s3, s2
	s_cmp_eq_u32 s20, 0
	s_mov_b64 s[20:21], 0
	s_cselect_b32 s2, ttmp9, s3
	s_delay_alu instid0(SALU_CYCLE_1)
	s_ashr_i32 s3, s2, 31
	s_wait_kmcnt 0x0
	s_cmp_eq_u64 s[16:17], 0
	s_cbranch_scc1 .LBB145_2
; %bb.1:
	s_load_b64 s[0:1], s[0:1], 0x40
	s_wait_kmcnt 0x0
	s_mul_u64 s[0:1], s[0:1], s[2:3]
	s_delay_alu instid0(SALU_CYCLE_1) | instskip(NEXT) | instid1(SALU_CYCLE_1)
	s_lshl_b64 s[0:1], s[0:1], 3
	s_add_nc_u64 s[0:1], s[16:17], s[0:1]
	s_lshl_b64 s[16:17], s[18:19], 3
	s_delay_alu instid0(SALU_CYCLE_1)
	s_add_nc_u64 s[20:21], s[0:1], s[16:17]
.LBB145_2:
	s_mul_u64 s[0:1], s[14:15], s[2:3]
	s_lshl_b64 s[12:13], s[12:13], 4
	s_lshl_b64 s[0:1], s[0:1], 4
	;; [unrolled: 1-line block ×3, first 2 shown]
	s_add_nc_u64 s[0:1], s[10:11], s[0:1]
	s_add_nc_u64 s[8:9], s[8:9], s[14:15]
	;; [unrolled: 1-line block ×3, first 2 shown]
	s_mul_u64 s[2:3], s[6:7], s[2:3]
	s_load_b64 s[12:13], s[10:11], 0x8
	s_load_b64 s[0:1], s[8:9], 0x0
	s_lshl_b64 s[14:15], s[2:3], 4
	s_cmp_eq_u64 s[20:21], 0
	s_add_nc_u64 s[4:5], s[4:5], s[14:15]
	s_cselect_b32 s3, -1, 0
	s_cmp_lg_u64 s[20:21], 0
	s_cselect_b32 s6, -1, 0
	s_wait_kmcnt 0x0
	v_mul_f64_e64 v[4:5], s[12:13], s[12:13]
	v_max_num_f64_e64 v[0:1], s[0:1], s[0:1]
	s_delay_alu instid0(VALU_DEP_1) | instskip(NEXT) | instid1(VALU_DEP_1)
	v_max_num_f64_e32 v[0:1], v[0:1], v[4:5]
	v_cmp_nlt_f64_e32 vcc_lo, 0, v[0:1]
	s_cbranch_vccz .LBB145_6
; %bb.3:
	v_dual_mov_b32 v0, 0 :: v_dual_mov_b32 v1, 0x3ff00000
	s_mov_b32 s2, 0
	s_and_b32 vcc_lo, exec_lo, s6
	s_delay_alu instid0(VALU_DEP_1)
	v_dual_mov_b32 v2, v0 :: v_dual_mov_b32 v3, v0
	global_store_b128 v0, v[0:3], s[8:9]
	s_wait_xcnt 0x0
	v_mov_b32_e32 v1, v0
	global_store_b128 v0, v[0:3], s[4:5]
	s_cbranch_vccz .LBB145_7
; %bb.4:
	global_load_b64 v[0:1], v0, s[10:11]
	s_mov_b32 s22, -1
	s_and_b32 vcc_lo, exec_lo, s2
	s_cbranch_vccnz .LBB145_8
.LBB145_5:
	s_mov_b32 s3, 0
	s_and_not1_b32 vcc_lo, exec_lo, s22
	s_cbranch_vccz .LBB145_9
	s_branch .LBB145_10
.LBB145_6:
	s_mov_b32 s2, -1
.LBB145_7:
                                        ; implicit-def: $vgpr0_vgpr1
	s_delay_alu instid0(SALU_CYCLE_1)
	s_and_b32 vcc_lo, exec_lo, s2
	s_cbranch_vccz .LBB145_5
.LBB145_8:
	v_mov_b32_e32 v40, 0
	s_mov_b32 s22, s6
	global_load_b64 v[2:3], v40, s[10:11]
	s_wait_loadcnt 0x0
	v_fma_f64 v[0:1], v[2:3], v[2:3], v[4:5]
	s_delay_alu instid0(VALU_DEP_1) | instskip(NEXT) | instid1(VALU_DEP_1)
	v_add_f64_e32 v[0:1], s[0:1], v[0:1]
	v_cmp_gt_f64_e32 vcc_lo, 0x10000000, v[0:1]
	s_and_b32 s0, vcc_lo, exec_lo
	s_cselect_b32 s0, 0x100, 0
	s_delay_alu instid0(SALU_CYCLE_1) | instskip(SKIP_1) | instid1(VALU_DEP_1)
	v_ldexp_f64 v[0:1], v[0:1], s0
	s_cselect_b32 s0, 0xffffff80, 0
	v_rsq_f64_e32 v[6:7], v[0:1]
	v_cmp_class_f64_e64 vcc_lo, v[0:1], 0x260
	s_delay_alu instid0(TRANS32_DEP_1) | instskip(SKIP_1) | instid1(VALU_DEP_1)
	v_mul_f64_e32 v[8:9], v[0:1], v[6:7]
	v_mul_f64_e32 v[6:7], 0.5, v[6:7]
	v_fma_f64 v[10:11], -v[6:7], v[8:9], 0.5
	s_delay_alu instid0(VALU_DEP_1) | instskip(SKIP_1) | instid1(VALU_DEP_2)
	v_fmac_f64_e32 v[8:9], v[8:9], v[10:11]
	v_fmac_f64_e32 v[6:7], v[6:7], v[10:11]
	v_fma_f64 v[10:11], -v[8:9], v[8:9], v[0:1]
	s_delay_alu instid0(VALU_DEP_1) | instskip(NEXT) | instid1(VALU_DEP_1)
	v_fmac_f64_e32 v[8:9], v[10:11], v[6:7]
	v_fma_f64 v[10:11], -v[8:9], v[8:9], v[0:1]
	s_delay_alu instid0(VALU_DEP_1) | instskip(NEXT) | instid1(VALU_DEP_1)
	v_fmac_f64_e32 v[8:9], v[10:11], v[6:7]
	v_ldexp_f64 v[6:7], v[8:9], s0
	s_delay_alu instid0(VALU_DEP_1) | instskip(SKIP_1) | instid1(VALU_DEP_2)
	v_dual_cndmask_b32 v0, v6, v0 :: v_dual_cndmask_b32 v1, v7, v1
	v_cmp_le_f64_e32 vcc_lo, 0, v[2:3]
	v_xor_b32_e32 v6, 0x80000000, v1
	s_delay_alu instid0(VALU_DEP_1) | instskip(NEXT) | instid1(VALU_DEP_1)
	v_cndmask_b32_e32 v1, v1, v6, vcc_lo
	v_add_f64_e64 v[6:7], v[2:3], -v[0:1]
	v_add_f64_e64 v[8:9], v[0:1], -v[2:3]
	s_delay_alu instid0(VALU_DEP_2) | instskip(NEXT) | instid1(VALU_DEP_2)
	v_fmac_f64_e32 v[4:5], v[6:7], v[6:7]
	v_div_scale_f64 v[12:13], null, v[0:1], v[0:1], v[8:9]
	s_delay_alu instid0(VALU_DEP_2) | instskip(NEXT) | instid1(VALU_DEP_2)
	v_div_scale_f64 v[10:11], null, v[4:5], v[4:5], -s[12:13]
	v_rcp_f64_e32 v[20:21], v[12:13]
	v_div_scale_f64 v[2:3], null, v[4:5], v[4:5], v[6:7]
	v_div_scale_f64 v[32:33], vcc_lo, v[6:7], v[4:5], v[6:7]
	s_delay_alu instid0(VALU_DEP_3) | instskip(NEXT) | instid1(VALU_DEP_2)
	v_rcp_f64_e32 v[18:19], v[10:11]
	v_rcp_f64_e32 v[16:17], v[2:3]
	s_delay_alu instid0(TRANS32_DEP_3) | instskip(NEXT) | instid1(TRANS32_DEP_2)
	v_fma_f64 v[28:29], -v[12:13], v[20:21], 1.0
	v_fma_f64 v[26:27], -v[10:11], v[18:19], 1.0
	s_delay_alu instid0(VALU_DEP_2) | instskip(NEXT) | instid1(TRANS32_DEP_1)
	v_fmac_f64_e32 v[20:21], v[20:21], v[28:29]
	v_fma_f64 v[24:25], -v[2:3], v[16:17], 1.0
	s_delay_alu instid0(VALU_DEP_3) | instskip(NEXT) | instid1(VALU_DEP_3)
	v_fmac_f64_e32 v[18:19], v[18:19], v[26:27]
	v_fma_f64 v[28:29], -v[12:13], v[20:21], 1.0
	s_delay_alu instid0(VALU_DEP_3) | instskip(NEXT) | instid1(VALU_DEP_3)
	;; [unrolled: 3-line block ×3, first 2 shown]
	v_fmac_f64_e32 v[20:21], v[20:21], v[28:29]
	v_fma_f64 v[24:25], -v[2:3], v[16:17], 1.0
	s_delay_alu instid0(VALU_DEP_3) | instskip(SKIP_1) | instid1(VALU_DEP_3)
	v_fmac_f64_e32 v[18:19], v[18:19], v[26:27]
	v_div_scale_f64 v[26:27], s1, v[8:9], v[0:1], v[8:9]
	v_fmac_f64_e32 v[16:17], v[16:17], v[24:25]
	v_div_scale_f64 v[24:25], s0, -s[12:13], v[4:5], -s[12:13]
	s_delay_alu instid0(VALU_DEP_3) | instskip(SKIP_2) | instid1(VALU_DEP_4)
	v_mul_f64_e32 v[36:37], v[26:27], v[20:21]
	v_div_scale_f64 v[14:15], null, v[0:1], v[0:1], -s[12:13]
	v_div_scale_f64 v[28:29], s2, -s[12:13], v[0:1], -s[12:13]
	v_mul_f64_e32 v[34:35], v[24:25], v[18:19]
	s_delay_alu instid0(VALU_DEP_4) | instskip(NEXT) | instid1(VALU_DEP_4)
	v_fma_f64 v[12:13], -v[12:13], v[36:37], v[26:27]
	v_rcp_f64_e32 v[22:23], v[14:15]
	s_delay_alu instid0(VALU_DEP_2) | instskip(NEXT) | instid1(TRANS32_DEP_1)
	v_fma_f64 v[10:11], -v[10:11], v[34:35], v[24:25]
	v_fma_f64 v[30:31], -v[14:15], v[22:23], 1.0
	s_delay_alu instid0(VALU_DEP_1) | instskip(NEXT) | instid1(VALU_DEP_1)
	v_fmac_f64_e32 v[22:23], v[22:23], v[30:31]
	v_fma_f64 v[30:31], -v[14:15], v[22:23], 1.0
	s_delay_alu instid0(VALU_DEP_1) | instskip(SKIP_1) | instid1(VALU_DEP_2)
	v_fmac_f64_e32 v[22:23], v[22:23], v[30:31]
	v_mul_f64_e32 v[30:31], v[32:33], v[16:17]
	v_mul_f64_e32 v[38:39], v[28:29], v[22:23]
	s_delay_alu instid0(VALU_DEP_2) | instskip(NEXT) | instid1(VALU_DEP_2)
	v_fma_f64 v[2:3], -v[2:3], v[30:31], v[32:33]
	v_fma_f64 v[14:15], -v[14:15], v[38:39], v[28:29]
	s_delay_alu instid0(VALU_DEP_2)
	v_div_fmas_f64 v[2:3], v[2:3], v[16:17], v[30:31]
	s_mov_b32 vcc_lo, s0
	v_div_fmas_f64 v[10:11], v[10:11], v[18:19], v[34:35]
	s_mov_b32 vcc_lo, s1
	;; [unrolled: 2-line block ×3, first 2 shown]
	s_delay_alu instid0(VALU_DEP_4) | instskip(NEXT) | instid1(VALU_DEP_4)
	v_div_fmas_f64 v[14:15], v[14:15], v[22:23], v[38:39]
	v_div_fixup_f64 v[2:3], v[2:3], v[4:5], v[6:7]
	s_delay_alu instid0(VALU_DEP_4) | instskip(NEXT) | instid1(VALU_DEP_4)
	v_div_fixup_f64 v[4:5], v[10:11], v[4:5], -s[12:13]
	v_div_fixup_f64 v[6:7], v[12:13], v[0:1], v[8:9]
	s_delay_alu instid0(VALU_DEP_4)
	v_div_fixup_f64 v[8:9], v[14:15], v[0:1], -s[12:13]
	s_clause 0x1
	global_store_b128 v40, v[2:5], s[8:9]
	global_store_b128 v40, v[6:9], s[4:5]
	s_and_not1_b32 vcc_lo, exec_lo, s22
	s_cbranch_vccnz .LBB145_10
.LBB145_9:
	s_wait_xcnt 0x0
	v_mov_b32_e32 v2, 0
	s_mov_b32 s3, -1
	s_wait_loadcnt 0x0
	global_store_b64 v2, v[0:1], s[20:21]
	s_wait_xcnt 0x0
	v_mov_b64_e32 v[0:1], 1.0
.LBB145_10:
	s_and_not1_b32 vcc_lo, exec_lo, s3
	s_cbranch_vccz .LBB145_12
; %bb.11:
	s_endpgm
.LBB145_12:
	s_wait_xcnt 0x0
	v_mov_b32_e32 v2, 0
	s_delay_alu instid0(VALU_DEP_1)
	v_mov_b32_e32 v3, v2
	s_wait_loadcnt 0x0
	global_store_b128 v2, v[0:3], s[10:11]
	s_endpgm
	.section	.rodata,"a",@progbits
	.p2align	6, 0x0
	.amdhsa_kernel _ZN9rocsolver6v33100L11set_taubetaI19rocblas_complex_numIdEidPS3_EEvPT_lS6_T2_llPT1_ll
		.amdhsa_group_segment_fixed_size 0
		.amdhsa_private_segment_fixed_size 0
		.amdhsa_kernarg_size 72
		.amdhsa_user_sgpr_count 2
		.amdhsa_user_sgpr_dispatch_ptr 0
		.amdhsa_user_sgpr_queue_ptr 0
		.amdhsa_user_sgpr_kernarg_segment_ptr 1
		.amdhsa_user_sgpr_dispatch_id 0
		.amdhsa_user_sgpr_kernarg_preload_length 0
		.amdhsa_user_sgpr_kernarg_preload_offset 0
		.amdhsa_user_sgpr_private_segment_size 0
		.amdhsa_wavefront_size32 1
		.amdhsa_uses_dynamic_stack 0
		.amdhsa_enable_private_segment 0
		.amdhsa_system_sgpr_workgroup_id_x 1
		.amdhsa_system_sgpr_workgroup_id_y 0
		.amdhsa_system_sgpr_workgroup_id_z 0
		.amdhsa_system_sgpr_workgroup_info 0
		.amdhsa_system_vgpr_workitem_id 0
		.amdhsa_next_free_vgpr 41
		.amdhsa_next_free_sgpr 23
		.amdhsa_named_barrier_count 0
		.amdhsa_reserve_vcc 1
		.amdhsa_float_round_mode_32 0
		.amdhsa_float_round_mode_16_64 0
		.amdhsa_float_denorm_mode_32 3
		.amdhsa_float_denorm_mode_16_64 3
		.amdhsa_fp16_overflow 0
		.amdhsa_memory_ordered 1
		.amdhsa_forward_progress 1
		.amdhsa_inst_pref_size 9
		.amdhsa_round_robin_scheduling 0
		.amdhsa_exception_fp_ieee_invalid_op 0
		.amdhsa_exception_fp_denorm_src 0
		.amdhsa_exception_fp_ieee_div_zero 0
		.amdhsa_exception_fp_ieee_overflow 0
		.amdhsa_exception_fp_ieee_underflow 0
		.amdhsa_exception_fp_ieee_inexact 0
		.amdhsa_exception_int_div_zero 0
	.end_amdhsa_kernel
	.section	.text._ZN9rocsolver6v33100L11set_taubetaI19rocblas_complex_numIdEidPS3_EEvPT_lS6_T2_llPT1_ll,"axG",@progbits,_ZN9rocsolver6v33100L11set_taubetaI19rocblas_complex_numIdEidPS3_EEvPT_lS6_T2_llPT1_ll,comdat
.Lfunc_end145:
	.size	_ZN9rocsolver6v33100L11set_taubetaI19rocblas_complex_numIdEidPS3_EEvPT_lS6_T2_llPT1_ll, .Lfunc_end145-_ZN9rocsolver6v33100L11set_taubetaI19rocblas_complex_numIdEidPS3_EEvPT_lS6_T2_llPT1_ll
                                        ; -- End function
	.set _ZN9rocsolver6v33100L11set_taubetaI19rocblas_complex_numIdEidPS3_EEvPT_lS6_T2_llPT1_ll.num_vgpr, 41
	.set _ZN9rocsolver6v33100L11set_taubetaI19rocblas_complex_numIdEidPS3_EEvPT_lS6_T2_llPT1_ll.num_agpr, 0
	.set _ZN9rocsolver6v33100L11set_taubetaI19rocblas_complex_numIdEidPS3_EEvPT_lS6_T2_llPT1_ll.numbered_sgpr, 23
	.set _ZN9rocsolver6v33100L11set_taubetaI19rocblas_complex_numIdEidPS3_EEvPT_lS6_T2_llPT1_ll.num_named_barrier, 0
	.set _ZN9rocsolver6v33100L11set_taubetaI19rocblas_complex_numIdEidPS3_EEvPT_lS6_T2_llPT1_ll.private_seg_size, 0
	.set _ZN9rocsolver6v33100L11set_taubetaI19rocblas_complex_numIdEidPS3_EEvPT_lS6_T2_llPT1_ll.uses_vcc, 1
	.set _ZN9rocsolver6v33100L11set_taubetaI19rocblas_complex_numIdEidPS3_EEvPT_lS6_T2_llPT1_ll.uses_flat_scratch, 0
	.set _ZN9rocsolver6v33100L11set_taubetaI19rocblas_complex_numIdEidPS3_EEvPT_lS6_T2_llPT1_ll.has_dyn_sized_stack, 0
	.set _ZN9rocsolver6v33100L11set_taubetaI19rocblas_complex_numIdEidPS3_EEvPT_lS6_T2_llPT1_ll.has_recursion, 0
	.set _ZN9rocsolver6v33100L11set_taubetaI19rocblas_complex_numIdEidPS3_EEvPT_lS6_T2_llPT1_ll.has_indirect_call, 0
	.section	.AMDGPU.csdata,"",@progbits
; Kernel info:
; codeLenInByte = 1060
; TotalNumSgprs: 25
; NumVgprs: 41
; ScratchSize: 0
; MemoryBound: 0
; FloatMode: 240
; IeeeMode: 1
; LDSByteSize: 0 bytes/workgroup (compile time only)
; SGPRBlocks: 0
; VGPRBlocks: 2
; NumSGPRsForWavesPerEU: 25
; NumVGPRsForWavesPerEU: 41
; NamedBarCnt: 0
; Occupancy: 16
; WaveLimiterHint : 0
; COMPUTE_PGM_RSRC2:SCRATCH_EN: 0
; COMPUTE_PGM_RSRC2:USER_SGPR: 2
; COMPUTE_PGM_RSRC2:TRAP_HANDLER: 0
; COMPUTE_PGM_RSRC2:TGID_X_EN: 1
; COMPUTE_PGM_RSRC2:TGID_Y_EN: 0
; COMPUTE_PGM_RSRC2:TGID_Z_EN: 0
; COMPUTE_PGM_RSRC2:TIDIG_COMP_CNT: 0
	.section	.text._ZN9rocsolver6v33100L13conj_in_placeI19rocblas_complex_numIdEiPS3_TnNSt9enable_ifIX18rocblas_is_complexIT_EEiE4typeELi0EEEvT0_S9_T1_lS9_l,"axG",@progbits,_ZN9rocsolver6v33100L13conj_in_placeI19rocblas_complex_numIdEiPS3_TnNSt9enable_ifIX18rocblas_is_complexIT_EEiE4typeELi0EEEvT0_S9_T1_lS9_l,comdat
	.globl	_ZN9rocsolver6v33100L13conj_in_placeI19rocblas_complex_numIdEiPS3_TnNSt9enable_ifIX18rocblas_is_complexIT_EEiE4typeELi0EEEvT0_S9_T1_lS9_l ; -- Begin function _ZN9rocsolver6v33100L13conj_in_placeI19rocblas_complex_numIdEiPS3_TnNSt9enable_ifIX18rocblas_is_complexIT_EEiE4typeELi0EEEvT0_S9_T1_lS9_l
	.p2align	8
	.type	_ZN9rocsolver6v33100L13conj_in_placeI19rocblas_complex_numIdEiPS3_TnNSt9enable_ifIX18rocblas_is_complexIT_EEiE4typeELi0EEEvT0_S9_T1_lS9_l,@function
_ZN9rocsolver6v33100L13conj_in_placeI19rocblas_complex_numIdEiPS3_TnNSt9enable_ifIX18rocblas_is_complexIT_EEiE4typeELi0EEEvT0_S9_T1_lS9_l: ; @_ZN9rocsolver6v33100L13conj_in_placeI19rocblas_complex_numIdEiPS3_TnNSt9enable_ifIX18rocblas_is_complexIT_EEiE4typeELi0EEEvT0_S9_T1_lS9_l
; %bb.0:
	s_clause 0x1
	s_load_b32 s5, s[0:1], 0x34
	s_load_b64 s[2:3], s[0:1], 0x0
	s_bfe_u32 s7, ttmp6, 0x40010
	s_bfe_u32 s10, ttmp6, 0x4000c
	s_and_b32 s6, ttmp7, 0xffff
	s_add_co_i32 s7, s7, 1
	s_add_co_i32 s10, s10, 1
	s_bfe_u32 s8, ttmp6, 0x40004
	s_and_b32 s9, ttmp6, 15
	s_mul_i32 s7, s6, s7
	s_mul_i32 s10, ttmp9, s10
	s_getreg_b32 s4, hwreg(HW_REG_IB_STS2, 6, 4)
	v_and_b32_e32 v1, 0x3ff, v0
	v_bfe_u32 v2, v0, 10, 10
	s_add_co_i32 s8, s8, s7
	s_add_co_i32 s9, s9, s10
	s_wait_kmcnt 0x0
	s_lshr_b32 s7, s5, 16
	s_and_b32 s5, s5, 0xffff
	s_cmp_eq_u32 s4, 0
	s_cselect_b32 s9, ttmp9, s9
	s_cselect_b32 s6, s6, s8
	v_mad_u32 v0, s9, s5, v1
	v_mad_u32 v2, s6, s7, v2
	s_delay_alu instid0(VALU_DEP_2) | instskip(NEXT) | instid1(VALU_DEP_2)
	v_cmp_gt_i32_e32 vcc_lo, s2, v0
	v_cmp_gt_i32_e64 s2, s3, v2
	s_mov_b32 s3, 0
	s_and_b32 s2, vcc_lo, s2
	s_delay_alu instid0(SALU_CYCLE_1)
	s_and_saveexec_b32 s5, s2
	s_cbranch_execz .LBB146_2
; %bb.1:
	s_load_b32 s6, s[0:1], 0x18
	v_dual_ashrrev_i32 v3, 31, v2 :: v_dual_ashrrev_i32 v1, 31, v0
	s_clause 0x1
	s_load_b64 s[12:13], s[0:1], 0x20
	s_load_b128 s[8:11], s[0:1], 0x8
	s_wait_xcnt 0x0
	s_bfe_u32 s0, ttmp6, 0x40014
	s_lshr_b32 s1, ttmp7, 16
	s_add_co_i32 s0, s0, 1
	s_bfe_u32 s2, ttmp6, 0x40008
	s_mul_i32 s0, s1, s0
	s_delay_alu instid0(SALU_CYCLE_1)
	s_add_co_i32 s2, s2, s0
	s_wait_kmcnt 0x0
	s_ashr_i32 s7, s6, 31
	s_cmp_eq_u32 s4, 0
	v_mul_u64_e32 v[4:5], s[6:7], v[2:3]
	s_cselect_b32 s2, s1, s2
	s_delay_alu instid0(SALU_CYCLE_1) | instskip(SKIP_2) | instid1(SALU_CYCLE_1)
	s_mul_u64 s[0:1], s[12:13], s[2:3]
	s_lshl_b64 s[2:3], s[10:11], 4
	s_lshl_b64 s[0:1], s[0:1], 4
	s_add_nc_u64 s[0:1], s[8:9], s[0:1]
	s_delay_alu instid0(SALU_CYCLE_1)
	s_add_nc_u64 s[0:1], s[0:1], s[2:3]
	s_delay_alu instid0(VALU_DEP_1) | instid1(SALU_CYCLE_1)
	v_lshl_add_u64 v[4:5], v[4:5], 4, s[0:1]
	s_delay_alu instid0(VALU_DEP_1)
	v_lshl_add_u64 v[4:5], v[0:1], 4, v[4:5]
	v_mad_u32 v0, v2, s6, v0
	global_load_b128 v[4:7], v[4:5], off
	s_wait_loadcnt 0x0
	v_xor_b32_e32 v7, 0x80000000, v7
	global_store_b128 v0, v[4:7], s[0:1] scale_offset
.LBB146_2:
	s_endpgm
	.section	.rodata,"a",@progbits
	.p2align	6, 0x0
	.amdhsa_kernel _ZN9rocsolver6v33100L13conj_in_placeI19rocblas_complex_numIdEiPS3_TnNSt9enable_ifIX18rocblas_is_complexIT_EEiE4typeELi0EEEvT0_S9_T1_lS9_l
		.amdhsa_group_segment_fixed_size 0
		.amdhsa_private_segment_fixed_size 0
		.amdhsa_kernarg_size 296
		.amdhsa_user_sgpr_count 2
		.amdhsa_user_sgpr_dispatch_ptr 0
		.amdhsa_user_sgpr_queue_ptr 0
		.amdhsa_user_sgpr_kernarg_segment_ptr 1
		.amdhsa_user_sgpr_dispatch_id 0
		.amdhsa_user_sgpr_kernarg_preload_length 0
		.amdhsa_user_sgpr_kernarg_preload_offset 0
		.amdhsa_user_sgpr_private_segment_size 0
		.amdhsa_wavefront_size32 1
		.amdhsa_uses_dynamic_stack 0
		.amdhsa_enable_private_segment 0
		.amdhsa_system_sgpr_workgroup_id_x 1
		.amdhsa_system_sgpr_workgroup_id_y 1
		.amdhsa_system_sgpr_workgroup_id_z 1
		.amdhsa_system_sgpr_workgroup_info 0
		.amdhsa_system_vgpr_workitem_id 1
		.amdhsa_next_free_vgpr 8
		.amdhsa_next_free_sgpr 14
		.amdhsa_named_barrier_count 0
		.amdhsa_reserve_vcc 1
		.amdhsa_float_round_mode_32 0
		.amdhsa_float_round_mode_16_64 0
		.amdhsa_float_denorm_mode_32 3
		.amdhsa_float_denorm_mode_16_64 3
		.amdhsa_fp16_overflow 0
		.amdhsa_memory_ordered 1
		.amdhsa_forward_progress 1
		.amdhsa_inst_pref_size 3
		.amdhsa_round_robin_scheduling 0
		.amdhsa_exception_fp_ieee_invalid_op 0
		.amdhsa_exception_fp_denorm_src 0
		.amdhsa_exception_fp_ieee_div_zero 0
		.amdhsa_exception_fp_ieee_overflow 0
		.amdhsa_exception_fp_ieee_underflow 0
		.amdhsa_exception_fp_ieee_inexact 0
		.amdhsa_exception_int_div_zero 0
	.end_amdhsa_kernel
	.section	.text._ZN9rocsolver6v33100L13conj_in_placeI19rocblas_complex_numIdEiPS3_TnNSt9enable_ifIX18rocblas_is_complexIT_EEiE4typeELi0EEEvT0_S9_T1_lS9_l,"axG",@progbits,_ZN9rocsolver6v33100L13conj_in_placeI19rocblas_complex_numIdEiPS3_TnNSt9enable_ifIX18rocblas_is_complexIT_EEiE4typeELi0EEEvT0_S9_T1_lS9_l,comdat
.Lfunc_end146:
	.size	_ZN9rocsolver6v33100L13conj_in_placeI19rocblas_complex_numIdEiPS3_TnNSt9enable_ifIX18rocblas_is_complexIT_EEiE4typeELi0EEEvT0_S9_T1_lS9_l, .Lfunc_end146-_ZN9rocsolver6v33100L13conj_in_placeI19rocblas_complex_numIdEiPS3_TnNSt9enable_ifIX18rocblas_is_complexIT_EEiE4typeELi0EEEvT0_S9_T1_lS9_l
                                        ; -- End function
	.set _ZN9rocsolver6v33100L13conj_in_placeI19rocblas_complex_numIdEiPS3_TnNSt9enable_ifIX18rocblas_is_complexIT_EEiE4typeELi0EEEvT0_S9_T1_lS9_l.num_vgpr, 8
	.set _ZN9rocsolver6v33100L13conj_in_placeI19rocblas_complex_numIdEiPS3_TnNSt9enable_ifIX18rocblas_is_complexIT_EEiE4typeELi0EEEvT0_S9_T1_lS9_l.num_agpr, 0
	.set _ZN9rocsolver6v33100L13conj_in_placeI19rocblas_complex_numIdEiPS3_TnNSt9enable_ifIX18rocblas_is_complexIT_EEiE4typeELi0EEEvT0_S9_T1_lS9_l.numbered_sgpr, 14
	.set _ZN9rocsolver6v33100L13conj_in_placeI19rocblas_complex_numIdEiPS3_TnNSt9enable_ifIX18rocblas_is_complexIT_EEiE4typeELi0EEEvT0_S9_T1_lS9_l.num_named_barrier, 0
	.set _ZN9rocsolver6v33100L13conj_in_placeI19rocblas_complex_numIdEiPS3_TnNSt9enable_ifIX18rocblas_is_complexIT_EEiE4typeELi0EEEvT0_S9_T1_lS9_l.private_seg_size, 0
	.set _ZN9rocsolver6v33100L13conj_in_placeI19rocblas_complex_numIdEiPS3_TnNSt9enable_ifIX18rocblas_is_complexIT_EEiE4typeELi0EEEvT0_S9_T1_lS9_l.uses_vcc, 1
	.set _ZN9rocsolver6v33100L13conj_in_placeI19rocblas_complex_numIdEiPS3_TnNSt9enable_ifIX18rocblas_is_complexIT_EEiE4typeELi0EEEvT0_S9_T1_lS9_l.uses_flat_scratch, 0
	.set _ZN9rocsolver6v33100L13conj_in_placeI19rocblas_complex_numIdEiPS3_TnNSt9enable_ifIX18rocblas_is_complexIT_EEiE4typeELi0EEEvT0_S9_T1_lS9_l.has_dyn_sized_stack, 0
	.set _ZN9rocsolver6v33100L13conj_in_placeI19rocblas_complex_numIdEiPS3_TnNSt9enable_ifIX18rocblas_is_complexIT_EEiE4typeELi0EEEvT0_S9_T1_lS9_l.has_recursion, 0
	.set _ZN9rocsolver6v33100L13conj_in_placeI19rocblas_complex_numIdEiPS3_TnNSt9enable_ifIX18rocblas_is_complexIT_EEiE4typeELi0EEEvT0_S9_T1_lS9_l.has_indirect_call, 0
	.section	.AMDGPU.csdata,"",@progbits
; Kernel info:
; codeLenInByte = 380
; TotalNumSgprs: 16
; NumVgprs: 8
; ScratchSize: 0
; MemoryBound: 0
; FloatMode: 240
; IeeeMode: 1
; LDSByteSize: 0 bytes/workgroup (compile time only)
; SGPRBlocks: 0
; VGPRBlocks: 0
; NumSGPRsForWavesPerEU: 16
; NumVGPRsForWavesPerEU: 8
; NamedBarCnt: 0
; Occupancy: 16
; WaveLimiterHint : 0
; COMPUTE_PGM_RSRC2:SCRATCH_EN: 0
; COMPUTE_PGM_RSRC2:USER_SGPR: 2
; COMPUTE_PGM_RSRC2:TRAP_HANDLER: 0
; COMPUTE_PGM_RSRC2:TGID_X_EN: 1
; COMPUTE_PGM_RSRC2:TGID_Y_EN: 1
; COMPUTE_PGM_RSRC2:TGID_Z_EN: 1
; COMPUTE_PGM_RSRC2:TIDIG_COMP_CNT: 1
	.section	.text._ZN9rocsolver6v33100L16larf_left_kernelILi1024E19rocblas_complex_numIdEiPS3_EEvT1_S5_T2_lS5_lPKT0_lS6_lS5_l,"axG",@progbits,_ZN9rocsolver6v33100L16larf_left_kernelILi1024E19rocblas_complex_numIdEiPS3_EEvT1_S5_T2_lS5_lPKT0_lS6_lS5_l,comdat
	.globl	_ZN9rocsolver6v33100L16larf_left_kernelILi1024E19rocblas_complex_numIdEiPS3_EEvT1_S5_T2_lS5_lPKT0_lS6_lS5_l ; -- Begin function _ZN9rocsolver6v33100L16larf_left_kernelILi1024E19rocblas_complex_numIdEiPS3_EEvT1_S5_T2_lS5_lPKT0_lS6_lS5_l
	.p2align	8
	.type	_ZN9rocsolver6v33100L16larf_left_kernelILi1024E19rocblas_complex_numIdEiPS3_EEvT1_S5_T2_lS5_lPKT0_lS6_lS5_l,@function
_ZN9rocsolver6v33100L16larf_left_kernelILi1024E19rocblas_complex_numIdEiPS3_EEvT1_S5_T2_lS5_lPKT0_lS6_lS5_l: ; @_ZN9rocsolver6v33100L16larf_left_kernelILi1024E19rocblas_complex_numIdEiPS3_EEvT1_S5_T2_lS5_lPKT0_lS6_lS5_l
; %bb.0:
	s_clause 0x3
	s_load_b96 s[12:14], s[0:1], 0x40
	s_load_b64 s[16:17], s[0:1], 0x50
	s_load_b32 s18, s[0:1], 0x0
	s_load_b256 s[4:11], s[0:1], 0x20
	s_bfe_u32 s2, ttmp6, 0x40010
	s_bfe_u32 s20, ttmp6, 0x40014
	s_and_b32 s15, ttmp7, 0xffff
	s_lshr_b32 s22, ttmp7, 16
	s_add_co_i32 s2, s2, 1
	s_add_co_i32 s20, s20, 1
	s_bfe_u32 s19, ttmp6, 0x40004
	s_bfe_u32 s21, ttmp6, 0x40008
	s_mul_i32 s2, s15, s2
	s_mul_i32 s20, s22, s20
	s_getreg_b32 s23, hwreg(HW_REG_IB_STS2, 6, 4)
	v_mov_b64_e32 v[4:5], 0
	s_add_co_i32 s19, s19, s2
	s_add_co_i32 s2, s21, s20
	v_mov_b64_e32 v[6:7], 0
	s_mov_b32 s3, 0
	s_wait_kmcnt 0x0
	s_ashr_i32 s21, s14, 31
	s_cmp_eq_u32 s23, 0
	v_cmp_gt_i32_e32 vcc_lo, s18, v0
	v_lshlrev_b32_e32 v2, 4, v0
	s_mov_b32 s20, s14
	s_cselect_b32 s2, s22, s2
	s_cselect_b32 s22, s15, s19
	s_mov_b32 s23, s3
	s_mul_u64 s[14:15], s[16:17], s[2:3]
	s_mul_u64 s[16:17], s[22:23], s[20:21]
	s_and_saveexec_b32 s19, vcc_lo
	s_cbranch_execz .LBB147_6
; %bb.1:
	s_clause 0x1
	s_load_b32 s24, s[0:1], 0x18
	s_load_b128 s[20:23], s[0:1], 0x8
	v_dual_mov_b32 v1, 0 :: v_dual_mov_b32 v6, v0
	s_wait_xcnt 0x0
	s_sub_co_i32 s1, 1, s18
	s_mul_u64 s[4:5], s[4:5], s[2:3]
	s_wait_kmcnt 0x0
	s_ashr_i32 s25, s24, 31
	s_mul_i32 s1, s24, s1
	v_mul_u64_e32 v[4:5], s[24:25], v[0:1]
	v_cmp_lt_i64_e64 s0, s[24:25], 1
	v_add3_u32 v1, v2, 0, 0x200
	s_delay_alu instid0(VALU_DEP_1)
	v_mov_b32_e32 v3, v1
	s_and_b32 s0, s0, exec_lo
	s_cselect_b32 s0, s1, 0
	s_lshl_b64 s[22:23], s[22:23], 4
	s_ashr_i32 s1, s0, 31
	s_lshl_b64 s[4:5], s[4:5], 4
	s_lshl_b64 s[0:1], s[0:1], 4
	s_delay_alu instid0(SALU_CYCLE_1) | instskip(NEXT) | instid1(SALU_CYCLE_1)
	s_add_nc_u64 s[0:1], s[20:21], s[0:1]
	s_add_nc_u64 s[0:1], s[0:1], s[22:23]
	s_delay_alu instid0(SALU_CYCLE_1)
	s_add_nc_u64 s[0:1], s[0:1], s[4:5]
	s_lshl_b64 s[4:5], s[24:25], 14
	v_lshl_add_u64 v[4:5], v[4:5], 4, s[0:1]
	s_mov_b32 s1, s3
.LBB147_2:                              ; =>This Inner Loop Header: Depth=1
	global_load_b128 v[8:11], v[4:5], off
	v_add_nc_u32_e32 v6, 0x400, v6
	s_wait_xcnt 0x0
	v_add_nc_u64_e32 v[4:5], s[4:5], v[4:5]
	s_delay_alu instid0(VALU_DEP_2)
	v_cmp_le_i32_e64 s0, s18, v6
	s_or_b32 s1, s0, s1
	s_wait_loadcnt 0x0
	ds_store_2addr_b64 v3, v[8:9], v[10:11] offset1:1
	v_add_nc_u32_e32 v3, 0x4000, v3
	s_and_not1_b32 exec_lo, exec_lo, s1
	s_cbranch_execnz .LBB147_2
; %bb.3:
	s_or_b32 exec_lo, exec_lo, s1
	s_lshl_b64 s[0:1], s[14:15], 4
	s_lshl_b64 s[4:5], s[16:17], 4
	v_dual_mov_b32 v5, 0 :: v_dual_lshlrev_b32 v4, 4, v0
	s_add_nc_u64 s[0:1], s[0:1], s[4:5]
	s_lshl_b64 s[4:5], s[12:13], 4
	v_mov_b32_e32 v3, v0
	s_add_nc_u64 s[0:1], s[0:1], s[4:5]
	s_delay_alu instid0(SALU_CYCLE_1) | instskip(NEXT) | instid1(SALU_CYCLE_1)
	s_add_nc_u64 s[0:1], s[10:11], s[0:1]
	v_add_nc_u64_e32 v[6:7], s[0:1], v[4:5]
	v_mov_b64_e32 v[4:5], 0
	s_mov_b32 s1, 0
	s_delay_alu instid0(VALU_DEP_2)
	v_add_nc_u64_e32 v[8:9], 8, v[6:7]
	v_mov_b64_e32 v[6:7], 0
.LBB147_4:                              ; =>This Inner Loop Header: Depth=1
	global_load_b128 v[10:13], v[8:9], off offset:-8
	ds_load_2addr_b64 v[14:17], v1 offset1:1
	v_add_nc_u32_e32 v3, 0x400, v3
	s_wait_xcnt 0x0
	v_add_nc_u64_e32 v[8:9], 0x4000, v[8:9]
	v_add_nc_u32_e32 v1, 0x4000, v1
	s_delay_alu instid0(VALU_DEP_3) | instskip(SKIP_4) | instid1(VALU_DEP_2)
	v_cmp_le_i32_e64 s0, s18, v3
	s_or_b32 s1, s0, s1
	s_wait_loadcnt_dscnt 0x0
	v_mul_f64_e32 v[18:19], v[12:13], v[16:17]
	v_mul_f64_e32 v[12:13], v[12:13], v[14:15]
	v_fmac_f64_e32 v[18:19], v[10:11], v[14:15]
	s_delay_alu instid0(VALU_DEP_2) | instskip(NEXT) | instid1(VALU_DEP_2)
	v_fma_f64 v[10:11], v[10:11], v[16:17], -v[12:13]
	v_add_f64_e32 v[6:7], v[6:7], v[18:19]
	s_delay_alu instid0(VALU_DEP_2)
	v_add_f64_e32 v[4:5], v[4:5], v[10:11]
	s_and_not1_b32 exec_lo, exec_lo, s1
	s_cbranch_execnz .LBB147_4
; %bb.5:
	s_or_b32 exec_lo, exec_lo, s1
.LBB147_6:
	s_delay_alu instid0(SALU_CYCLE_1) | instskip(SKIP_2) | instid1(VALU_DEP_1)
	s_or_b32 exec_lo, exec_lo, s19
	v_mbcnt_lo_u32_b32 v1, -1, 0
	s_mov_b32 s1, exec_lo
	v_cmp_ne_u32_e64 s0, 31, v1
	s_delay_alu instid0(VALU_DEP_1) | instskip(SKIP_1) | instid1(VALU_DEP_2)
	v_add_co_ci_u32_e64 v3, null, 0, v1, s0
	v_cmp_gt_u32_e64 s0, 30, v1
	v_lshlrev_b32_e32 v3, 2, v3
	ds_bpermute_b32 v8, v3, v6
	ds_bpermute_b32 v9, v3, v7
	s_wait_dscnt 0x0
	v_add_f64_e32 v[6:7], v[6:7], v[8:9]
	ds_bpermute_b32 v10, v3, v4
	ds_bpermute_b32 v11, v3, v5
	v_cndmask_b32_e64 v3, 0, 2, s0
	v_cmp_gt_u32_e64 s0, 28, v1
	s_delay_alu instid0(VALU_DEP_2)
	v_add_lshl_u32 v3, v3, v1, 2
	s_wait_dscnt 0x0
	v_add_f64_e32 v[4:5], v[4:5], v[10:11]
	ds_bpermute_b32 v8, v3, v6
	ds_bpermute_b32 v9, v3, v7
	s_wait_dscnt 0x0
	v_add_f64_e32 v[6:7], v[6:7], v[8:9]
	ds_bpermute_b32 v10, v3, v4
	ds_bpermute_b32 v11, v3, v5
	v_cndmask_b32_e64 v3, 0, 4, s0
	v_cmp_gt_u32_e64 s0, 24, v1
	s_delay_alu instid0(VALU_DEP_2)
	v_add_lshl_u32 v3, v3, v1, 2
	s_wait_dscnt 0x0
	v_add_f64_e32 v[4:5], v[4:5], v[10:11]
	ds_bpermute_b32 v8, v3, v6
	ds_bpermute_b32 v9, v3, v7
	s_wait_dscnt 0x0
	v_add_f64_e32 v[6:7], v[6:7], v[8:9]
	ds_bpermute_b32 v10, v3, v4
	ds_bpermute_b32 v11, v3, v5
	v_cndmask_b32_e64 v3, 0, 8, s0
	s_delay_alu instid0(VALU_DEP_1)
	v_add_lshl_u32 v3, v3, v1, 2
	v_lshl_or_b32 v1, v1, 2, 64
	s_wait_dscnt 0x0
	v_add_f64_e32 v[4:5], v[4:5], v[10:11]
	ds_bpermute_b32 v8, v3, v6
	ds_bpermute_b32 v9, v3, v7
	s_wait_dscnt 0x0
	v_add_f64_e32 v[6:7], v[6:7], v[8:9]
	ds_bpermute_b32 v10, v3, v4
	ds_bpermute_b32 v11, v3, v5
	;; [unrolled: 4-line block ×4, first 2 shown]
	s_wait_dscnt 0x0
	v_dual_add_f64 v[6:7], v[8:9], v[10:11] :: v_dual_bitop2_b32 v1, 31, v0 bitop3:0x40
	s_delay_alu instid0(VALU_DEP_1)
	v_cmpx_eq_u32_e32 0, v1
; %bb.7:
	v_lshrrev_b32_e32 v1, 1, v0
	s_delay_alu instid0(VALU_DEP_1)
	v_add_nc_u32_e32 v1, 0, v1
	ds_store_2addr_b64 v1, v[4:5], v[6:7] offset1:1
; %bb.8:
	s_or_b32 exec_lo, exec_lo, s1
	s_delay_alu instid0(SALU_CYCLE_1)
	s_mov_b32 s1, exec_lo
	s_wait_dscnt 0x0
	s_barrier_signal -1
	s_barrier_wait -1
	v_cmpx_eq_u32_e32 0, v0
	s_cbranch_execz .LBB147_10
; %bb.9:
	v_mov_b32_e32 v1, 0
	ds_load_2addr_b64 v[8:11], v1 offset0:2 offset1:3
	ds_load_2addr_b64 v[12:15], v1 offset0:4 offset1:5
	s_wait_dscnt 0x1
	v_add_f64_e32 v[4:5], v[4:5], v[8:9]
	v_add_f64_e32 v[6:7], v[6:7], v[10:11]
	s_wait_dscnt 0x0
	s_delay_alu instid0(VALU_DEP_2) | instskip(NEXT) | instid1(VALU_DEP_2)
	v_add_f64_e32 v[12:13], v[4:5], v[12:13]
	v_add_f64_e32 v[14:15], v[6:7], v[14:15]
	ds_load_2addr_b64 v[4:7], v1 offset0:6 offset1:7
	ds_load_2addr_b64 v[8:11], v1 offset0:8 offset1:9
	s_wait_dscnt 0x1
	v_add_f64_e32 v[4:5], v[12:13], v[4:5]
	v_add_f64_e32 v[6:7], v[14:15], v[6:7]
	s_wait_dscnt 0x0
	s_delay_alu instid0(VALU_DEP_2) | instskip(NEXT) | instid1(VALU_DEP_2)
	v_add_f64_e32 v[12:13], v[4:5], v[8:9]
	v_add_f64_e32 v[14:15], v[6:7], v[10:11]
	;; [unrolled: 9-line block ×15, first 2 shown]
	ds_load_2addr_b64 v[4:7], v1 offset0:62 offset1:63
	s_wait_dscnt 0x0
	v_add_f64_e32 v[4:5], v[8:9], v[4:5]
	v_add_f64_e32 v[6:7], v[10:11], v[6:7]
	ds_store_2addr_b64 v1, v[4:5], v[6:7] offset1:1
.LBB147_10:
	s_or_b32 exec_lo, exec_lo, s1
	s_wait_dscnt 0x0
	s_barrier_signal -1
	s_barrier_wait -1
	s_and_saveexec_b32 s0, vcc_lo
	s_cbranch_execz .LBB147_13
; %bb.11:
	s_mul_u64 s[0:1], s[8:9], s[2:3]
	v_add3_u32 v1, v2, 0, 0x200
	s_lshl_b64 s[0:1], s[0:1], 4
	s_delay_alu instid0(SALU_CYCLE_1)
	s_add_nc_u64 s[4:5], s[6:7], s[0:1]
	s_load_b128 s[0:3], s[4:5], 0x0
	v_mov_b32_e32 v3, 0
	ds_load_2addr_b64 v[4:7], v3 offset1:1
	s_wait_dscnt 0x0
	s_wait_kmcnt 0x0
	v_mul_f64_e32 v[8:9], s[2:3], v[6:7]
	v_mul_f64_e32 v[10:11], s[2:3], v[4:5]
	s_lshl_b64 s[2:3], s[16:17], 4
	s_delay_alu instid0(VALU_DEP_2) | instskip(NEXT) | instid1(VALU_DEP_2)
	v_fma_f64 v[4:5], v[4:5], -s[0:1], -v[8:9]
	v_fma_f64 v[6:7], s[0:1], v[6:7], -v[10:11]
	s_lshl_b64 s[0:1], s[14:15], 4
	s_delay_alu instid0(SALU_CYCLE_1) | instskip(SKIP_1) | instid1(SALU_CYCLE_1)
	s_add_nc_u64 s[0:1], s[0:1], s[2:3]
	s_lshl_b64 s[2:3], s[12:13], 4
	s_add_nc_u64 s[0:1], s[0:1], s[2:3]
	s_delay_alu instid0(SALU_CYCLE_1) | instskip(NEXT) | instid1(SALU_CYCLE_1)
	s_add_nc_u64 s[0:1], s[10:11], s[0:1]
	v_add_nc_u64_e32 v[8:9], s[0:1], v[2:3]
	s_mov_b32 s0, 0
	s_delay_alu instid0(VALU_DEP_1)
	v_add_nc_u64_e32 v[8:9], 8, v[8:9]
.LBB147_12:                             ; =>This Inner Loop Header: Depth=1
	global_load_b128 v[10:13], v[8:9], off offset:-8
	ds_load_2addr_b64 v[14:17], v1 offset1:1
	v_add_nc_u32_e32 v0, 0x400, v0
	v_add_nc_u32_e32 v1, 0x4000, v1
	s_delay_alu instid0(VALU_DEP_2) | instskip(SKIP_4) | instid1(VALU_DEP_2)
	v_cmp_le_i32_e32 vcc_lo, s18, v0
	s_or_b32 s0, vcc_lo, s0
	s_wait_dscnt 0x0
	v_mul_f64_e32 v[2:3], v[6:7], v[16:17]
	v_mul_f64_e32 v[16:17], v[4:5], v[16:17]
	v_fma_f64 v[2:3], v[4:5], v[14:15], -v[2:3]
	s_delay_alu instid0(VALU_DEP_2) | instskip(SKIP_1) | instid1(VALU_DEP_2)
	v_fmac_f64_e32 v[16:17], v[6:7], v[14:15]
	s_wait_loadcnt 0x0
	v_add_f64_e32 v[10:11], v[10:11], v[2:3]
	s_delay_alu instid0(VALU_DEP_2)
	v_add_f64_e32 v[12:13], v[16:17], v[12:13]
	global_store_b128 v[8:9], v[10:13], off offset:-8
	s_wait_xcnt 0x0
	v_add_nc_u64_e32 v[8:9], 0x4000, v[8:9]
	s_and_not1_b32 exec_lo, exec_lo, s0
	s_cbranch_execnz .LBB147_12
.LBB147_13:
	s_endpgm
	.section	.rodata,"a",@progbits
	.p2align	6, 0x0
	.amdhsa_kernel _ZN9rocsolver6v33100L16larf_left_kernelILi1024E19rocblas_complex_numIdEiPS3_EEvT1_S5_T2_lS5_lPKT0_lS6_lS5_l
		.amdhsa_group_segment_fixed_size 0
		.amdhsa_private_segment_fixed_size 0
		.amdhsa_kernarg_size 88
		.amdhsa_user_sgpr_count 2
		.amdhsa_user_sgpr_dispatch_ptr 0
		.amdhsa_user_sgpr_queue_ptr 0
		.amdhsa_user_sgpr_kernarg_segment_ptr 1
		.amdhsa_user_sgpr_dispatch_id 0
		.amdhsa_user_sgpr_kernarg_preload_length 0
		.amdhsa_user_sgpr_kernarg_preload_offset 0
		.amdhsa_user_sgpr_private_segment_size 0
		.amdhsa_wavefront_size32 1
		.amdhsa_uses_dynamic_stack 0
		.amdhsa_enable_private_segment 0
		.amdhsa_system_sgpr_workgroup_id_x 1
		.amdhsa_system_sgpr_workgroup_id_y 1
		.amdhsa_system_sgpr_workgroup_id_z 1
		.amdhsa_system_sgpr_workgroup_info 0
		.amdhsa_system_vgpr_workitem_id 0
		.amdhsa_next_free_vgpr 20
		.amdhsa_next_free_sgpr 26
		.amdhsa_named_barrier_count 0
		.amdhsa_reserve_vcc 1
		.amdhsa_float_round_mode_32 0
		.amdhsa_float_round_mode_16_64 0
		.amdhsa_float_denorm_mode_32 3
		.amdhsa_float_denorm_mode_16_64 3
		.amdhsa_fp16_overflow 0
		.amdhsa_memory_ordered 1
		.amdhsa_forward_progress 1
		.amdhsa_inst_pref_size 16
		.amdhsa_round_robin_scheduling 0
		.amdhsa_exception_fp_ieee_invalid_op 0
		.amdhsa_exception_fp_denorm_src 0
		.amdhsa_exception_fp_ieee_div_zero 0
		.amdhsa_exception_fp_ieee_overflow 0
		.amdhsa_exception_fp_ieee_underflow 0
		.amdhsa_exception_fp_ieee_inexact 0
		.amdhsa_exception_int_div_zero 0
	.end_amdhsa_kernel
	.section	.text._ZN9rocsolver6v33100L16larf_left_kernelILi1024E19rocblas_complex_numIdEiPS3_EEvT1_S5_T2_lS5_lPKT0_lS6_lS5_l,"axG",@progbits,_ZN9rocsolver6v33100L16larf_left_kernelILi1024E19rocblas_complex_numIdEiPS3_EEvT1_S5_T2_lS5_lPKT0_lS6_lS5_l,comdat
.Lfunc_end147:
	.size	_ZN9rocsolver6v33100L16larf_left_kernelILi1024E19rocblas_complex_numIdEiPS3_EEvT1_S5_T2_lS5_lPKT0_lS6_lS5_l, .Lfunc_end147-_ZN9rocsolver6v33100L16larf_left_kernelILi1024E19rocblas_complex_numIdEiPS3_EEvT1_S5_T2_lS5_lPKT0_lS6_lS5_l
                                        ; -- End function
	.set _ZN9rocsolver6v33100L16larf_left_kernelILi1024E19rocblas_complex_numIdEiPS3_EEvT1_S5_T2_lS5_lPKT0_lS6_lS5_l.num_vgpr, 20
	.set _ZN9rocsolver6v33100L16larf_left_kernelILi1024E19rocblas_complex_numIdEiPS3_EEvT1_S5_T2_lS5_lPKT0_lS6_lS5_l.num_agpr, 0
	.set _ZN9rocsolver6v33100L16larf_left_kernelILi1024E19rocblas_complex_numIdEiPS3_EEvT1_S5_T2_lS5_lPKT0_lS6_lS5_l.numbered_sgpr, 26
	.set _ZN9rocsolver6v33100L16larf_left_kernelILi1024E19rocblas_complex_numIdEiPS3_EEvT1_S5_T2_lS5_lPKT0_lS6_lS5_l.num_named_barrier, 0
	.set _ZN9rocsolver6v33100L16larf_left_kernelILi1024E19rocblas_complex_numIdEiPS3_EEvT1_S5_T2_lS5_lPKT0_lS6_lS5_l.private_seg_size, 0
	.set _ZN9rocsolver6v33100L16larf_left_kernelILi1024E19rocblas_complex_numIdEiPS3_EEvT1_S5_T2_lS5_lPKT0_lS6_lS5_l.uses_vcc, 1
	.set _ZN9rocsolver6v33100L16larf_left_kernelILi1024E19rocblas_complex_numIdEiPS3_EEvT1_S5_T2_lS5_lPKT0_lS6_lS5_l.uses_flat_scratch, 0
	.set _ZN9rocsolver6v33100L16larf_left_kernelILi1024E19rocblas_complex_numIdEiPS3_EEvT1_S5_T2_lS5_lPKT0_lS6_lS5_l.has_dyn_sized_stack, 0
	.set _ZN9rocsolver6v33100L16larf_left_kernelILi1024E19rocblas_complex_numIdEiPS3_EEvT1_S5_T2_lS5_lPKT0_lS6_lS5_l.has_recursion, 0
	.set _ZN9rocsolver6v33100L16larf_left_kernelILi1024E19rocblas_complex_numIdEiPS3_EEvT1_S5_T2_lS5_lPKT0_lS6_lS5_l.has_indirect_call, 0
	.section	.AMDGPU.csdata,"",@progbits
; Kernel info:
; codeLenInByte = 1992
; TotalNumSgprs: 28
; NumVgprs: 20
; ScratchSize: 0
; MemoryBound: 0
; FloatMode: 240
; IeeeMode: 1
; LDSByteSize: 0 bytes/workgroup (compile time only)
; SGPRBlocks: 0
; VGPRBlocks: 1
; NumSGPRsForWavesPerEU: 28
; NumVGPRsForWavesPerEU: 20
; NamedBarCnt: 0
; Occupancy: 16
; WaveLimiterHint : 0
; COMPUTE_PGM_RSRC2:SCRATCH_EN: 0
; COMPUTE_PGM_RSRC2:USER_SGPR: 2
; COMPUTE_PGM_RSRC2:TRAP_HANDLER: 0
; COMPUTE_PGM_RSRC2:TGID_X_EN: 1
; COMPUTE_PGM_RSRC2:TGID_Y_EN: 1
; COMPUTE_PGM_RSRC2:TGID_Z_EN: 1
; COMPUTE_PGM_RSRC2:TIDIG_COMP_CNT: 0
	.section	.text._ZN9rocsolver6v33100L17larf_right_kernelILi1024E19rocblas_complex_numIdEiPS3_EEvT1_S5_T2_lS5_lPKT0_lS6_lS5_l,"axG",@progbits,_ZN9rocsolver6v33100L17larf_right_kernelILi1024E19rocblas_complex_numIdEiPS3_EEvT1_S5_T2_lS5_lPKT0_lS6_lS5_l,comdat
	.globl	_ZN9rocsolver6v33100L17larf_right_kernelILi1024E19rocblas_complex_numIdEiPS3_EEvT1_S5_T2_lS5_lPKT0_lS6_lS5_l ; -- Begin function _ZN9rocsolver6v33100L17larf_right_kernelILi1024E19rocblas_complex_numIdEiPS3_EEvT1_S5_T2_lS5_lPKT0_lS6_lS5_l
	.p2align	8
	.type	_ZN9rocsolver6v33100L17larf_right_kernelILi1024E19rocblas_complex_numIdEiPS3_EEvT1_S5_T2_lS5_lPKT0_lS6_lS5_l,@function
_ZN9rocsolver6v33100L17larf_right_kernelILi1024E19rocblas_complex_numIdEiPS3_EEvT1_S5_T2_lS5_lPKT0_lS6_lS5_l: ; @_ZN9rocsolver6v33100L17larf_right_kernelILi1024E19rocblas_complex_numIdEiPS3_EEvT1_S5_T2_lS5_lPKT0_lS6_lS5_l
; %bb.0:
	s_clause 0x3
	s_load_b32 s15, s[0:1], 0x4
	s_load_b256 s[4:11], s[0:1], 0x20
	s_load_b96 s[12:14], s[0:1], 0x40
	s_load_b64 s[2:3], s[0:1], 0x50
	s_bfe_u32 s16, ttmp6, 0x40010
	s_and_b32 s18, ttmp7, 0xffff
	s_add_co_i32 s16, s16, 1
	s_bfe_u32 s20, ttmp6, 0x40014
	s_mul_i32 s16, s18, s16
	s_bfe_u32 s19, ttmp6, 0x40004
	s_lshr_b32 s21, ttmp7, 16
	s_add_co_i32 s20, s20, 1
	s_add_co_i32 s19, s19, s16
	s_mul_i32 s16, s21, s20
	s_bfe_u32 s20, ttmp6, 0x40008
	s_getreg_b32 s22, hwreg(HW_REG_IB_STS2, 6, 4)
	s_add_co_i32 s20, s20, s16
	v_mov_b64_e32 v[2:3], 0
	v_mov_b64_e32 v[4:5], 0
	s_cmp_eq_u32 s22, 0
	s_wait_kmcnt 0x0
	v_cmp_gt_i32_e32 vcc_lo, s15, v0
	v_lshlrev_b32_e32 v8, 4, v0
	s_mov_b32 s17, 0
	s_cselect_b32 s16, s21, s20
	s_cselect_b32 s18, s18, s19
	s_mul_u64 s[2:3], s[2:3], s[16:17]
	s_and_saveexec_b32 s19, vcc_lo
	s_cbranch_execz .LBB148_6
; %bb.1:
	s_clause 0x1
	s_load_b32 s24, s[0:1], 0x18
	s_load_b128 s[20:23], s[0:1], 0x8
	v_add3_u32 v9, v8, 0, 0x200
	v_mov_b32_e32 v1, 0
	s_wait_xcnt 0x0
	s_sub_co_i32 s1, 1, s15
	s_mul_u64 s[4:5], s[4:5], s[16:17]
	v_dual_mov_b32 v5, v0 :: v_dual_mov_b32 v4, v9
	s_wait_kmcnt 0x0
	s_ashr_i32 s25, s24, 31
	s_mul_i32 s1, s24, s1
	v_mul_u64_e32 v[2:3], s[24:25], v[0:1]
	v_cmp_lt_i64_e64 s0, s[24:25], 1
	s_and_b32 s0, s0, exec_lo
	s_cselect_b32 s0, s1, 0
	s_lshl_b64 s[22:23], s[22:23], 4
	s_ashr_i32 s1, s0, 31
	s_lshl_b64 s[4:5], s[4:5], 4
	s_lshl_b64 s[0:1], s[0:1], 4
	s_delay_alu instid0(SALU_CYCLE_1) | instskip(NEXT) | instid1(SALU_CYCLE_1)
	s_add_nc_u64 s[0:1], s[20:21], s[0:1]
	s_add_nc_u64 s[0:1], s[0:1], s[22:23]
	s_delay_alu instid0(SALU_CYCLE_1)
	s_add_nc_u64 s[0:1], s[0:1], s[4:5]
	s_lshl_b64 s[4:5], s[24:25], 14
	v_lshl_add_u64 v[2:3], v[2:3], 4, s[0:1]
	s_mov_b32 s1, s17
.LBB148_2:                              ; =>This Inner Loop Header: Depth=1
	global_load_b128 v[10:13], v[2:3], off
	v_add_nc_u32_e32 v5, 0x400, v5
	s_wait_xcnt 0x0
	v_add_nc_u64_e32 v[2:3], s[4:5], v[2:3]
	s_delay_alu instid0(VALU_DEP_2)
	v_cmp_le_i32_e64 s0, s15, v5
	s_or_b32 s1, s0, s1
	s_wait_loadcnt 0x0
	ds_store_2addr_b64 v4, v[10:11], v[12:13] offset1:1
	v_add_nc_u32_e32 v4, 0x4000, v4
	s_and_not1_b32 exec_lo, exec_lo, s1
	s_cbranch_execnz .LBB148_2
; %bb.3:
	s_or_b32 exec_lo, exec_lo, s1
	s_ashr_i32 s5, s14, 31
	s_mov_b32 s4, s14
	s_lshl_b32 s0, s18, 4
	v_mul_u64_e32 v[2:3], s[4:5], v[0:1]
	s_mov_b32 s1, 0
	s_lshl_b64 s[20:21], s[12:13], 4
	s_add_nc_u64 s[22:23], s[10:11], s[0:1]
	s_lshl_b64 s[24:25], s[2:3], 4
	s_add_nc_u64 s[20:21], s[22:23], s[20:21]
	v_mov_b32_e32 v1, v0
	s_add_nc_u64 s[20:21], s[20:21], s[24:25]
	s_lshl_b64 s[4:5], s[4:5], 14
	s_delay_alu instid0(VALU_DEP_2) | instskip(SKIP_1) | instid1(VALU_DEP_2)
	v_lshl_add_u64 v[4:5], v[2:3], 4, s[20:21]
	v_mov_b64_e32 v[2:3], 0
	v_add_nc_u64_e32 v[6:7], 8, v[4:5]
	v_mov_b64_e32 v[4:5], 0
.LBB148_4:                              ; =>This Inner Loop Header: Depth=1
	global_load_b128 v[10:13], v[6:7], off offset:-8
	ds_load_2addr_b64 v[14:17], v9 offset1:1
	v_add_nc_u32_e32 v1, 0x400, v1
	s_wait_xcnt 0x0
	v_add_nc_u64_e32 v[6:7], s[4:5], v[6:7]
	v_add_nc_u32_e32 v9, 0x4000, v9
	s_delay_alu instid0(VALU_DEP_3) | instskip(SKIP_4) | instid1(VALU_DEP_2)
	v_cmp_le_i32_e64 s0, s15, v1
	s_or_b32 s1, s0, s1
	s_wait_loadcnt_dscnt 0x0
	v_mul_f64_e32 v[18:19], v[16:17], v[12:13]
	v_mul_f64_e32 v[12:13], v[14:15], v[12:13]
	v_fma_f64 v[14:15], v[14:15], v[10:11], -v[18:19]
	s_delay_alu instid0(VALU_DEP_2) | instskip(NEXT) | instid1(VALU_DEP_2)
	v_fmac_f64_e32 v[12:13], v[16:17], v[10:11]
	v_add_f64_e32 v[4:5], v[4:5], v[14:15]
	s_delay_alu instid0(VALU_DEP_2)
	v_add_f64_e32 v[2:3], v[2:3], v[12:13]
	s_and_not1_b32 exec_lo, exec_lo, s1
	s_cbranch_execnz .LBB148_4
; %bb.5:
	s_or_b32 exec_lo, exec_lo, s1
.LBB148_6:
	s_delay_alu instid0(SALU_CYCLE_1) | instskip(SKIP_2) | instid1(VALU_DEP_1)
	s_or_b32 exec_lo, exec_lo, s19
	v_mbcnt_lo_u32_b32 v1, -1, 0
	s_mov_b32 s1, exec_lo
	v_cmp_ne_u32_e64 s0, 31, v1
	s_delay_alu instid0(VALU_DEP_1) | instskip(SKIP_1) | instid1(VALU_DEP_2)
	v_add_co_ci_u32_e64 v6, null, 0, v1, s0
	v_cmp_gt_u32_e64 s0, 30, v1
	v_lshlrev_b32_e32 v9, 2, v6
	ds_bpermute_b32 v6, v9, v4
	ds_bpermute_b32 v7, v9, v5
	;; [unrolled: 1-line block ×4, first 2 shown]
	s_wait_dscnt 0x2
	v_add_f64_e32 v[4:5], v[4:5], v[6:7]
	v_cndmask_b32_e64 v6, 0, 2, s0
	s_wait_dscnt 0x0
	v_add_f64_e32 v[2:3], v[2:3], v[10:11]
	v_cmp_gt_u32_e64 s0, 28, v1
	s_delay_alu instid0(VALU_DEP_3)
	v_add_lshl_u32 v9, v6, v1, 2
	ds_bpermute_b32 v6, v9, v4
	ds_bpermute_b32 v7, v9, v5
	;; [unrolled: 1-line block ×4, first 2 shown]
	s_wait_dscnt 0x2
	v_add_f64_e32 v[4:5], v[4:5], v[6:7]
	v_cndmask_b32_e64 v6, 0, 4, s0
	s_wait_dscnt 0x0
	v_add_f64_e32 v[2:3], v[2:3], v[10:11]
	v_cmp_gt_u32_e64 s0, 24, v1
	s_delay_alu instid0(VALU_DEP_3)
	v_add_lshl_u32 v9, v6, v1, 2
	ds_bpermute_b32 v6, v9, v4
	ds_bpermute_b32 v7, v9, v5
	;; [unrolled: 1-line block ×4, first 2 shown]
	s_wait_dscnt 0x2
	v_add_f64_e32 v[4:5], v[4:5], v[6:7]
	v_cndmask_b32_e64 v6, 0, 8, s0
	s_wait_dscnt 0x0
	v_add_f64_e32 v[2:3], v[2:3], v[10:11]
	s_delay_alu instid0(VALU_DEP_2)
	v_add_lshl_u32 v9, v6, v1, 2
	v_lshl_or_b32 v1, v1, 2, 64
	ds_bpermute_b32 v6, v9, v4
	ds_bpermute_b32 v7, v9, v5
	;; [unrolled: 1-line block ×4, first 2 shown]
	s_wait_dscnt 0x2
	v_add_f64_e32 v[4:5], v[4:5], v[6:7]
	s_wait_dscnt 0x0
	v_add_f64_e32 v[6:7], v[2:3], v[10:11]
	ds_bpermute_b32 v2, v1, v4
	ds_bpermute_b32 v3, v1, v5
	;; [unrolled: 1-line block ×4, first 2 shown]
	s_wait_dscnt 0x2
	v_dual_add_f64 v[2:3], v[4:5], v[2:3] :: v_dual_bitop2_b32 v1, 31, v0 bitop3:0x40
	s_wait_dscnt 0x0
	v_add_f64_e32 v[4:5], v[6:7], v[10:11]
	s_delay_alu instid0(VALU_DEP_2)
	v_cmpx_eq_u32_e32 0, v1
; %bb.7:
	v_lshrrev_b32_e32 v1, 1, v0
	s_delay_alu instid0(VALU_DEP_1)
	v_add_nc_u32_e32 v1, 0, v1
	ds_store_2addr_b64 v1, v[2:3], v[4:5] offset1:1
; %bb.8:
	s_or_b32 exec_lo, exec_lo, s1
	s_delay_alu instid0(SALU_CYCLE_1)
	s_mov_b32 s1, exec_lo
	s_wait_dscnt 0x0
	s_barrier_signal -1
	s_barrier_wait -1
	v_cmpx_eq_u32_e32 0, v0
	s_cbranch_execz .LBB148_10
; %bb.9:
	v_mov_b32_e32 v1, 0
	ds_load_2addr_b64 v[10:13], v1 offset0:2 offset1:3
	ds_load_2addr_b64 v[14:17], v1 offset0:4 offset1:5
	s_wait_dscnt 0x1
	v_add_f64_e32 v[2:3], v[2:3], v[10:11]
	v_add_f64_e32 v[4:5], v[4:5], v[12:13]
	s_wait_dscnt 0x0
	s_delay_alu instid0(VALU_DEP_2) | instskip(NEXT) | instid1(VALU_DEP_2)
	v_add_f64_e32 v[6:7], v[2:3], v[14:15]
	v_add_f64_e32 v[14:15], v[4:5], v[16:17]
	ds_load_2addr_b64 v[2:5], v1 offset0:6 offset1:7
	ds_load_2addr_b64 v[10:13], v1 offset0:8 offset1:9
	s_wait_dscnt 0x1
	v_add_f64_e32 v[2:3], v[6:7], v[2:3]
	v_add_f64_e32 v[4:5], v[14:15], v[4:5]
	s_wait_dscnt 0x0
	s_delay_alu instid0(VALU_DEP_2) | instskip(NEXT) | instid1(VALU_DEP_2)
	v_add_f64_e32 v[6:7], v[2:3], v[10:11]
	v_add_f64_e32 v[14:15], v[4:5], v[12:13]
	;; [unrolled: 9-line block ×15, first 2 shown]
	ds_load_2addr_b64 v[2:5], v1 offset0:62 offset1:63
	s_wait_dscnt 0x0
	v_add_f64_e32 v[2:3], v[6:7], v[2:3]
	v_add_f64_e32 v[4:5], v[10:11], v[4:5]
	ds_store_2addr_b64 v1, v[2:3], v[4:5] offset1:1
.LBB148_10:
	s_or_b32 exec_lo, exec_lo, s1
	s_wait_dscnt 0x0
	s_barrier_signal -1
	s_barrier_wait -1
	s_and_saveexec_b32 s0, vcc_lo
	s_cbranch_execz .LBB148_13
; %bb.11:
	s_mul_u64 s[0:1], s[8:9], s[16:17]
	s_lshl_b64 s[2:3], s[2:3], 4
	s_lshl_b64 s[0:1], s[0:1], 4
	s_delay_alu instid0(SALU_CYCLE_1)
	s_add_nc_u64 s[0:1], s[6:7], s[0:1]
	s_load_b128 s[4:7], s[0:1], 0x0
	v_mov_b32_e32 v1, 0
	s_wait_xcnt 0x0
	s_mov_b32 s1, 0
	s_lshl_b32 s0, s18, 4
	s_delay_alu instid0(SALU_CYCLE_1)
	s_add_nc_u64 s[8:9], s[10:11], s[0:1]
	ds_load_2addr_b64 v[4:7], v1 offset1:1
	s_wait_dscnt 0x0
	s_wait_kmcnt 0x0
	v_mul_f64_e32 v[2:3], s[4:5], v[4:5]
	v_mul_f64_e32 v[10:11], s[4:5], v[6:7]
	s_ashr_i32 s5, s14, 31
	s_mov_b32 s4, s14
	s_delay_alu instid0(SALU_CYCLE_1) | instskip(SKIP_1) | instid1(VALU_DEP_4)
	v_mul_u64_e32 v[12:13], s[4:5], v[0:1]
	v_add3_u32 v1, v8, 0, 0x200
	v_fma_f64 v[2:3], s[6:7], v[6:7], -v[2:3]
	s_delay_alu instid0(VALU_DEP_4) | instskip(SKIP_1) | instid1(SALU_CYCLE_1)
	v_fma_f64 v[4:5], v[4:5], -s[6:7], -v[10:11]
	s_lshl_b64 s[6:7], s[12:13], 4
	s_add_nc_u64 s[6:7], s[8:9], s[6:7]
	s_delay_alu instid0(SALU_CYCLE_1)
	s_add_nc_u64 s[2:3], s[6:7], s[2:3]
	s_delay_alu instid0(VALU_DEP_4) | instid1(SALU_CYCLE_1)
	v_lshl_add_u64 v[6:7], v[12:13], 4, s[2:3]
	s_lshl_b64 s[2:3], s[4:5], 14
	s_delay_alu instid0(VALU_DEP_1)
	v_add_nc_u64_e32 v[6:7], 8, v[6:7]
.LBB148_12:                             ; =>This Inner Loop Header: Depth=1
	global_load_b128 v[8:11], v[6:7], off offset:-8
	ds_load_2addr_b64 v[12:15], v1 offset1:1
	v_add_nc_u32_e32 v0, 0x400, v0
	v_add_nc_u32_e32 v1, 0x4000, v1
	s_delay_alu instid0(VALU_DEP_2) | instskip(SKIP_4) | instid1(VALU_DEP_2)
	v_cmp_le_i32_e32 vcc_lo, s15, v0
	s_or_b32 s1, vcc_lo, s1
	s_wait_dscnt 0x0
	v_mul_f64_e32 v[16:17], v[4:5], v[14:15]
	v_mul_f64_e32 v[14:15], v[2:3], v[14:15]
	v_fmac_f64_e32 v[16:17], v[2:3], v[12:13]
	s_delay_alu instid0(VALU_DEP_2) | instskip(SKIP_1) | instid1(VALU_DEP_2)
	v_fma_f64 v[12:13], v[4:5], v[12:13], -v[14:15]
	s_wait_loadcnt 0x0
	v_add_f64_e32 v[8:9], v[8:9], v[16:17]
	s_delay_alu instid0(VALU_DEP_2)
	v_add_f64_e32 v[10:11], v[12:13], v[10:11]
	global_store_b128 v[6:7], v[8:11], off offset:-8
	s_wait_xcnt 0x0
	v_add_nc_u64_e32 v[6:7], s[2:3], v[6:7]
	s_and_not1_b32 exec_lo, exec_lo, s1
	s_cbranch_execnz .LBB148_12
.LBB148_13:
	s_endpgm
	.section	.rodata,"a",@progbits
	.p2align	6, 0x0
	.amdhsa_kernel _ZN9rocsolver6v33100L17larf_right_kernelILi1024E19rocblas_complex_numIdEiPS3_EEvT1_S5_T2_lS5_lPKT0_lS6_lS5_l
		.amdhsa_group_segment_fixed_size 0
		.amdhsa_private_segment_fixed_size 0
		.amdhsa_kernarg_size 88
		.amdhsa_user_sgpr_count 2
		.amdhsa_user_sgpr_dispatch_ptr 0
		.amdhsa_user_sgpr_queue_ptr 0
		.amdhsa_user_sgpr_kernarg_segment_ptr 1
		.amdhsa_user_sgpr_dispatch_id 0
		.amdhsa_user_sgpr_kernarg_preload_length 0
		.amdhsa_user_sgpr_kernarg_preload_offset 0
		.amdhsa_user_sgpr_private_segment_size 0
		.amdhsa_wavefront_size32 1
		.amdhsa_uses_dynamic_stack 0
		.amdhsa_enable_private_segment 0
		.amdhsa_system_sgpr_workgroup_id_x 1
		.amdhsa_system_sgpr_workgroup_id_y 1
		.amdhsa_system_sgpr_workgroup_id_z 1
		.amdhsa_system_sgpr_workgroup_info 0
		.amdhsa_system_vgpr_workitem_id 0
		.amdhsa_next_free_vgpr 20
		.amdhsa_next_free_sgpr 26
		.amdhsa_named_barrier_count 0
		.amdhsa_reserve_vcc 1
		.amdhsa_float_round_mode_32 0
		.amdhsa_float_round_mode_16_64 0
		.amdhsa_float_denorm_mode_32 3
		.amdhsa_float_denorm_mode_16_64 3
		.amdhsa_fp16_overflow 0
		.amdhsa_memory_ordered 1
		.amdhsa_forward_progress 1
		.amdhsa_inst_pref_size 16
		.amdhsa_round_robin_scheduling 0
		.amdhsa_exception_fp_ieee_invalid_op 0
		.amdhsa_exception_fp_denorm_src 0
		.amdhsa_exception_fp_ieee_div_zero 0
		.amdhsa_exception_fp_ieee_overflow 0
		.amdhsa_exception_fp_ieee_underflow 0
		.amdhsa_exception_fp_ieee_inexact 0
		.amdhsa_exception_int_div_zero 0
	.end_amdhsa_kernel
	.section	.text._ZN9rocsolver6v33100L17larf_right_kernelILi1024E19rocblas_complex_numIdEiPS3_EEvT1_S5_T2_lS5_lPKT0_lS6_lS5_l,"axG",@progbits,_ZN9rocsolver6v33100L17larf_right_kernelILi1024E19rocblas_complex_numIdEiPS3_EEvT1_S5_T2_lS5_lPKT0_lS6_lS5_l,comdat
.Lfunc_end148:
	.size	_ZN9rocsolver6v33100L17larf_right_kernelILi1024E19rocblas_complex_numIdEiPS3_EEvT1_S5_T2_lS5_lPKT0_lS6_lS5_l, .Lfunc_end148-_ZN9rocsolver6v33100L17larf_right_kernelILi1024E19rocblas_complex_numIdEiPS3_EEvT1_S5_T2_lS5_lPKT0_lS6_lS5_l
                                        ; -- End function
	.set _ZN9rocsolver6v33100L17larf_right_kernelILi1024E19rocblas_complex_numIdEiPS3_EEvT1_S5_T2_lS5_lPKT0_lS6_lS5_l.num_vgpr, 20
	.set _ZN9rocsolver6v33100L17larf_right_kernelILi1024E19rocblas_complex_numIdEiPS3_EEvT1_S5_T2_lS5_lPKT0_lS6_lS5_l.num_agpr, 0
	.set _ZN9rocsolver6v33100L17larf_right_kernelILi1024E19rocblas_complex_numIdEiPS3_EEvT1_S5_T2_lS5_lPKT0_lS6_lS5_l.numbered_sgpr, 26
	.set _ZN9rocsolver6v33100L17larf_right_kernelILi1024E19rocblas_complex_numIdEiPS3_EEvT1_S5_T2_lS5_lPKT0_lS6_lS5_l.num_named_barrier, 0
	.set _ZN9rocsolver6v33100L17larf_right_kernelILi1024E19rocblas_complex_numIdEiPS3_EEvT1_S5_T2_lS5_lPKT0_lS6_lS5_l.private_seg_size, 0
	.set _ZN9rocsolver6v33100L17larf_right_kernelILi1024E19rocblas_complex_numIdEiPS3_EEvT1_S5_T2_lS5_lPKT0_lS6_lS5_l.uses_vcc, 1
	.set _ZN9rocsolver6v33100L17larf_right_kernelILi1024E19rocblas_complex_numIdEiPS3_EEvT1_S5_T2_lS5_lPKT0_lS6_lS5_l.uses_flat_scratch, 0
	.set _ZN9rocsolver6v33100L17larf_right_kernelILi1024E19rocblas_complex_numIdEiPS3_EEvT1_S5_T2_lS5_lPKT0_lS6_lS5_l.has_dyn_sized_stack, 0
	.set _ZN9rocsolver6v33100L17larf_right_kernelILi1024E19rocblas_complex_numIdEiPS3_EEvT1_S5_T2_lS5_lPKT0_lS6_lS5_l.has_recursion, 0
	.set _ZN9rocsolver6v33100L17larf_right_kernelILi1024E19rocblas_complex_numIdEiPS3_EEvT1_S5_T2_lS5_lPKT0_lS6_lS5_l.has_indirect_call, 0
	.section	.AMDGPU.csdata,"",@progbits
; Kernel info:
; codeLenInByte = 2004
; TotalNumSgprs: 28
; NumVgprs: 20
; ScratchSize: 0
; MemoryBound: 0
; FloatMode: 240
; IeeeMode: 1
; LDSByteSize: 0 bytes/workgroup (compile time only)
; SGPRBlocks: 0
; VGPRBlocks: 1
; NumSGPRsForWavesPerEU: 28
; NumVGPRsForWavesPerEU: 20
; NamedBarCnt: 0
; Occupancy: 16
; WaveLimiterHint : 0
; COMPUTE_PGM_RSRC2:SCRATCH_EN: 0
; COMPUTE_PGM_RSRC2:USER_SGPR: 2
; COMPUTE_PGM_RSRC2:TRAP_HANDLER: 0
; COMPUTE_PGM_RSRC2:TGID_X_EN: 1
; COMPUTE_PGM_RSRC2:TGID_Y_EN: 1
; COMPUTE_PGM_RSRC2:TGID_Z_EN: 1
; COMPUTE_PGM_RSRC2:TIDIG_COMP_CNT: 0
	.section	.text._ZN9rocsolver6v33100L12restore_diagI19rocblas_complex_numIdEidPS3_EEvPT1_llT2_lT0_lS8_,"axG",@progbits,_ZN9rocsolver6v33100L12restore_diagI19rocblas_complex_numIdEidPS3_EEvPT1_llT2_lT0_lS8_,comdat
	.globl	_ZN9rocsolver6v33100L12restore_diagI19rocblas_complex_numIdEidPS3_EEvPT1_llT2_lT0_lS8_ ; -- Begin function _ZN9rocsolver6v33100L12restore_diagI19rocblas_complex_numIdEidPS3_EEvPT1_llT2_lT0_lS8_
	.p2align	8
	.type	_ZN9rocsolver6v33100L12restore_diagI19rocblas_complex_numIdEidPS3_EEvPT1_llT2_lT0_lS8_,@function
_ZN9rocsolver6v33100L12restore_diagI19rocblas_complex_numIdEidPS3_EEvPT1_llT2_lT0_lS8_: ; @_ZN9rocsolver6v33100L12restore_diagI19rocblas_complex_numIdEidPS3_EEvPT1_llT2_lT0_lS8_
; %bb.0:
	s_clause 0x1
	s_load_u16 s3, s[0:1], 0x4e
	s_load_b32 s4, s[0:1], 0x38
	s_bfe_u32 s2, ttmp6, 0x40010
	s_bfe_u32 s5, ttmp6, 0x40004
	s_add_co_i32 s2, s2, 1
	v_bfe_u32 v0, v0, 10, 10
	s_mul_i32 s2, ttmp7, s2
	s_delay_alu instid0(SALU_CYCLE_1) | instskip(SKIP_1) | instid1(SALU_CYCLE_1)
	s_add_co_i32 s5, s5, s2
	s_getreg_b32 s2, hwreg(HW_REG_IB_STS2, 6, 4)
	s_cmp_eq_u32 s2, 0
	s_cselect_b32 s5, ttmp7, s5
	s_wait_kmcnt 0x0
	v_mad_u32 v0, s5, s3, v0
	s_mov_b32 s3, exec_lo
	s_delay_alu instid0(VALU_DEP_1)
	v_cmpx_gt_i32_e64 s4, v0
	s_cbranch_execz .LBB149_2
; %bb.1:
	s_load_b256 s[4:11], s[0:1], 0x0
	s_bfe_u32 s3, ttmp6, 0x4000c
	s_and_b32 s12, ttmp6, 15
	s_add_co_i32 s3, s3, 1
	v_mov_b32_e32 v4, 0
	s_mul_i32 s3, ttmp9, s3
	s_delay_alu instid0(SALU_CYCLE_1) | instskip(SKIP_1) | instid1(VALU_DEP_1)
	s_add_co_i32 s12, s12, s3
	s_cmp_eq_u32 s2, 0
	v_mov_b32_e32 v5, v4
	s_cselect_b32 s2, ttmp9, s12
	s_delay_alu instid0(SALU_CYCLE_1) | instskip(SKIP_4) | instid1(SALU_CYCLE_1)
	s_ashr_i32 s3, s2, 31
	s_wait_kmcnt 0x0
	s_mul_u64 s[8:9], s[8:9], s[2:3]
	s_lshl_b64 s[6:7], s[6:7], 3
	s_lshl_b64 s[8:9], s[8:9], 3
	s_add_nc_u64 s[4:5], s[4:5], s[8:9]
	s_delay_alu instid0(SALU_CYCLE_1)
	s_add_nc_u64 s[4:5], s[4:5], s[6:7]
	global_load_b64 v[2:3], v0, s[4:5] scale_offset
	s_clause 0x1
	s_load_b64 s[8:9], s[0:1], 0x30
	s_load_b96 s[4:6], s[0:1], 0x20
	s_wait_kmcnt 0x0
	s_mul_u64 s[0:1], s[8:9], s[2:3]
	v_mad_u32 v0, v0, s6, v0
	s_lshl_b64 s[0:1], s[0:1], 4
	s_lshl_b64 s[2:3], s[4:5], 4
	s_add_nc_u64 s[0:1], s[10:11], s[0:1]
	s_delay_alu instid0(SALU_CYCLE_1)
	s_add_nc_u64 s[0:1], s[0:1], s[2:3]
	s_wait_loadcnt 0x0
	global_store_b128 v0, v[2:5], s[0:1] scale_offset
.LBB149_2:
	s_endpgm
	.section	.rodata,"a",@progbits
	.p2align	6, 0x0
	.amdhsa_kernel _ZN9rocsolver6v33100L12restore_diagI19rocblas_complex_numIdEidPS3_EEvPT1_llT2_lT0_lS8_
		.amdhsa_group_segment_fixed_size 0
		.amdhsa_private_segment_fixed_size 0
		.amdhsa_kernarg_size 320
		.amdhsa_user_sgpr_count 2
		.amdhsa_user_sgpr_dispatch_ptr 0
		.amdhsa_user_sgpr_queue_ptr 0
		.amdhsa_user_sgpr_kernarg_segment_ptr 1
		.amdhsa_user_sgpr_dispatch_id 0
		.amdhsa_user_sgpr_kernarg_preload_length 0
		.amdhsa_user_sgpr_kernarg_preload_offset 0
		.amdhsa_user_sgpr_private_segment_size 0
		.amdhsa_wavefront_size32 1
		.amdhsa_uses_dynamic_stack 0
		.amdhsa_enable_private_segment 0
		.amdhsa_system_sgpr_workgroup_id_x 1
		.amdhsa_system_sgpr_workgroup_id_y 1
		.amdhsa_system_sgpr_workgroup_id_z 0
		.amdhsa_system_sgpr_workgroup_info 0
		.amdhsa_system_vgpr_workitem_id 1
		.amdhsa_next_free_vgpr 6
		.amdhsa_next_free_sgpr 13
		.amdhsa_named_barrier_count 0
		.amdhsa_reserve_vcc 0
		.amdhsa_float_round_mode_32 0
		.amdhsa_float_round_mode_16_64 0
		.amdhsa_float_denorm_mode_32 3
		.amdhsa_float_denorm_mode_16_64 3
		.amdhsa_fp16_overflow 0
		.amdhsa_memory_ordered 1
		.amdhsa_forward_progress 1
		.amdhsa_inst_pref_size 3
		.amdhsa_round_robin_scheduling 0
		.amdhsa_exception_fp_ieee_invalid_op 0
		.amdhsa_exception_fp_denorm_src 0
		.amdhsa_exception_fp_ieee_div_zero 0
		.amdhsa_exception_fp_ieee_overflow 0
		.amdhsa_exception_fp_ieee_underflow 0
		.amdhsa_exception_fp_ieee_inexact 0
		.amdhsa_exception_int_div_zero 0
	.end_amdhsa_kernel
	.section	.text._ZN9rocsolver6v33100L12restore_diagI19rocblas_complex_numIdEidPS3_EEvPT1_llT2_lT0_lS8_,"axG",@progbits,_ZN9rocsolver6v33100L12restore_diagI19rocblas_complex_numIdEidPS3_EEvPT1_llT2_lT0_lS8_,comdat
.Lfunc_end149:
	.size	_ZN9rocsolver6v33100L12restore_diagI19rocblas_complex_numIdEidPS3_EEvPT1_llT2_lT0_lS8_, .Lfunc_end149-_ZN9rocsolver6v33100L12restore_diagI19rocblas_complex_numIdEidPS3_EEvPT1_llT2_lT0_lS8_
                                        ; -- End function
	.set _ZN9rocsolver6v33100L12restore_diagI19rocblas_complex_numIdEidPS3_EEvPT1_llT2_lT0_lS8_.num_vgpr, 6
	.set _ZN9rocsolver6v33100L12restore_diagI19rocblas_complex_numIdEidPS3_EEvPT1_llT2_lT0_lS8_.num_agpr, 0
	.set _ZN9rocsolver6v33100L12restore_diagI19rocblas_complex_numIdEidPS3_EEvPT1_llT2_lT0_lS8_.numbered_sgpr, 13
	.set _ZN9rocsolver6v33100L12restore_diagI19rocblas_complex_numIdEidPS3_EEvPT1_llT2_lT0_lS8_.num_named_barrier, 0
	.set _ZN9rocsolver6v33100L12restore_diagI19rocblas_complex_numIdEidPS3_EEvPT1_llT2_lT0_lS8_.private_seg_size, 0
	.set _ZN9rocsolver6v33100L12restore_diagI19rocblas_complex_numIdEidPS3_EEvPT1_llT2_lT0_lS8_.uses_vcc, 0
	.set _ZN9rocsolver6v33100L12restore_diagI19rocblas_complex_numIdEidPS3_EEvPT1_llT2_lT0_lS8_.uses_flat_scratch, 0
	.set _ZN9rocsolver6v33100L12restore_diagI19rocblas_complex_numIdEidPS3_EEvPT1_llT2_lT0_lS8_.has_dyn_sized_stack, 0
	.set _ZN9rocsolver6v33100L12restore_diagI19rocblas_complex_numIdEidPS3_EEvPT1_llT2_lT0_lS8_.has_recursion, 0
	.set _ZN9rocsolver6v33100L12restore_diagI19rocblas_complex_numIdEidPS3_EEvPT1_llT2_lT0_lS8_.has_indirect_call, 0
	.section	.AMDGPU.csdata,"",@progbits
; Kernel info:
; codeLenInByte = 280
; TotalNumSgprs: 13
; NumVgprs: 6
; ScratchSize: 0
; MemoryBound: 0
; FloatMode: 240
; IeeeMode: 1
; LDSByteSize: 0 bytes/workgroup (compile time only)
; SGPRBlocks: 0
; VGPRBlocks: 0
; NumSGPRsForWavesPerEU: 13
; NumVGPRsForWavesPerEU: 6
; NamedBarCnt: 0
; Occupancy: 16
; WaveLimiterHint : 0
; COMPUTE_PGM_RSRC2:SCRATCH_EN: 0
; COMPUTE_PGM_RSRC2:USER_SGPR: 2
; COMPUTE_PGM_RSRC2:TRAP_HANDLER: 0
; COMPUTE_PGM_RSRC2:TGID_X_EN: 1
; COMPUTE_PGM_RSRC2:TGID_Y_EN: 1
; COMPUTE_PGM_RSRC2:TGID_Z_EN: 0
; COMPUTE_PGM_RSRC2:TIDIG_COMP_CNT: 1
	.section	.text._ZN9rocsolver6v33100L14set_triangularI19rocblas_complex_numIdEPS3_TnNSt9enable_ifIX18rocblas_is_complexIT_EEiE4typeELi0EEEviiT0_iilPS6_lSA_il15rocblas_direct_15rocblas_storev_b,"axG",@progbits,_ZN9rocsolver6v33100L14set_triangularI19rocblas_complex_numIdEPS3_TnNSt9enable_ifIX18rocblas_is_complexIT_EEiE4typeELi0EEEviiT0_iilPS6_lSA_il15rocblas_direct_15rocblas_storev_b,comdat
	.globl	_ZN9rocsolver6v33100L14set_triangularI19rocblas_complex_numIdEPS3_TnNSt9enable_ifIX18rocblas_is_complexIT_EEiE4typeELi0EEEviiT0_iilPS6_lSA_il15rocblas_direct_15rocblas_storev_b ; -- Begin function _ZN9rocsolver6v33100L14set_triangularI19rocblas_complex_numIdEPS3_TnNSt9enable_ifIX18rocblas_is_complexIT_EEiE4typeELi0EEEviiT0_iilPS6_lSA_il15rocblas_direct_15rocblas_storev_b
	.p2align	8
	.type	_ZN9rocsolver6v33100L14set_triangularI19rocblas_complex_numIdEPS3_TnNSt9enable_ifIX18rocblas_is_complexIT_EEiE4typeELi0EEEviiT0_iilPS6_lSA_il15rocblas_direct_15rocblas_storev_b,@function
_ZN9rocsolver6v33100L14set_triangularI19rocblas_complex_numIdEPS3_TnNSt9enable_ifIX18rocblas_is_complexIT_EEiE4typeELi0EEEviiT0_iilPS6_lSA_il15rocblas_direct_15rocblas_storev_b: ; @_ZN9rocsolver6v33100L14set_triangularI19rocblas_complex_numIdEPS3_TnNSt9enable_ifIX18rocblas_is_complexIT_EEiE4typeELi0EEEviiT0_iilPS6_lSA_il15rocblas_direct_15rocblas_storev_b
; %bb.0:
	s_clause 0x1
	s_load_b32 s2, s[0:1], 0x64
	s_load_b64 s[18:19], s[0:1], 0x0
	s_bfe_u32 s5, ttmp6, 0x40010
	s_bfe_u32 s8, ttmp6, 0x4000c
	s_and_b32 s4, ttmp7, 0xffff
	s_add_co_i32 s5, s5, 1
	s_add_co_i32 s8, s8, 1
	s_bfe_u32 s6, ttmp6, 0x40004
	s_and_b32 s7, ttmp6, 15
	s_mul_i32 s5, s4, s5
	s_mul_i32 s8, ttmp9, s8
	s_getreg_b32 s3, hwreg(HW_REG_IB_STS2, 6, 4)
	v_and_b32_e32 v1, 0x3ff, v0
	v_bfe_u32 v0, v0, 10, 10
	s_add_co_i32 s6, s6, s5
	s_add_co_i32 s7, s7, s8
	s_mov_b32 s21, 0
	s_wait_kmcnt 0x0
	s_lshr_b32 s5, s2, 16
	s_and_b32 s2, s2, 0xffff
	s_cmp_eq_u32 s3, 0
	s_cselect_b32 s7, ttmp9, s7
	s_cselect_b32 s4, s4, s6
	v_mad_u32 v6, s7, s2, v1
	v_mad_u32 v0, s4, s5, v0
	s_mov_b32 s2, exec_lo
	s_delay_alu instid0(VALU_DEP_1) | instskip(NEXT) | instid1(VALU_DEP_1)
	v_max_u32_e32 v1, v6, v0
	v_cmpx_gt_u32_e64 s19, v1
	s_cbranch_execz .LBB150_36
; %bb.1:
	s_clause 0x2
	s_load_b256 s[4:11], s[0:1], 0x18
	s_load_b64 s[12:13], s[0:1], 0x40
	s_load_b32 s2, s[0:1], 0x38
	s_bfe_u32 s14, ttmp6, 0x40014
	s_lshr_b32 s15, ttmp7, 16
	s_add_co_i32 s14, s14, 1
	s_bfe_u32 s16, ttmp6, 0x40008
	s_mul_i32 s14, s15, s14
	s_delay_alu instid0(SALU_CYCLE_1)
	s_add_co_i32 s16, s16, s14
	s_cmp_eq_u32 s3, 0
	s_mov_b32 s3, exec_lo
	s_cselect_b32 s20, s15, s16
	s_wait_kmcnt 0x0
	s_mul_u64 s[8:9], s[8:9], s[20:21]
	s_mul_u64 s[12:13], s[12:13], s[20:21]
	s_lshl_b64 s[8:9], s[8:9], 4
	s_lshl_b64 s[12:13], s[12:13], 4
	s_add_nc_u64 s[16:17], s[6:7], s[8:9]
	s_add_nc_u64 s[6:7], s[10:11], s[12:13]
	v_cmpx_ne_u32_e64 v0, v6
	s_xor_b32 s15, exec_lo, s3
	s_cbranch_execz .LBB150_34
; %bb.2:
	s_clause 0x1
	s_load_b128 s[8:11], s[0:1], 0x8
	s_load_b96 s[12:14], s[0:1], 0x48
	s_wait_xcnt 0x0
	s_mul_u64 s[0:1], s[4:5], s[20:21]
	v_mov_b32_e32 v7, 0
	s_lshl_b64 s[0:1], s[0:1], 4
	s_wait_kmcnt 0x0
	s_ashr_i32 s5, s10, 31
	s_mov_b32 s4, s10
	s_add_nc_u64 s[0:1], s[8:9], s[0:1]
	s_lshl_b64 s[4:5], s[4:5], 4
	s_bitcmp1_b32 s14, 0
	s_add_nc_u64 s[0:1], s[0:1], s[4:5]
	s_cselect_b32 s3, -1, 0
	s_delay_alu instid0(SALU_CYCLE_1)
	s_xor_b32 s4, s3, -1
	s_cmp_lg_u32 s12, 0xab
	s_mov_b32 s3, -1
	s_cbranch_scc0 .LBB150_18
; %bb.3:
	s_mov_b32 s3, exec_lo
	v_cmpx_le_u32_e64 v0, v6
	s_xor_b32 s5, exec_lo, s3
	s_cbranch_execz .LBB150_5
; %bb.4:
	s_ashr_i32 s3, s2, 31
	v_mov_b32_e32 v1, 0
	v_mul_u64_e32 v[2:3], s[2:3], v[6:7]
	s_delay_alu instid0(VALU_DEP_2) | instskip(NEXT) | instid1(VALU_DEP_2)
	v_dual_mov_b32 v4, v1 :: v_dual_mov_b32 v5, v1
	v_lshl_add_u64 v[8:9], v[2:3], 4, s[6:7]
	v_dual_mov_b32 v2, v1 :: v_dual_mov_b32 v3, v1
	s_delay_alu instid0(VALU_DEP_2)
	v_lshl_add_u64 v[8:9], v[0:1], 4, v[8:9]
	global_store_b128 v[8:9], v[2:5], off
.LBB150_5:
	s_wait_xcnt 0x0
	s_and_not1_saveexec_b32 s5, s5
	s_cbranch_execz .LBB150_17
; %bb.6:
	v_lshl_add_u64 v[2:3], v[6:7], 4, s[16:17]
	s_cmp_lg_u32 s13, 0xb5
	s_mov_b32 s3, -1
	global_load_b128 v[2:5], v[2:3], off
	s_cbranch_scc0 .LBB150_12
; %bb.7:
	v_mov_b32_e32 v1, 0
	s_and_not1_b32 vcc_lo, exec_lo, s4
	s_delay_alu instid0(VALU_DEP_1)
	v_lshlrev_b64_e32 v[8:9], 4, v[0:1]
	s_cbranch_vccnz .LBB150_9
; %bb.8:
	s_sub_co_i32 s3, s18, s19
	s_delay_alu instid0(SALU_CYCLE_1) | instskip(SKIP_3) | instid1(SALU_CYCLE_1)
	v_dual_mov_b32 v11, v1 :: v_dual_add_nc_u32 v10, s3, v6
	s_ashr_i32 s9, s11, 31
	s_mov_b32 s8, s11
	s_ashr_i32 s3, s2, 31
	v_mul_u64_e32 v[18:19], s[2:3], v[6:7]
	v_mul_u64_e32 v[10:11], s[8:9], v[10:11]
	s_mov_b32 s3, 0
	s_delay_alu instid0(VALU_DEP_1) | instskip(NEXT) | instid1(VALU_DEP_1)
	v_lshl_add_u64 v[10:11], v[10:11], 4, s[0:1]
	v_add_nc_u64_e32 v[10:11], v[10:11], v[8:9]
	global_load_b128 v[10:13], v[10:11], off
	s_wait_loadcnt 0x0
	v_mul_f64_e32 v[14:15], v[2:3], v[10:11]
	v_mul_f64_e32 v[16:17], v[2:3], v[12:13]
	s_delay_alu instid0(VALU_DEP_2) | instskip(NEXT) | instid1(VALU_DEP_2)
	v_fma_f64 v[12:13], v[4:5], v[12:13], -v[14:15]
	v_fma_f64 v[14:15], v[10:11], -v[4:5], -v[16:17]
	s_wait_xcnt 0x0
	v_lshl_add_u64 v[10:11], v[18:19], 4, s[6:7]
	s_delay_alu instid0(VALU_DEP_1)
	v_add_nc_u64_e32 v[10:11], v[10:11], v[8:9]
	global_store_b128 v[10:11], v[12:15], off
.LBB150_9:
	s_and_not1_b32 vcc_lo, exec_lo, s3
	s_cbranch_vccnz .LBB150_11
; %bb.10:
	s_sub_co_i32 s3, s18, s19
	s_wait_xcnt 0x0
	v_dual_mov_b32 v11, 0 :: v_dual_add_nc_u32 v10, s3, v6
	s_ashr_i32 s3, s2, 31
	s_ashr_i32 s9, s11, 31
	s_mov_b32 s8, s11
	v_mul_u64_e32 v[12:13], s[2:3], v[6:7]
	v_mul_u64_e32 v[10:11], s[8:9], v[10:11]
	s_delay_alu instid0(VALU_DEP_2) | instskip(NEXT) | instid1(VALU_DEP_2)
	v_lshl_add_u64 v[12:13], v[12:13], 4, s[6:7]
	v_lshl_add_u64 v[10:11], v[10:11], 4, s[0:1]
	s_delay_alu instid0(VALU_DEP_2) | instskip(NEXT) | instid1(VALU_DEP_2)
	v_add_nc_u64_e32 v[16:17], v[12:13], v[8:9]
	v_add_nc_u64_e32 v[18:19], v[10:11], v[8:9]
	global_load_b128 v[8:11], v[16:17], off
	global_load_b128 v[12:15], v[18:19], off
	s_wait_loadcnt 0x0
	v_add_f64_e32 v[12:13], v[12:13], v[8:9]
	v_add_f64_e32 v[8:9], v[14:15], v[10:11]
	s_delay_alu instid0(VALU_DEP_2) | instskip(NEXT) | instid1(VALU_DEP_2)
	v_mul_f64_e32 v[10:11], v[2:3], v[12:13]
	v_mul_f64_e32 v[14:15], v[2:3], v[8:9]
	s_delay_alu instid0(VALU_DEP_2) | instskip(NEXT) | instid1(VALU_DEP_2)
	v_fma_f64 v[8:9], v[4:5], v[8:9], -v[10:11]
	v_fma_f64 v[10:11], v[12:13], -v[4:5], -v[14:15]
	global_store_b128 v[16:17], v[8:11], off
.LBB150_11:
	s_mov_b32 s3, 0
.LBB150_12:
	s_delay_alu instid0(SALU_CYCLE_1)
	s_and_not1_b32 vcc_lo, exec_lo, s3
	s_cbranch_vccnz .LBB150_17
; %bb.13:
	s_and_not1_b32 vcc_lo, exec_lo, s4
	s_mov_b32 s3, -1
	s_cbranch_vccnz .LBB150_15
; %bb.14:
	s_sub_co_i32 s3, s18, s19
	s_wait_xcnt 0x0
	v_dual_mov_b32 v9, 0 :: v_dual_add_nc_u32 v8, s3, v6
	s_ashr_i32 s9, s11, 31
	s_mov_b32 s8, s11
	s_ashr_i32 s3, s2, 31
	s_delay_alu instid0(VALU_DEP_1) | instskip(SKIP_2) | instid1(VALU_DEP_2)
	v_mov_b32_e32 v1, v9
	v_mul_u64_e32 v[16:17], s[2:3], v[6:7]
	s_mov_b32 s3, 0
	v_mul_u64_e32 v[10:11], s[8:9], v[0:1]
	s_delay_alu instid0(VALU_DEP_1) | instskip(NEXT) | instid1(VALU_DEP_1)
	v_lshl_add_u64 v[10:11], v[10:11], 4, s[0:1]
	v_lshl_add_u64 v[8:9], v[8:9], 4, v[10:11]
	global_load_b128 v[8:11], v[8:9], off
	s_wait_loadcnt 0x0
	v_mul_f64_e32 v[12:13], v[4:5], v[10:11]
	v_mul_f64_e32 v[14:15], v[4:5], v[8:9]
	s_wait_xcnt 0x0
	s_delay_alu instid0(VALU_DEP_2) | instskip(NEXT) | instid1(VALU_DEP_2)
	v_fma_f64 v[8:9], v[8:9], -v[2:3], -v[12:13]
	v_fma_f64 v[10:11], v[2:3], v[10:11], -v[14:15]
	v_lshl_add_u64 v[12:13], v[16:17], 4, s[6:7]
	s_delay_alu instid0(VALU_DEP_1)
	v_lshl_add_u64 v[12:13], v[0:1], 4, v[12:13]
	global_store_b128 v[12:13], v[8:11], off
.LBB150_15:
	s_and_not1_b32 vcc_lo, exec_lo, s3
	s_cbranch_vccnz .LBB150_17
; %bb.16:
	s_ashr_i32 s3, s2, 31
	s_ashr_i32 s9, s11, 31
	s_wait_xcnt 0x0
	v_mul_u64_e32 v[8:9], s[2:3], v[6:7]
	s_sub_co_i32 s3, s18, s19
	s_delay_alu instid0(SALU_CYCLE_1)
	v_dual_mov_b32 v1, 0 :: v_dual_add_nc_u32 v12, s3, v6
	s_mov_b32 s8, s11
	s_delay_alu instid0(VALU_DEP_1) | instid1(SALU_CYCLE_1)
	v_mul_u64_e32 v[10:11], s[8:9], v[0:1]
	v_mov_b32_e32 v13, v1
	s_delay_alu instid0(VALU_DEP_4) | instskip(NEXT) | instid1(VALU_DEP_1)
	v_lshl_add_u64 v[8:9], v[8:9], 4, s[6:7]
	v_lshl_add_u64 v[16:17], v[0:1], 4, v[8:9]
	s_delay_alu instid0(VALU_DEP_4) | instskip(NEXT) | instid1(VALU_DEP_1)
	v_lshl_add_u64 v[10:11], v[10:11], 4, s[0:1]
	v_lshl_add_u64 v[18:19], v[12:13], 4, v[10:11]
	global_load_b128 v[8:11], v[16:17], off
	global_load_b128 v[12:15], v[18:19], off
	s_wait_loadcnt 0x0
	v_add_f64_e32 v[8:9], v[12:13], v[8:9]
	v_add_f64_e64 v[10:11], v[10:11], -v[14:15]
	s_delay_alu instid0(VALU_DEP_2) | instskip(NEXT) | instid1(VALU_DEP_2)
	v_mul_f64_e32 v[12:13], v[2:3], v[8:9]
	v_mul_f64_e32 v[14:15], v[2:3], v[10:11]
	s_delay_alu instid0(VALU_DEP_2) | instskip(NEXT) | instid1(VALU_DEP_2)
	v_fma_f64 v[2:3], v[4:5], v[10:11], -v[12:13]
	v_fma_f64 v[4:5], v[8:9], -v[4:5], -v[14:15]
	global_store_b128 v[16:17], v[2:5], off
.LBB150_17:
	s_wait_xcnt 0x0
	s_or_b32 exec_lo, exec_lo, s5
	s_mov_b32 s3, 0
.LBB150_18:
	s_delay_alu instid0(SALU_CYCLE_1)
	s_and_not1_b32 vcc_lo, exec_lo, s3
	s_cbranch_vccnz .LBB150_34
; %bb.19:
	s_mov_b32 s3, exec_lo
	v_cmpx_ge_u32_e64 v0, v6
	s_xor_b32 s5, exec_lo, s3
	s_cbranch_execz .LBB150_21
; %bb.20:
	s_ashr_i32 s3, s2, 31
	v_mov_b32_e32 v1, 0
	s_wait_loadcnt 0x0
	v_mul_u64_e32 v[2:3], s[2:3], v[6:7]
                                        ; implicit-def: $vgpr6_vgpr7
	s_delay_alu instid0(VALU_DEP_1) | instskip(NEXT) | instid1(VALU_DEP_3)
	v_lshl_add_u64 v[4:5], v[2:3], 4, s[6:7]
	v_dual_mov_b32 v2, v1 :: v_dual_mov_b32 v3, v1
	s_delay_alu instid0(VALU_DEP_2)
	v_lshl_add_u64 v[4:5], v[0:1], 4, v[4:5]
	v_mov_b32_e32 v0, v1
	global_store_b128 v[4:5], v[0:3], off
                                        ; implicit-def: $vgpr0
.LBB150_21:
	s_wait_xcnt 0x0
	s_and_not1_saveexec_b32 s5, s5
	s_cbranch_execz .LBB150_33
; %bb.22:
	s_wait_loadcnt 0x0
	v_lshl_add_u64 v[2:3], v[6:7], 4, s[16:17]
	v_cndmask_b32_e64 v1, 0, 1, s4
	s_cmp_lg_u32 s13, 0xb5
	s_mov_b32 s3, -1
	global_load_b128 v[2:5], v[2:3], off
	v_cmp_ne_u32_e32 vcc_lo, 1, v1
	s_cbranch_scc0 .LBB150_28
; %bb.23:
	v_mov_b32_e32 v1, 0
	s_and_b32 vcc_lo, exec_lo, vcc_lo
	s_delay_alu instid0(VALU_DEP_1)
	v_lshlrev_b64_e32 v[8:9], 4, v[0:1]
	s_cbranch_vccnz .LBB150_25
; %bb.24:
	s_ashr_i32 s9, s11, 31
	s_mov_b32 s8, s11
	s_ashr_i32 s3, s2, 31
	v_mul_u64_e32 v[10:11], s[8:9], v[6:7]
	v_mul_u64_e32 v[18:19], s[2:3], v[6:7]
	s_mov_b32 s3, 0
	s_delay_alu instid0(VALU_DEP_2) | instskip(NEXT) | instid1(VALU_DEP_1)
	v_lshl_add_u64 v[10:11], v[10:11], 4, s[0:1]
	v_add_nc_u64_e32 v[10:11], v[10:11], v[8:9]
	global_load_b128 v[10:13], v[10:11], off
	s_wait_loadcnt 0x0
	v_mul_f64_e32 v[14:15], v[2:3], v[10:11]
	v_mul_f64_e32 v[16:17], v[2:3], v[12:13]
	s_delay_alu instid0(VALU_DEP_2) | instskip(NEXT) | instid1(VALU_DEP_2)
	v_fma_f64 v[12:13], v[4:5], v[12:13], -v[14:15]
	v_fma_f64 v[14:15], v[10:11], -v[4:5], -v[16:17]
	s_wait_xcnt 0x0
	v_lshl_add_u64 v[10:11], v[18:19], 4, s[6:7]
	s_delay_alu instid0(VALU_DEP_1)
	v_add_nc_u64_e32 v[10:11], v[10:11], v[8:9]
	global_store_b128 v[10:11], v[12:15], off
.LBB150_25:
	s_and_not1_b32 vcc_lo, exec_lo, s3
	s_cbranch_vccnz .LBB150_27
; %bb.26:
	s_ashr_i32 s9, s11, 31
	s_mov_b32 s8, s11
	s_ashr_i32 s3, s2, 31
	s_wait_xcnt 0x0
	v_mul_u64_e32 v[10:11], s[8:9], v[6:7]
	v_mul_u64_e32 v[12:13], s[2:3], v[6:7]
	s_delay_alu instid0(VALU_DEP_2) | instskip(NEXT) | instid1(VALU_DEP_2)
	v_lshl_add_u64 v[10:11], v[10:11], 4, s[0:1]
	v_lshl_add_u64 v[12:13], v[12:13], 4, s[6:7]
	s_delay_alu instid0(VALU_DEP_2) | instskip(NEXT) | instid1(VALU_DEP_2)
	v_add_nc_u64_e32 v[16:17], v[10:11], v[8:9]
	v_add_nc_u64_e32 v[18:19], v[12:13], v[8:9]
	global_load_b128 v[8:11], v[16:17], off
	global_load_b128 v[12:15], v[18:19], off
	s_wait_loadcnt 0x0
	v_add_f64_e32 v[12:13], v[8:9], v[12:13]
	v_add_f64_e32 v[8:9], v[10:11], v[14:15]
	s_delay_alu instid0(VALU_DEP_2) | instskip(NEXT) | instid1(VALU_DEP_2)
	v_mul_f64_e32 v[10:11], v[2:3], v[12:13]
	v_mul_f64_e32 v[14:15], v[2:3], v[8:9]
	s_delay_alu instid0(VALU_DEP_2) | instskip(NEXT) | instid1(VALU_DEP_2)
	v_fma_f64 v[8:9], v[4:5], v[8:9], -v[10:11]
	v_fma_f64 v[10:11], v[12:13], -v[4:5], -v[14:15]
	global_store_b128 v[18:19], v[8:11], off
.LBB150_27:
	s_mov_b32 s3, 0
.LBB150_28:
	s_delay_alu instid0(SALU_CYCLE_1)
	s_and_not1_b32 vcc_lo, exec_lo, s3
	s_cbranch_vccnz .LBB150_33
; %bb.29:
	v_mov_b32_e32 v1, 0
	s_and_not1_b32 vcc_lo, exec_lo, s4
	s_mov_b32 s3, -1
	s_cbranch_vccnz .LBB150_31
; %bb.30:
	s_ashr_i32 s9, s11, 31
	s_mov_b32 s8, s11
	s_ashr_i32 s3, s2, 31
	s_wait_xcnt 0x0
	v_mul_u64_e32 v[8:9], s[8:9], v[0:1]
	v_mul_u64_e32 v[16:17], s[2:3], v[6:7]
	s_mov_b32 s3, 0
	s_delay_alu instid0(VALU_DEP_2) | instskip(NEXT) | instid1(VALU_DEP_1)
	v_lshl_add_u64 v[8:9], v[8:9], 4, s[0:1]
	v_lshl_add_u64 v[8:9], v[6:7], 4, v[8:9]
	global_load_b128 v[8:11], v[8:9], off
	s_wait_loadcnt 0x0
	v_mul_f64_e32 v[12:13], v[4:5], v[10:11]
	v_mul_f64_e32 v[14:15], v[4:5], v[8:9]
	s_wait_xcnt 0x0
	s_delay_alu instid0(VALU_DEP_2) | instskip(NEXT) | instid1(VALU_DEP_2)
	v_fma_f64 v[8:9], v[8:9], -v[2:3], -v[12:13]
	v_fma_f64 v[10:11], v[2:3], v[10:11], -v[14:15]
	v_lshl_add_u64 v[12:13], v[16:17], 4, s[6:7]
	s_delay_alu instid0(VALU_DEP_1)
	v_lshl_add_u64 v[12:13], v[0:1], 4, v[12:13]
	global_store_b128 v[12:13], v[8:11], off
.LBB150_31:
	s_and_not1_b32 vcc_lo, exec_lo, s3
	s_cbranch_vccnz .LBB150_33
; %bb.32:
	s_ashr_i32 s9, s11, 31
	s_mov_b32 s8, s11
	s_ashr_i32 s3, s2, 31
	s_wait_xcnt 0x0
	v_mul_u64_e32 v[8:9], s[8:9], v[0:1]
	v_mul_u64_e32 v[10:11], s[2:3], v[6:7]
	s_delay_alu instid0(VALU_DEP_2) | instskip(NEXT) | instid1(VALU_DEP_2)
	v_lshl_add_u64 v[8:9], v[8:9], 4, s[0:1]
	v_lshl_add_u64 v[10:11], v[10:11], 4, s[6:7]
	s_delay_alu instid0(VALU_DEP_2) | instskip(NEXT) | instid1(VALU_DEP_2)
	v_lshl_add_u64 v[14:15], v[6:7], 4, v[8:9]
	v_lshl_add_u64 v[16:17], v[0:1], 4, v[10:11]
	global_load_b128 v[6:9], v[14:15], off
	global_load_b128 v[10:13], v[16:17], off
	s_wait_loadcnt 0x0
	v_add_f64_e32 v[6:7], v[6:7], v[10:11]
	v_add_f64_e64 v[0:1], v[12:13], -v[8:9]
	s_delay_alu instid0(VALU_DEP_2) | instskip(NEXT) | instid1(VALU_DEP_2)
	v_mul_f64_e32 v[8:9], v[2:3], v[6:7]
	v_mul_f64_e32 v[2:3], v[2:3], v[0:1]
	s_delay_alu instid0(VALU_DEP_2) | instskip(NEXT) | instid1(VALU_DEP_2)
	v_fma_f64 v[0:1], v[4:5], v[0:1], -v[8:9]
	v_fma_f64 v[2:3], v[6:7], -v[4:5], -v[2:3]
	global_store_b128 v[16:17], v[0:3], off
.LBB150_33:
	s_wait_xcnt 0x0
	s_or_b32 exec_lo, exec_lo, s5
                                        ; implicit-def: $vgpr6
.LBB150_34:
	s_and_not1_saveexec_b32 s0, s15
	s_cbranch_execz .LBB150_36
; %bb.35:
	s_wait_loadcnt 0x0
	global_load_b128 v[0:3], v6, s[16:17] scale_offset
	v_mov_b32_e32 v7, 0
	s_ashr_i32 s3, s2, 31
	s_delay_alu instid0(VALU_DEP_1) | instid1(SALU_CYCLE_1)
	v_mul_u64_e32 v[4:5], s[2:3], v[6:7]
	s_wait_xcnt 0x0
	v_lshlrev_b64_e32 v[6:7], 4, v[6:7]
	s_delay_alu instid0(VALU_DEP_2) | instskip(NEXT) | instid1(VALU_DEP_1)
	v_lshl_add_u64 v[4:5], v[4:5], 4, s[6:7]
	v_add_nc_u64_e32 v[4:5], v[4:5], v[6:7]
	s_wait_loadcnt 0x0
	global_store_b128 v[4:5], v[0:3], off
.LBB150_36:
	s_endpgm
	.section	.rodata,"a",@progbits
	.p2align	6, 0x0
	.amdhsa_kernel _ZN9rocsolver6v33100L14set_triangularI19rocblas_complex_numIdEPS3_TnNSt9enable_ifIX18rocblas_is_complexIT_EEiE4typeELi0EEEviiT0_iilPS6_lSA_il15rocblas_direct_15rocblas_storev_b
		.amdhsa_group_segment_fixed_size 0
		.amdhsa_private_segment_fixed_size 0
		.amdhsa_kernarg_size 344
		.amdhsa_user_sgpr_count 2
		.amdhsa_user_sgpr_dispatch_ptr 0
		.amdhsa_user_sgpr_queue_ptr 0
		.amdhsa_user_sgpr_kernarg_segment_ptr 1
		.amdhsa_user_sgpr_dispatch_id 0
		.amdhsa_user_sgpr_kernarg_preload_length 0
		.amdhsa_user_sgpr_kernarg_preload_offset 0
		.amdhsa_user_sgpr_private_segment_size 0
		.amdhsa_wavefront_size32 1
		.amdhsa_uses_dynamic_stack 0
		.amdhsa_enable_private_segment 0
		.amdhsa_system_sgpr_workgroup_id_x 1
		.amdhsa_system_sgpr_workgroup_id_y 1
		.amdhsa_system_sgpr_workgroup_id_z 1
		.amdhsa_system_sgpr_workgroup_info 0
		.amdhsa_system_vgpr_workitem_id 1
		.amdhsa_next_free_vgpr 20
		.amdhsa_next_free_sgpr 22
		.amdhsa_named_barrier_count 0
		.amdhsa_reserve_vcc 1
		.amdhsa_float_round_mode_32 0
		.amdhsa_float_round_mode_16_64 0
		.amdhsa_float_denorm_mode_32 3
		.amdhsa_float_denorm_mode_16_64 3
		.amdhsa_fp16_overflow 0
		.amdhsa_memory_ordered 1
		.amdhsa_forward_progress 1
		.amdhsa_inst_pref_size 16
		.amdhsa_round_robin_scheduling 0
		.amdhsa_exception_fp_ieee_invalid_op 0
		.amdhsa_exception_fp_denorm_src 0
		.amdhsa_exception_fp_ieee_div_zero 0
		.amdhsa_exception_fp_ieee_overflow 0
		.amdhsa_exception_fp_ieee_underflow 0
		.amdhsa_exception_fp_ieee_inexact 0
		.amdhsa_exception_int_div_zero 0
	.end_amdhsa_kernel
	.section	.text._ZN9rocsolver6v33100L14set_triangularI19rocblas_complex_numIdEPS3_TnNSt9enable_ifIX18rocblas_is_complexIT_EEiE4typeELi0EEEviiT0_iilPS6_lSA_il15rocblas_direct_15rocblas_storev_b,"axG",@progbits,_ZN9rocsolver6v33100L14set_triangularI19rocblas_complex_numIdEPS3_TnNSt9enable_ifIX18rocblas_is_complexIT_EEiE4typeELi0EEEviiT0_iilPS6_lSA_il15rocblas_direct_15rocblas_storev_b,comdat
.Lfunc_end150:
	.size	_ZN9rocsolver6v33100L14set_triangularI19rocblas_complex_numIdEPS3_TnNSt9enable_ifIX18rocblas_is_complexIT_EEiE4typeELi0EEEviiT0_iilPS6_lSA_il15rocblas_direct_15rocblas_storev_b, .Lfunc_end150-_ZN9rocsolver6v33100L14set_triangularI19rocblas_complex_numIdEPS3_TnNSt9enable_ifIX18rocblas_is_complexIT_EEiE4typeELi0EEEviiT0_iilPS6_lSA_il15rocblas_direct_15rocblas_storev_b
                                        ; -- End function
	.set _ZN9rocsolver6v33100L14set_triangularI19rocblas_complex_numIdEPS3_TnNSt9enable_ifIX18rocblas_is_complexIT_EEiE4typeELi0EEEviiT0_iilPS6_lSA_il15rocblas_direct_15rocblas_storev_b.num_vgpr, 20
	.set _ZN9rocsolver6v33100L14set_triangularI19rocblas_complex_numIdEPS3_TnNSt9enable_ifIX18rocblas_is_complexIT_EEiE4typeELi0EEEviiT0_iilPS6_lSA_il15rocblas_direct_15rocblas_storev_b.num_agpr, 0
	.set _ZN9rocsolver6v33100L14set_triangularI19rocblas_complex_numIdEPS3_TnNSt9enable_ifIX18rocblas_is_complexIT_EEiE4typeELi0EEEviiT0_iilPS6_lSA_il15rocblas_direct_15rocblas_storev_b.numbered_sgpr, 22
	.set _ZN9rocsolver6v33100L14set_triangularI19rocblas_complex_numIdEPS3_TnNSt9enable_ifIX18rocblas_is_complexIT_EEiE4typeELi0EEEviiT0_iilPS6_lSA_il15rocblas_direct_15rocblas_storev_b.num_named_barrier, 0
	.set _ZN9rocsolver6v33100L14set_triangularI19rocblas_complex_numIdEPS3_TnNSt9enable_ifIX18rocblas_is_complexIT_EEiE4typeELi0EEEviiT0_iilPS6_lSA_il15rocblas_direct_15rocblas_storev_b.private_seg_size, 0
	.set _ZN9rocsolver6v33100L14set_triangularI19rocblas_complex_numIdEPS3_TnNSt9enable_ifIX18rocblas_is_complexIT_EEiE4typeELi0EEEviiT0_iilPS6_lSA_il15rocblas_direct_15rocblas_storev_b.uses_vcc, 1
	.set _ZN9rocsolver6v33100L14set_triangularI19rocblas_complex_numIdEPS3_TnNSt9enable_ifIX18rocblas_is_complexIT_EEiE4typeELi0EEEviiT0_iilPS6_lSA_il15rocblas_direct_15rocblas_storev_b.uses_flat_scratch, 0
	.set _ZN9rocsolver6v33100L14set_triangularI19rocblas_complex_numIdEPS3_TnNSt9enable_ifIX18rocblas_is_complexIT_EEiE4typeELi0EEEviiT0_iilPS6_lSA_il15rocblas_direct_15rocblas_storev_b.has_dyn_sized_stack, 0
	.set _ZN9rocsolver6v33100L14set_triangularI19rocblas_complex_numIdEPS3_TnNSt9enable_ifIX18rocblas_is_complexIT_EEiE4typeELi0EEEviiT0_iilPS6_lSA_il15rocblas_direct_15rocblas_storev_b.has_recursion, 0
	.set _ZN9rocsolver6v33100L14set_triangularI19rocblas_complex_numIdEPS3_TnNSt9enable_ifIX18rocblas_is_complexIT_EEiE4typeELi0EEEviiT0_iilPS6_lSA_il15rocblas_direct_15rocblas_storev_b.has_indirect_call, 0
	.section	.AMDGPU.csdata,"",@progbits
; Kernel info:
; codeLenInByte = 2040
; TotalNumSgprs: 24
; NumVgprs: 20
; ScratchSize: 0
; MemoryBound: 1
; FloatMode: 240
; IeeeMode: 1
; LDSByteSize: 0 bytes/workgroup (compile time only)
; SGPRBlocks: 0
; VGPRBlocks: 1
; NumSGPRsForWavesPerEU: 24
; NumVGPRsForWavesPerEU: 20
; NamedBarCnt: 0
; Occupancy: 16
; WaveLimiterHint : 0
; COMPUTE_PGM_RSRC2:SCRATCH_EN: 0
; COMPUTE_PGM_RSRC2:USER_SGPR: 2
; COMPUTE_PGM_RSRC2:TRAP_HANDLER: 0
; COMPUTE_PGM_RSRC2:TGID_X_EN: 1
; COMPUTE_PGM_RSRC2:TGID_Y_EN: 1
; COMPUTE_PGM_RSRC2:TGID_Z_EN: 1
; COMPUTE_PGM_RSRC2:TIDIG_COMP_CNT: 1
	.section	.text._ZN9rocsolver6v33100L7set_tauI19rocblas_complex_numIdEEEviPT_l,"axG",@progbits,_ZN9rocsolver6v33100L7set_tauI19rocblas_complex_numIdEEEviPT_l,comdat
	.globl	_ZN9rocsolver6v33100L7set_tauI19rocblas_complex_numIdEEEviPT_l ; -- Begin function _ZN9rocsolver6v33100L7set_tauI19rocblas_complex_numIdEEEviPT_l
	.p2align	8
	.type	_ZN9rocsolver6v33100L7set_tauI19rocblas_complex_numIdEEEviPT_l,@function
_ZN9rocsolver6v33100L7set_tauI19rocblas_complex_numIdEEEviPT_l: ; @_ZN9rocsolver6v33100L7set_tauI19rocblas_complex_numIdEEEviPT_l
; %bb.0:
	s_clause 0x1
	s_load_b32 s3, s[0:1], 0x24
	s_load_b32 s4, s[0:1], 0x0
	s_bfe_u32 s2, ttmp6, 0x4000c
	s_and_b32 s5, ttmp6, 15
	s_add_co_i32 s6, s2, 1
	s_getreg_b32 s2, hwreg(HW_REG_IB_STS2, 6, 4)
	s_mul_i32 s6, ttmp9, s6
	s_delay_alu instid0(SALU_CYCLE_1) | instskip(SKIP_4) | instid1(SALU_CYCLE_1)
	s_add_co_i32 s5, s5, s6
	s_wait_kmcnt 0x0
	s_and_b32 s3, s3, 0xffff
	s_cmp_eq_u32 s2, 0
	s_cselect_b32 s5, ttmp9, s5
	v_mad_u32 v0, s5, s3, v0
	s_mov_b32 s3, 0
	s_delay_alu instid0(VALU_DEP_1)
	v_cmp_gt_u32_e32 vcc_lo, s4, v0
	s_and_saveexec_b32 s4, vcc_lo
	s_cbranch_execz .LBB151_2
; %bb.1:
	s_load_b128 s[4:7], s[0:1], 0x8
	s_wait_xcnt 0x0
	s_bfe_u32 s0, ttmp6, 0x40010
	s_bfe_u32 s1, ttmp6, 0x40004
	s_add_co_i32 s0, s0, 1
	s_delay_alu instid0(SALU_CYCLE_1) | instskip(NEXT) | instid1(SALU_CYCLE_1)
	s_mul_i32 s0, ttmp7, s0
	s_add_co_i32 s1, s1, s0
	s_cmp_eq_u32 s2, 0
	s_cselect_b32 s2, ttmp7, s1
	s_wait_kmcnt 0x0
	s_mul_u64 s[0:1], s[6:7], s[2:3]
	s_delay_alu instid0(SALU_CYCLE_1) | instskip(NEXT) | instid1(SALU_CYCLE_1)
	s_lshl_b64 s[0:1], s[0:1], 4
	s_add_nc_u64 s[0:1], s[4:5], s[0:1]
	global_load_b128 v[2:5], v0, s[0:1] scale_offset
	s_wait_loadcnt 0x0
	v_xor_b32_e32 v3, 0x80000000, v3
	v_xor_b32_e32 v5, 0x80000000, v5
	global_store_b128 v0, v[2:5], s[0:1] scale_offset
.LBB151_2:
	s_endpgm
	.section	.rodata,"a",@progbits
	.p2align	6, 0x0
	.amdhsa_kernel _ZN9rocsolver6v33100L7set_tauI19rocblas_complex_numIdEEEviPT_l
		.amdhsa_group_segment_fixed_size 0
		.amdhsa_private_segment_fixed_size 0
		.amdhsa_kernarg_size 280
		.amdhsa_user_sgpr_count 2
		.amdhsa_user_sgpr_dispatch_ptr 0
		.amdhsa_user_sgpr_queue_ptr 0
		.amdhsa_user_sgpr_kernarg_segment_ptr 1
		.amdhsa_user_sgpr_dispatch_id 0
		.amdhsa_user_sgpr_kernarg_preload_length 0
		.amdhsa_user_sgpr_kernarg_preload_offset 0
		.amdhsa_user_sgpr_private_segment_size 0
		.amdhsa_wavefront_size32 1
		.amdhsa_uses_dynamic_stack 0
		.amdhsa_enable_private_segment 0
		.amdhsa_system_sgpr_workgroup_id_x 1
		.amdhsa_system_sgpr_workgroup_id_y 1
		.amdhsa_system_sgpr_workgroup_id_z 0
		.amdhsa_system_sgpr_workgroup_info 0
		.amdhsa_system_vgpr_workitem_id 0
		.amdhsa_next_free_vgpr 6
		.amdhsa_next_free_sgpr 8
		.amdhsa_named_barrier_count 0
		.amdhsa_reserve_vcc 1
		.amdhsa_float_round_mode_32 0
		.amdhsa_float_round_mode_16_64 0
		.amdhsa_float_denorm_mode_32 3
		.amdhsa_float_denorm_mode_16_64 3
		.amdhsa_fp16_overflow 0
		.amdhsa_memory_ordered 1
		.amdhsa_forward_progress 1
		.amdhsa_inst_pref_size 2
		.amdhsa_round_robin_scheduling 0
		.amdhsa_exception_fp_ieee_invalid_op 0
		.amdhsa_exception_fp_denorm_src 0
		.amdhsa_exception_fp_ieee_div_zero 0
		.amdhsa_exception_fp_ieee_overflow 0
		.amdhsa_exception_fp_ieee_underflow 0
		.amdhsa_exception_fp_ieee_inexact 0
		.amdhsa_exception_int_div_zero 0
	.end_amdhsa_kernel
	.section	.text._ZN9rocsolver6v33100L7set_tauI19rocblas_complex_numIdEEEviPT_l,"axG",@progbits,_ZN9rocsolver6v33100L7set_tauI19rocblas_complex_numIdEEEviPT_l,comdat
.Lfunc_end151:
	.size	_ZN9rocsolver6v33100L7set_tauI19rocblas_complex_numIdEEEviPT_l, .Lfunc_end151-_ZN9rocsolver6v33100L7set_tauI19rocblas_complex_numIdEEEviPT_l
                                        ; -- End function
	.set _ZN9rocsolver6v33100L7set_tauI19rocblas_complex_numIdEEEviPT_l.num_vgpr, 6
	.set _ZN9rocsolver6v33100L7set_tauI19rocblas_complex_numIdEEEviPT_l.num_agpr, 0
	.set _ZN9rocsolver6v33100L7set_tauI19rocblas_complex_numIdEEEviPT_l.numbered_sgpr, 8
	.set _ZN9rocsolver6v33100L7set_tauI19rocblas_complex_numIdEEEviPT_l.num_named_barrier, 0
	.set _ZN9rocsolver6v33100L7set_tauI19rocblas_complex_numIdEEEviPT_l.private_seg_size, 0
	.set _ZN9rocsolver6v33100L7set_tauI19rocblas_complex_numIdEEEviPT_l.uses_vcc, 1
	.set _ZN9rocsolver6v33100L7set_tauI19rocblas_complex_numIdEEEviPT_l.uses_flat_scratch, 0
	.set _ZN9rocsolver6v33100L7set_tauI19rocblas_complex_numIdEEEviPT_l.has_dyn_sized_stack, 0
	.set _ZN9rocsolver6v33100L7set_tauI19rocblas_complex_numIdEEEviPT_l.has_recursion, 0
	.set _ZN9rocsolver6v33100L7set_tauI19rocblas_complex_numIdEEEviPT_l.has_indirect_call, 0
	.section	.AMDGPU.csdata,"",@progbits
; Kernel info:
; codeLenInByte = 220
; TotalNumSgprs: 10
; NumVgprs: 6
; ScratchSize: 0
; MemoryBound: 0
; FloatMode: 240
; IeeeMode: 1
; LDSByteSize: 0 bytes/workgroup (compile time only)
; SGPRBlocks: 0
; VGPRBlocks: 0
; NumSGPRsForWavesPerEU: 10
; NumVGPRsForWavesPerEU: 6
; NamedBarCnt: 0
; Occupancy: 16
; WaveLimiterHint : 0
; COMPUTE_PGM_RSRC2:SCRATCH_EN: 0
; COMPUTE_PGM_RSRC2:USER_SGPR: 2
; COMPUTE_PGM_RSRC2:TRAP_HANDLER: 0
; COMPUTE_PGM_RSRC2:TGID_X_EN: 1
; COMPUTE_PGM_RSRC2:TGID_Y_EN: 1
; COMPUTE_PGM_RSRC2:TGID_Z_EN: 0
; COMPUTE_PGM_RSRC2:TIDIG_COMP_CNT: 0
	.section	.text._ZN9rocsolver6v33100L20larft_kernel_forwardI19rocblas_complex_numIdEPS3_EEv15rocblas_storev_iiT0_iilPT_lS8_il,"axG",@progbits,_ZN9rocsolver6v33100L20larft_kernel_forwardI19rocblas_complex_numIdEPS3_EEv15rocblas_storev_iiT0_iilPT_lS8_il,comdat
	.globl	_ZN9rocsolver6v33100L20larft_kernel_forwardI19rocblas_complex_numIdEPS3_EEv15rocblas_storev_iiT0_iilPT_lS8_il ; -- Begin function _ZN9rocsolver6v33100L20larft_kernel_forwardI19rocblas_complex_numIdEPS3_EEv15rocblas_storev_iiT0_iilPT_lS8_il
	.p2align	8
	.type	_ZN9rocsolver6v33100L20larft_kernel_forwardI19rocblas_complex_numIdEPS3_EEv15rocblas_storev_iiT0_iilPT_lS8_il,@function
_ZN9rocsolver6v33100L20larft_kernel_forwardI19rocblas_complex_numIdEPS3_EEv15rocblas_storev_iiT0_iilPT_lS8_il: ; @_ZN9rocsolver6v33100L20larft_kernel_forwardI19rocblas_complex_numIdEPS3_EEv15rocblas_storev_iiT0_iilPT_lS8_il
; %bb.0:
	s_clause 0x4
	s_load_b32 s2, s[0:1], 0x5c
	s_load_b32 s3, s[0:1], 0x40
	s_load_b64 s[12:13], s[0:1], 0x48
	s_load_b96 s[16:18], s[0:1], 0x0
	s_load_b256 s[4:11], s[0:1], 0x20
	s_bfe_u32 s14, ttmp6, 0x40010
	s_bfe_u32 s15, ttmp6, 0x40004
	s_add_co_i32 s14, s14, 1
	s_getreg_b32 s20, hwreg(HW_REG_IB_STS2, 6, 4)
	s_mul_i32 s14, ttmp7, s14
	v_lshlrev_b32_e32 v12, 4, v0
	s_add_co_i32 s15, s15, s14
	s_wait_kmcnt 0x0
	s_and_b32 s19, s2, 0xffff
	s_cmp_eq_u32 s20, 0
	v_mad_u32 v1, v0, s3, v0
	s_cselect_b32 s20, ttmp7, s15
	v_cmp_gt_i32_e64 s2, s18, v0
	s_ashr_i32 s21, s20, 31
	s_delay_alu instid0(SALU_CYCLE_1) | instskip(NEXT) | instid1(SALU_CYCLE_1)
	s_mul_u64 s[12:13], s[12:13], s[20:21]
	s_lshl_b64 s[14:15], s[12:13], 4
	s_mov_b32 s12, 0
	s_add_nc_u64 s[10:11], s[10:11], s[14:15]
	s_and_saveexec_b32 s13, s2
	s_cbranch_execz .LBB152_5
; %bb.1:
	v_dual_add_nc_u32 v2, 16, v12 :: v_dual_mov_b32 v4, v0
	s_lshl_b32 s14, s18, 4
	s_add_co_i32 s22, s3, 1
	s_add_co_i32 s15, s14, 16
	s_delay_alu instid0(VALU_DEP_1) | instskip(SKIP_3) | instid1(VALU_DEP_2)
	v_mul_lo_u32 v3, s18, v2
	v_mad_u32 v2, v0, s3, v0
	s_mul_i32 s15, s15, s19
	s_mul_i32 s22, s22, s19
	v_add3_u32 v3, v3, v12, 0
.LBB152_2:                              ; =>This Loop Header: Depth=1
                                        ;     Child Loop BB152_3 Depth 2
	s_delay_alu instid0(VALU_DEP_1)
	v_dual_mov_b32 v5, v2 :: v_dual_mov_b32 v6, v3
	v_mov_b32_e32 v7, v4
	s_mov_b32 s23, 0
.LBB152_3:                              ;   Parent Loop BB152_2 Depth=1
                                        ; =>  This Inner Loop Header: Depth=2
	global_load_b128 v[8:11], v5, s[10:11] scale_offset
	s_wait_xcnt 0x0
	v_dual_add_nc_u32 v7, 1, v7 :: v_dual_add_nc_u32 v5, s3, v5
	s_delay_alu instid0(VALU_DEP_1)
	v_cmp_le_i32_e32 vcc_lo, s18, v7
	s_or_b32 s23, vcc_lo, s23
	s_wait_loadcnt 0x0
	ds_store_2addr_b64 v6, v[8:9], v[10:11] offset1:1
	v_add_nc_u32_e32 v6, s14, v6
	s_and_not1_b32 exec_lo, exec_lo, s23
	s_cbranch_execnz .LBB152_3
; %bb.4:                                ;   in Loop: Header=BB152_2 Depth=1
	s_or_b32 exec_lo, exec_lo, s23
	v_dual_add_nc_u32 v4, s19, v4 :: v_dual_add_nc_u32 v3, s15, v3
	v_add_nc_u32_e32 v2, s22, v2
	s_delay_alu instid0(VALU_DEP_2) | instskip(SKIP_1) | instid1(SALU_CYCLE_1)
	v_cmp_le_i32_e32 vcc_lo, s18, v4
	s_or_b32 s12, vcc_lo, s12
	s_and_not1_b32 exec_lo, exec_lo, s12
	s_cbranch_execnz .LBB152_2
.LBB152_5:
	s_or_b32 exec_lo, exec_lo, s13
	s_cmp_lt_i32 s18, 2
	s_wait_dscnt 0x0
	s_barrier_signal -1
	s_barrier_wait -1
	s_cbranch_scc1 .LBB152_30
; %bb.6:
	s_load_b128 s[12:15], s[0:1], 0x10
	v_dual_add_nc_u32 v4, 16, v12 :: v_dual_bitop2_b32 v2, 8, v12 bitop3:0x54
	s_wait_xcnt 0x0
	s_mul_u64 s[0:1], s[8:9], s[20:21]
	s_lshl_b32 s33, s18, 4
	s_lshl_b64 s[0:1], s[0:1], 4
	s_mul_u64 s[4:5], s[4:5], s[20:21]
	v_mul_lo_u32 v4, s18, v4
	s_add_co_i32 s37, s33, 0
	s_add_nc_u64 s[20:21], s[6:7], s[0:1]
	v_dual_mov_b32 v3, 0 :: v_dual_add_nc_u32 v15, 0, v12
	s_mov_b32 s9, 0
	s_mov_b32 s36, 1
	s_mov_b64 s[28:29], 0
	s_delay_alu instid0(VALU_DEP_2)
	v_add3_u32 v14, v4, v12, 0
	s_wait_kmcnt 0x0
	s_ashr_i32 s1, s14, 31
	v_mul_lo_u32 v13, v0, s15
	s_mov_b32 s0, s14
	s_cmp_lg_u32 s16, 0xb5
	s_mov_b32 s6, s15
	s_cselect_b32 s16, -1, 0
	s_lshl_b64 s[4:5], s[4:5], 4
	s_lshl_b64 s[0:1], s[0:1], 4
	s_ashr_i32 s7, s15, 31
	s_add_nc_u64 s[0:1], s[4:5], s[0:1]
	s_add_co_i32 s39, s33, 16
	s_add_nc_u64 s[12:13], s[12:13], s[0:1]
	s_mul_i32 s14, s15, s19
	s_add_co_i32 s38, s17, -2
	s_lshl_b32 s22, s15, 1
	s_lshl_b32 s8, s19, 4
	s_lshl_b64 s[24:25], s[6:7], 4
	s_add_nc_u64 s[26:27], s[12:13], 40
	s_mul_i32 s39, s39, s19
	s_mov_b32 s30, s15
	s_branch .LBB152_8
.LBB152_7:                              ;   in Loop: Header=BB152_8 Depth=1
	s_or_b32 exec_lo, exec_lo, s0
	s_wait_xcnt 0x0
	s_add_co_i32 s36, s36, 1
	s_add_co_i32 s38, s38, -1
	s_add_co_i32 s22, s22, s15
	s_add_co_i32 s30, s30, s15
	s_add_nc_u64 s[28:29], s[28:29], 16
	s_cmp_eq_u32 s36, s18
	s_add_nc_u64 s[26:27], s[26:27], 16
	s_wait_dscnt 0x0
	s_barrier_signal -1
	s_barrier_wait -1
	s_cbranch_scc1 .LBB152_30
.LBB152_8:                              ; =>This Loop Header: Depth=1
                                        ;     Child Loop BB152_12 Depth 2
                                        ;       Child Loop BB152_14 Depth 3
                                        ;     Child Loop BB152_21 Depth 2
                                        ;       Child Loop BB152_23 Depth 3
	;; [unrolled: 2-line block ×3, first 2 shown]
	s_mul_i32 s0, s36, s18
	s_not_b32 s1, s36
	s_lshl_b32 s0, s0, 4
	s_add_co_i32 s41, s17, s1
	s_add_co_i32 s40, s37, s0
	v_cmp_gt_u32_e64 s0, s36, v0
	s_and_b32 vcc_lo, exec_lo, s16
	s_mov_b32 s1, -1
	s_cbranch_vccz .LBB152_16
; %bb.9:                                ;   in Loop: Header=BB152_8 Depth=1
	s_and_saveexec_b32 s31, s0
	s_cbranch_execz .LBB152_15
; %bb.10:                               ;   in Loop: Header=BB152_8 Depth=1
	s_load_b128 s[4:7], s[20:21], s36 offset:0x0 scale_offset
	s_ashr_i32 s23, s22, 31
	v_mov_b64_e32 v[4:5], v[2:3]
	s_lshl_b64 s[0:1], s[22:23], 4
	v_mov_b32_e32 v10, v0
	s_cmp_gt_i32 s41, 0
	s_add_nc_u64 s[0:1], s[12:13], s[0:1]
	s_cselect_b32 s23, -1, 0
	s_mov_b32 s42, 0
	s_branch .LBB152_12
.LBB152_11:                             ;   in Loop: Header=BB152_12 Depth=2
	s_wait_kmcnt 0x0
	s_delay_alu instid0(VALU_DEP_1) | instskip(NEXT) | instid1(VALU_DEP_2)
	v_mul_f64_e32 v[16:17], s[6:7], v[6:7]
	v_dual_mul_f64 v[18:19], s[6:7], v[8:9] :: v_dual_lshlrev_b32 v11, 4, v10
	v_add_nc_u64_e32 v[4:5], s[8:9], v[4:5]
	v_add_nc_u32_e32 v10, s19, v10
	s_delay_alu instid0(VALU_DEP_1)
	v_cmp_le_u32_e32 vcc_lo, s36, v10
	s_or_b32 s42, vcc_lo, s42
	v_fma_f64 v[16:17], v[8:9], s[4:5], -v[16:17]
	v_fmac_f64_e32 v[18:19], s[4:5], v[6:7]
	v_dual_add_nc_u32 v6, s40, v11 :: v_dual_add_nc_u32 v11, 0, v11
	ds_load_2addr_b64 v[6:9], v6 offset1:1
	s_wait_dscnt 0x0
	v_add_f64_e32 v[6:7], v[6:7], v[16:17]
	v_add_f64_e32 v[8:9], v[8:9], v[18:19]
	ds_store_2addr_b64 v11, v[6:7], v[8:9] offset1:1
	s_and_not1_b32 exec_lo, exec_lo, s42
	s_cbranch_execz .LBB152_15
.LBB152_12:                             ;   Parent Loop BB152_8 Depth=1
                                        ; =>  This Loop Header: Depth=2
                                        ;       Child Loop BB152_14 Depth 3
	v_mov_b64_e32 v[6:7], 0
	v_mov_b64_e32 v[8:9], 0
	s_and_not1_b32 vcc_lo, exec_lo, s23
	s_cbranch_vccnz .LBB152_11
; %bb.13:                               ;   in Loop: Header=BB152_12 Depth=2
	s_mov_b32 s43, 0
	s_mov_b64 s[34:35], s[0:1]
.LBB152_14:                             ;   Parent Loop BB152_8 Depth=1
                                        ;     Parent Loop BB152_12 Depth=2
                                        ; =>    This Inner Loop Header: Depth=3
	s_delay_alu instid0(SALU_CYCLE_1)
	v_add_nc_u64_e32 v[16:17], s[34:35], v[4:5]
	s_add_nc_u64 s[48:49], s[34:35], s[28:29]
	s_add_co_i32 s43, s43, 1
	s_load_b128 s[44:47], s[48:49], 0x10
	s_cmp_eq_u32 s38, s43
	s_add_nc_u64 s[34:35], s[34:35], s[24:25]
	global_load_b128 v[16:19], v[16:17], off offset:-8
	s_wait_loadcnt 0x0
	s_wait_kmcnt 0x0
	v_mul_f64_e32 v[20:21], s[46:47], v[18:19]
	v_mul_f64_e32 v[22:23], s[46:47], v[16:17]
	s_delay_alu instid0(VALU_DEP_2) | instskip(SKIP_1) | instid1(VALU_DEP_2)
	v_fmac_f64_e32 v[20:21], s[44:45], v[16:17]
	s_wait_xcnt 0x0
	v_fma_f64 v[16:17], s[44:45], v[18:19], -v[22:23]
	s_delay_alu instid0(VALU_DEP_2) | instskip(NEXT) | instid1(VALU_DEP_2)
	v_add_f64_e32 v[8:9], v[8:9], v[20:21]
	v_add_f64_e32 v[6:7], v[6:7], v[16:17]
	s_cbranch_scc0 .LBB152_14
	s_branch .LBB152_11
.LBB152_15:                             ;   in Loop: Header=BB152_8 Depth=1
	s_or_b32 exec_lo, exec_lo, s31
	s_mov_b32 s1, 0
.LBB152_16:                             ;   in Loop: Header=BB152_8 Depth=1
	s_delay_alu instid0(SALU_CYCLE_1)
	s_and_not1_b32 vcc_lo, exec_lo, s1
	s_cbranch_vccnz .LBB152_25
; %bb.17:                               ;   in Loop: Header=BB152_8 Depth=1
	s_mov_b32 s23, exec_lo
	v_cmpx_gt_u32_e64 s36, v0
	s_cbranch_execz .LBB152_24
; %bb.18:                               ;   in Loop: Header=BB152_8 Depth=1
	s_load_b128 s[4:7], s[20:21], s36 offset:0x0 scale_offset
	s_ashr_i32 s31, s30, 31
	v_dual_mov_b32 v4, v13 :: v_dual_mov_b32 v16, v0
	s_lshl_b64 s[0:1], s[30:31], 4
	s_cmp_gt_i32 s41, 0
	s_mov_b32 s41, 0
	s_cselect_b32 s31, -1, 0
	s_branch .LBB152_21
.LBB152_19:                             ;   in Loop: Header=BB152_21 Depth=2
	v_mov_b64_e32 v[6:7], 0
	v_mov_b64_e32 v[8:9], 0
.LBB152_20:                             ;   in Loop: Header=BB152_21 Depth=2
	s_wait_kmcnt 0x0
	s_delay_alu instid0(VALU_DEP_1) | instskip(NEXT) | instid1(VALU_DEP_2)
	v_dual_mul_f64 v[10:11], s[6:7], v[6:7] :: v_dual_lshlrev_b32 v5, 4, v16
	v_mul_f64_e32 v[18:19], s[6:7], v[8:9]
	v_add_nc_u32_e32 v4, s14, v4
	v_add_nc_u32_e32 v16, s19, v16
	s_delay_alu instid0(VALU_DEP_1)
	v_cmp_le_u32_e32 vcc_lo, s36, v16
	s_or_b32 s41, vcc_lo, s41
	v_fma_f64 v[10:11], v[8:9], s[4:5], -v[10:11]
	v_fmac_f64_e32 v[18:19], s[4:5], v[6:7]
	v_dual_add_nc_u32 v6, s40, v5 :: v_dual_add_nc_u32 v5, 0, v5
	ds_load_2addr_b64 v[6:9], v6 offset1:1
	s_wait_dscnt 0x0
	v_add_f64_e32 v[6:7], v[6:7], v[10:11]
	v_add_f64_e32 v[8:9], v[8:9], v[18:19]
	ds_store_2addr_b64 v5, v[6:7], v[8:9] offset1:1
	s_and_not1_b32 exec_lo, exec_lo, s41
	s_cbranch_execz .LBB152_24
.LBB152_21:                             ;   Parent Loop BB152_8 Depth=1
                                        ; =>  This Loop Header: Depth=2
                                        ;       Child Loop BB152_23 Depth 3
	s_and_not1_b32 vcc_lo, exec_lo, s31
	s_cbranch_vccnz .LBB152_19
; %bb.22:                               ;   in Loop: Header=BB152_21 Depth=2
	v_ashrrev_i32_e32 v5, 31, v4
	v_mov_b64_e32 v[6:7], 0
	v_mov_b64_e32 v[8:9], 0
	s_mov_b32 s42, 0
	s_mov_b64 s[34:35], s[26:27]
	v_lshlrev_b64_e32 v[10:11], 4, v[4:5]
.LBB152_23:                             ;   Parent Loop BB152_8 Depth=1
                                        ;     Parent Loop BB152_21 Depth=2
                                        ; =>    This Inner Loop Header: Depth=3
	s_delay_alu instid0(VALU_DEP_1)
	v_add_nc_u64_e32 v[18:19], s[34:35], v[10:11]
	s_add_nc_u64 s[44:45], s[34:35], s[0:1]
	s_add_co_i32 s42, s42, 1
	s_add_nc_u64 s[48:49], s[44:45], -8
	s_cmp_eq_u32 s38, s42
	s_add_nc_u64 s[34:35], s[34:35], 16
	s_load_b128 s[44:47], s[48:49], 0x0
	global_load_b128 v[18:21], v[18:19], off offset:-8
	s_wait_loadcnt 0x0
	s_wait_kmcnt 0x0
	v_mul_f64_e32 v[22:23], s[46:47], v[20:21]
	v_mul_f64_e32 v[20:21], s[44:45], v[20:21]
	s_delay_alu instid0(VALU_DEP_2) | instskip(NEXT) | instid1(VALU_DEP_2)
	v_fmac_f64_e32 v[22:23], s[44:45], v[18:19]
	v_fma_f64 v[18:19], v[18:19], s[46:47], -v[20:21]
	s_delay_alu instid0(VALU_DEP_2) | instskip(NEXT) | instid1(VALU_DEP_2)
	v_add_f64_e32 v[8:9], v[8:9], v[22:23]
	v_add_f64_e32 v[6:7], v[6:7], v[18:19]
	s_cbranch_scc0 .LBB152_23
	s_branch .LBB152_20
.LBB152_24:                             ;   in Loop: Header=BB152_8 Depth=1
	s_or_b32 exec_lo, exec_lo, s23
.LBB152_25:                             ;   in Loop: Header=BB152_8 Depth=1
	s_delay_alu instid0(SALU_CYCLE_1)
	s_mov_b32 s0, exec_lo
	s_wait_dscnt 0x0
	s_barrier_signal -1
	s_barrier_wait -1
	v_cmpx_gt_u32_e64 s36, v0
	s_cbranch_execz .LBB152_7
; %bb.26:                               ;   in Loop: Header=BB152_8 Depth=1
	v_dual_mov_b32 v8, v15 :: v_dual_mov_b32 v9, v14
	v_mov_b32_e32 v10, v0
	s_mov_b32 s1, 0
.LBB152_27:                             ;   Parent Loop BB152_8 Depth=1
                                        ; =>  This Loop Header: Depth=2
                                        ;       Child Loop BB152_28 Depth 3
	v_mov_b64_e32 v[4:5], 0
	v_mov_b64_e32 v[6:7], 0
	v_dual_mov_b32 v11, v8 :: v_dual_mov_b32 v16, v9
	v_mov_b32_e32 v17, v10
	s_mov_b32 s4, 0
.LBB152_28:                             ;   Parent Loop BB152_8 Depth=1
                                        ;     Parent Loop BB152_27 Depth=2
                                        ; =>    This Inner Loop Header: Depth=3
	ds_load_2addr_b64 v[18:21], v11 offset1:1
	ds_load_2addr_b64 v[22:25], v16 offset1:1
	v_dual_add_nc_u32 v11, 16, v11 :: v_dual_add_nc_u32 v17, 1, v17
	v_add_nc_u32_e32 v16, s33, v16
	s_delay_alu instid0(VALU_DEP_2) | instskip(SKIP_4) | instid1(VALU_DEP_2)
	v_cmp_le_u32_e32 vcc_lo, s36, v17
	s_or_b32 s4, vcc_lo, s4
	s_wait_dscnt 0x0
	v_mul_f64_e32 v[26:27], v[20:21], v[24:25]
	v_mul_f64_e32 v[24:25], v[18:19], v[24:25]
	v_fma_f64 v[18:19], v[18:19], v[22:23], -v[26:27]
	s_delay_alu instid0(VALU_DEP_2) | instskip(NEXT) | instid1(VALU_DEP_2)
	v_fmac_f64_e32 v[24:25], v[20:21], v[22:23]
	v_add_f64_e32 v[4:5], v[4:5], v[18:19]
	s_delay_alu instid0(VALU_DEP_2)
	v_add_f64_e32 v[6:7], v[6:7], v[24:25]
	s_and_not1_b32 exec_lo, exec_lo, s4
	s_cbranch_execnz .LBB152_28
; %bb.29:                               ;   in Loop: Header=BB152_27 Depth=2
	s_or_b32 exec_lo, exec_lo, s4
	v_lshl_add_u32 v11, v10, 4, s40
	v_dual_add_nc_u32 v10, s19, v10 :: v_dual_add_nc_u32 v9, s39, v9
	v_add_nc_u32_e32 v8, s8, v8
	ds_store_2addr_b64 v11, v[4:5], v[6:7] offset1:1
	v_cmp_le_u32_e32 vcc_lo, s36, v10
	s_or_b32 s1, vcc_lo, s1
	s_delay_alu instid0(SALU_CYCLE_1)
	s_and_not1_b32 exec_lo, exec_lo, s1
	s_cbranch_execnz .LBB152_27
	s_branch .LBB152_7
.LBB152_30:
	s_and_saveexec_b32 s0, s2
	s_cbranch_execz .LBB152_35
; %bb.31:
	v_add_nc_u32_e32 v2, 16, v12
	s_lshl_b32 s1, s18, 4
	s_add_co_i32 s0, s3, 1
	s_add_co_i32 s4, s1, 16
	s_mul_i32 s0, s0, s19
	v_mul_lo_u32 v2, s18, v2
	s_mov_b32 s2, 0
	s_mul_i32 s4, s4, s19
	s_delay_alu instid0(VALU_DEP_1)
	v_add3_u32 v2, v2, v12, 0
.LBB152_32:                             ; =>This Loop Header: Depth=1
                                        ;     Child Loop BB152_33 Depth 2
	s_delay_alu instid0(VALU_DEP_1)
	v_dual_mov_b32 v3, v2 :: v_dual_mov_b32 v4, v1
	v_mov_b32_e32 v5, v0
	s_mov_b32 s5, 0
.LBB152_33:                             ;   Parent Loop BB152_32 Depth=1
                                        ; =>  This Inner Loop Header: Depth=2
	ds_load_2addr_b64 v[6:9], v3 offset1:1
	v_dual_add_nc_u32 v5, 1, v5 :: v_dual_add_nc_u32 v3, s1, v3
	s_delay_alu instid0(VALU_DEP_1)
	v_cmp_le_i32_e32 vcc_lo, s18, v5
	s_or_b32 s5, vcc_lo, s5
	s_wait_dscnt 0x0
	global_store_b128 v4, v[6:9], s[10:11] scale_offset
	s_wait_xcnt 0x0
	v_add_nc_u32_e32 v4, s3, v4
	s_and_not1_b32 exec_lo, exec_lo, s5
	s_cbranch_execnz .LBB152_33
; %bb.34:                               ;   in Loop: Header=BB152_32 Depth=1
	s_or_b32 exec_lo, exec_lo, s5
	v_dual_add_nc_u32 v0, s19, v0 :: v_dual_add_nc_u32 v1, s0, v1
	v_add_nc_u32_e32 v2, s4, v2
	s_delay_alu instid0(VALU_DEP_2) | instskip(SKIP_1) | instid1(SALU_CYCLE_1)
	v_cmp_le_i32_e32 vcc_lo, s18, v0
	s_or_b32 s2, vcc_lo, s2
	s_and_not1_b32 exec_lo, exec_lo, s2
	s_cbranch_execnz .LBB152_32
.LBB152_35:
	s_endpgm
	.section	.rodata,"a",@progbits
	.p2align	6, 0x0
	.amdhsa_kernel _ZN9rocsolver6v33100L20larft_kernel_forwardI19rocblas_complex_numIdEPS3_EEv15rocblas_storev_iiT0_iilPT_lS8_il
		.amdhsa_group_segment_fixed_size 0
		.amdhsa_private_segment_fixed_size 0
		.amdhsa_kernarg_size 336
		.amdhsa_user_sgpr_count 2
		.amdhsa_user_sgpr_dispatch_ptr 0
		.amdhsa_user_sgpr_queue_ptr 0
		.amdhsa_user_sgpr_kernarg_segment_ptr 1
		.amdhsa_user_sgpr_dispatch_id 0
		.amdhsa_user_sgpr_kernarg_preload_length 0
		.amdhsa_user_sgpr_kernarg_preload_offset 0
		.amdhsa_user_sgpr_private_segment_size 0
		.amdhsa_wavefront_size32 1
		.amdhsa_uses_dynamic_stack 0
		.amdhsa_enable_private_segment 0
		.amdhsa_system_sgpr_workgroup_id_x 1
		.amdhsa_system_sgpr_workgroup_id_y 1
		.amdhsa_system_sgpr_workgroup_id_z 0
		.amdhsa_system_sgpr_workgroup_info 0
		.amdhsa_system_vgpr_workitem_id 0
		.amdhsa_next_free_vgpr 28
		.amdhsa_next_free_sgpr 50
		.amdhsa_named_barrier_count 0
		.amdhsa_reserve_vcc 1
		.amdhsa_float_round_mode_32 0
		.amdhsa_float_round_mode_16_64 0
		.amdhsa_float_denorm_mode_32 3
		.amdhsa_float_denorm_mode_16_64 3
		.amdhsa_fp16_overflow 0
		.amdhsa_memory_ordered 1
		.amdhsa_forward_progress 1
		.amdhsa_inst_pref_size 13
		.amdhsa_round_robin_scheduling 0
		.amdhsa_exception_fp_ieee_invalid_op 0
		.amdhsa_exception_fp_denorm_src 0
		.amdhsa_exception_fp_ieee_div_zero 0
		.amdhsa_exception_fp_ieee_overflow 0
		.amdhsa_exception_fp_ieee_underflow 0
		.amdhsa_exception_fp_ieee_inexact 0
		.amdhsa_exception_int_div_zero 0
	.end_amdhsa_kernel
	.section	.text._ZN9rocsolver6v33100L20larft_kernel_forwardI19rocblas_complex_numIdEPS3_EEv15rocblas_storev_iiT0_iilPT_lS8_il,"axG",@progbits,_ZN9rocsolver6v33100L20larft_kernel_forwardI19rocblas_complex_numIdEPS3_EEv15rocblas_storev_iiT0_iilPT_lS8_il,comdat
.Lfunc_end152:
	.size	_ZN9rocsolver6v33100L20larft_kernel_forwardI19rocblas_complex_numIdEPS3_EEv15rocblas_storev_iiT0_iilPT_lS8_il, .Lfunc_end152-_ZN9rocsolver6v33100L20larft_kernel_forwardI19rocblas_complex_numIdEPS3_EEv15rocblas_storev_iiT0_iilPT_lS8_il
                                        ; -- End function
	.set _ZN9rocsolver6v33100L20larft_kernel_forwardI19rocblas_complex_numIdEPS3_EEv15rocblas_storev_iiT0_iilPT_lS8_il.num_vgpr, 28
	.set _ZN9rocsolver6v33100L20larft_kernel_forwardI19rocblas_complex_numIdEPS3_EEv15rocblas_storev_iiT0_iilPT_lS8_il.num_agpr, 0
	.set _ZN9rocsolver6v33100L20larft_kernel_forwardI19rocblas_complex_numIdEPS3_EEv15rocblas_storev_iiT0_iilPT_lS8_il.numbered_sgpr, 50
	.set _ZN9rocsolver6v33100L20larft_kernel_forwardI19rocblas_complex_numIdEPS3_EEv15rocblas_storev_iiT0_iilPT_lS8_il.num_named_barrier, 0
	.set _ZN9rocsolver6v33100L20larft_kernel_forwardI19rocblas_complex_numIdEPS3_EEv15rocblas_storev_iiT0_iilPT_lS8_il.private_seg_size, 0
	.set _ZN9rocsolver6v33100L20larft_kernel_forwardI19rocblas_complex_numIdEPS3_EEv15rocblas_storev_iiT0_iilPT_lS8_il.uses_vcc, 1
	.set _ZN9rocsolver6v33100L20larft_kernel_forwardI19rocblas_complex_numIdEPS3_EEv15rocblas_storev_iiT0_iilPT_lS8_il.uses_flat_scratch, 0
	.set _ZN9rocsolver6v33100L20larft_kernel_forwardI19rocblas_complex_numIdEPS3_EEv15rocblas_storev_iiT0_iilPT_lS8_il.has_dyn_sized_stack, 0
	.set _ZN9rocsolver6v33100L20larft_kernel_forwardI19rocblas_complex_numIdEPS3_EEv15rocblas_storev_iiT0_iilPT_lS8_il.has_recursion, 0
	.set _ZN9rocsolver6v33100L20larft_kernel_forwardI19rocblas_complex_numIdEPS3_EEv15rocblas_storev_iiT0_iilPT_lS8_il.has_indirect_call, 0
	.section	.AMDGPU.csdata,"",@progbits
; Kernel info:
; codeLenInByte = 1652
; TotalNumSgprs: 52
; NumVgprs: 28
; ScratchSize: 0
; MemoryBound: 0
; FloatMode: 240
; IeeeMode: 1
; LDSByteSize: 0 bytes/workgroup (compile time only)
; SGPRBlocks: 0
; VGPRBlocks: 1
; NumSGPRsForWavesPerEU: 52
; NumVGPRsForWavesPerEU: 28
; NamedBarCnt: 0
; Occupancy: 16
; WaveLimiterHint : 0
; COMPUTE_PGM_RSRC2:SCRATCH_EN: 0
; COMPUTE_PGM_RSRC2:USER_SGPR: 2
; COMPUTE_PGM_RSRC2:TRAP_HANDLER: 0
; COMPUTE_PGM_RSRC2:TGID_X_EN: 1
; COMPUTE_PGM_RSRC2:TGID_Y_EN: 1
; COMPUTE_PGM_RSRC2:TGID_Z_EN: 0
; COMPUTE_PGM_RSRC2:TIDIG_COMP_CNT: 0
	.section	.text._ZN9rocsolver6v33100L21larft_kernel_backwardI19rocblas_complex_numIdEPS3_EEv15rocblas_storev_iiT0_iilPT_lS8_il,"axG",@progbits,_ZN9rocsolver6v33100L21larft_kernel_backwardI19rocblas_complex_numIdEPS3_EEv15rocblas_storev_iiT0_iilPT_lS8_il,comdat
	.globl	_ZN9rocsolver6v33100L21larft_kernel_backwardI19rocblas_complex_numIdEPS3_EEv15rocblas_storev_iiT0_iilPT_lS8_il ; -- Begin function _ZN9rocsolver6v33100L21larft_kernel_backwardI19rocblas_complex_numIdEPS3_EEv15rocblas_storev_iiT0_iilPT_lS8_il
	.p2align	8
	.type	_ZN9rocsolver6v33100L21larft_kernel_backwardI19rocblas_complex_numIdEPS3_EEv15rocblas_storev_iiT0_iilPT_lS8_il,@function
_ZN9rocsolver6v33100L21larft_kernel_backwardI19rocblas_complex_numIdEPS3_EEv15rocblas_storev_iiT0_iilPT_lS8_il: ; @_ZN9rocsolver6v33100L21larft_kernel_backwardI19rocblas_complex_numIdEPS3_EEv15rocblas_storev_iiT0_iilPT_lS8_il
; %bb.0:
	s_clause 0x4
	s_load_b32 s2, s[0:1], 0x5c
	s_load_b96 s[16:18], s[0:1], 0x0
	s_load_b64 s[12:13], s[0:1], 0x48
	s_load_b256 s[4:11], s[0:1], 0x20
	s_load_b32 s3, s[0:1], 0x40
	s_bfe_u32 s14, ttmp6, 0x40010
	s_bfe_u32 s15, ttmp6, 0x40004
	s_add_co_i32 s14, s14, 1
	s_getreg_b32 s20, hwreg(HW_REG_IB_STS2, 6, 4)
	s_mul_i32 s14, ttmp7, s14
	v_dual_add_nc_u32 v1, 1, v0 :: v_dual_lshlrev_b32 v2, 4, v0
	s_add_co_i32 s15, s15, s14
	s_wait_kmcnt 0x0
	s_and_b32 s19, s2, 0xffff
	s_cmp_eq_u32 s20, 0
	v_cmp_gt_i32_e64 s2, s18, v0
	s_cselect_b32 s20, ttmp7, s15
	s_delay_alu instid0(SALU_CYCLE_1) | instskip(NEXT) | instid1(SALU_CYCLE_1)
	s_ashr_i32 s21, s20, 31
	s_mul_u64 s[12:13], s[12:13], s[20:21]
	s_delay_alu instid0(SALU_CYCLE_1)
	s_lshl_b64 s[14:15], s[12:13], 4
	s_mov_b32 s12, 0
	s_add_nc_u64 s[10:11], s[10:11], s[14:15]
	s_and_saveexec_b32 s13, s2
	s_cbranch_execz .LBB153_5
; %bb.1:
	s_lshl_b32 s14, s18, 4
	v_dual_add_nc_u32 v3, 1, v0 :: v_dual_mov_b32 v5, v0
	v_add3_u32 v4, 0, s14, v2
	s_lshl_b32 s15, s19, 4
.LBB153_2:                              ; =>This Loop Header: Depth=1
                                        ;     Child Loop BB153_3 Depth 2
	s_delay_alu instid0(VALU_DEP_1)
	v_dual_mov_b32 v6, v5 :: v_dual_mov_b32 v7, v4
	s_mov_b32 s22, 0
	s_mov_b32 s23, 0
.LBB153_3:                              ;   Parent Loop BB153_2 Depth=1
                                        ; =>  This Inner Loop Header: Depth=2
	global_load_b128 v[8:11], v6, s[10:11] scale_offset
	s_add_co_i32 s23, s23, 1
	s_wait_xcnt 0x0
	v_add_nc_u32_e32 v6, s3, v6
	v_cmp_eq_u32_e32 vcc_lo, s23, v3
	s_or_b32 s22, vcc_lo, s22
	s_wait_loadcnt 0x0
	ds_store_2addr_b64 v7, v[8:9], v[10:11] offset1:1
	v_add_nc_u32_e32 v7, s14, v7
	s_and_not1_b32 exec_lo, exec_lo, s22
	s_cbranch_execnz .LBB153_3
; %bb.4:                                ;   in Loop: Header=BB153_2 Depth=1
	s_or_b32 exec_lo, exec_lo, s22
	v_dual_add_nc_u32 v5, s19, v5 :: v_dual_add_nc_u32 v3, s19, v3
	v_add_nc_u32_e32 v4, s15, v4
	s_delay_alu instid0(VALU_DEP_2) | instskip(SKIP_1) | instid1(SALU_CYCLE_1)
	v_cmp_le_i32_e32 vcc_lo, s18, v5
	s_or_b32 s12, vcc_lo, s12
	s_and_not1_b32 exec_lo, exec_lo, s12
	s_cbranch_execnz .LBB153_2
.LBB153_5:
	s_or_b32 exec_lo, exec_lo, s13
	s_cmp_lt_i32 s18, 2
	s_wait_dscnt 0x0
	s_barrier_signal -1
	s_barrier_wait -1
	s_cbranch_scc1 .LBB153_30
; %bb.6:
	s_load_b128 s[12:15], s[0:1], 0x10
	s_wait_xcnt 0x0
	s_mul_u64 s[0:1], s[8:9], s[20:21]
	s_lshl_b32 s33, s18, 4
	s_lshl_b64 s[0:1], s[0:1], 4
	s_add_co_i32 s8, s18, -2
	s_sub_co_i32 s36, s17, s18
	s_add_co_i32 s37, s33, 0
	s_add_nc_u64 s[22:23], s[6:7], s[0:1]
	s_mov_b32 s9, 0
	s_mul_u64 s[4:5], s[4:5], s[20:21]
	v_mov_b32_e32 v3, 0
	s_mov_b32 s21, s9
	s_wait_kmcnt 0x0
	s_ashr_i32 s1, s14, 31
	s_mov_b32 s0, s14
	s_cmp_lg_u32 s16, 0xb5
	s_mov_b32 s6, s15
	s_cselect_b32 s14, -1, 0
	s_lshl_b64 s[4:5], s[4:5], 4
	s_lshl_b64 s[0:1], s[0:1], 4
	;; [unrolled: 1-line block ×3, first 2 shown]
	s_add_nc_u64 s[0:1], s[4:5], s[0:1]
	s_add_nc_u64 s[4:5], s[12:13], s[24:25]
	v_mul_lo_u32 v14, v0, s15
	s_add_nc_u64 s[4:5], s[4:5], s[0:1]
	s_ashr_i32 s7, s15, 31
	v_add_nc_u64_e32 v[4:5], s[4:5], v[2:3]
	s_add_co_i32 s9, s33, 16
	s_add_co_i32 s38, s17, -2
	s_lshl_b64 s[16:17], s[6:7], 4
	s_mul_i32 s6, s18, s9
	s_add_nc_u64 s[4:5], s[0:1], s[24:25]
	s_add_nc_u64 s[0:1], s[12:13], s[0:1]
	;; [unrolled: 1-line block ×4, first 2 shown]
	v_add_nc_u64_e32 v[4:5], 24, v[4:5]
	s_add_co_i32 s0, s6, 0
	s_add_co_i32 s1, s18, -1
	v_add3_u32 v3, s0, v2, -16
	s_lshl_b32 s20, s19, 4
	s_add_nc_u64 s[24:25], s[4:5], 8
	s_mul_i32 s26, s15, s8
	s_mul_i32 s28, s15, s1
	;; [unrolled: 1-line block ×3, first 2 shown]
	s_xor_b32 s39, s33, -16
	s_branch .LBB153_8
.LBB153_7:                              ;   in Loop: Header=BB153_8 Depth=1
	s_or_b32 exec_lo, exec_lo, s0
	v_add_nc_u64_e32 v[4:5], -16, v[4:5]
	v_add_nc_u32_e32 v3, s39, v3
	s_add_co_i32 s0, s8, -1
	s_add_co_i32 s38, s38, -1
	s_sub_co_i32 s26, s26, s15
	s_sub_co_i32 s28, s28, s15
	s_add_nc_u64 s[24:25], s[24:25], -16
	s_cmp_lt_i32 s8, 1
	s_wait_xcnt 0x0
	s_mov_b32 s8, s0
	s_wait_dscnt 0x0
	s_barrier_signal -1
	s_barrier_wait -1
	s_cbranch_scc1 .LBB153_30
.LBB153_8:                              ; =>This Loop Header: Depth=1
                                        ;     Child Loop BB153_12 Depth 2
                                        ;       Child Loop BB153_14 Depth 3
                                        ;     Child Loop BB153_21 Depth 2
                                        ;       Child Loop BB153_23 Depth 3
	;; [unrolled: 2-line block ×3, first 2 shown]
	s_not_b32 s0, s8
	s_lshl_b32 s1, s8, 4
	s_add_co_i32 s40, s18, s0
	s_mul_i32 s0, s8, s18
	s_add_co_i32 s41, s37, s1
	s_lshl_b32 s0, s0, 4
	s_add_co_i32 s30, s8, s36
	s_add_co_i32 s41, s41, s0
	v_cmp_gt_i32_e64 s0, s40, v0
	s_and_b32 vcc_lo, exec_lo, s14
	s_mov_b32 s1, -1
	s_cbranch_vccz .LBB153_16
; %bb.9:                                ;   in Loop: Header=BB153_8 Depth=1
	s_and_saveexec_b32 s27, s0
	s_cbranch_execz .LBB153_15
; %bb.10:                               ;   in Loop: Header=BB153_8 Depth=1
	s_load_b128 s[4:7], s[22:23], s8 offset:0x0 scale_offset
	v_mov_b64_e32 v[6:7], v[4:5]
	v_mov_b32_e32 v12, v0
	s_cmp_gt_i32 s30, 0
	s_mov_b32 s31, 0
	s_cselect_b32 s29, -1, 0
	s_branch .LBB153_12
.LBB153_11:                             ;   in Loop: Header=BB153_12 Depth=2
	s_wait_kmcnt 0x0
	s_delay_alu instid0(VALU_DEP_1) | instskip(NEXT) | instid1(VALU_DEP_2)
	v_mul_f64_e32 v[16:17], s[6:7], v[8:9]
	v_dual_mul_f64 v[18:19], s[6:7], v[10:11] :: v_dual_lshlrev_b32 v13, 4, v12
	v_add_nc_u32_e32 v12, s19, v12
	v_add_nc_u64_e32 v[6:7], s[20:21], v[6:7]
	s_delay_alu instid0(VALU_DEP_4) | instskip(NEXT) | instid1(VALU_DEP_4)
	v_fma_f64 v[16:17], v[10:11], s[4:5], -v[16:17]
	v_fmac_f64_e32 v[18:19], s[4:5], v[8:9]
	v_dual_add_nc_u32 v8, s41, v13 :: v_dual_add_nc_u32 v13, 0, v13
	v_cmp_le_i32_e32 vcc_lo, s40, v12
	ds_load_2addr_b64 v[8:11], v8 offset0:2 offset1:3
	s_or_b32 s31, vcc_lo, s31
	s_wait_dscnt 0x0
	v_add_f64_e32 v[8:9], v[8:9], v[16:17]
	v_add_f64_e32 v[10:11], v[10:11], v[18:19]
	ds_store_2addr_b64 v13, v[8:9], v[10:11] offset1:1
	s_and_not1_b32 exec_lo, exec_lo, s31
	s_cbranch_execz .LBB153_15
.LBB153_12:                             ;   Parent Loop BB153_8 Depth=1
                                        ; =>  This Loop Header: Depth=2
                                        ;       Child Loop BB153_14 Depth 3
	v_mov_b64_e32 v[8:9], 0
	v_mov_b64_e32 v[10:11], 0
	s_and_not1_b32 vcc_lo, exec_lo, s29
	s_cbranch_vccnz .LBB153_11
; %bb.13:                               ;   in Loop: Header=BB153_12 Depth=2
	s_mov_b32 s34, 0
	s_mov_b64 s[0:1], 0
.LBB153_14:                             ;   Parent Loop BB153_8 Depth=1
                                        ;     Parent Loop BB153_12 Depth=2
                                        ; =>    This Inner Loop Header: Depth=3
	s_delay_alu instid0(SALU_CYCLE_1)
	v_add_nc_u64_e32 v[16:17], s[0:1], v[6:7]
	s_add_nc_u64 s[42:43], s[24:25], s[0:1]
	s_add_co_i32 s34, s34, 1
	s_add_nc_u64 s[42:43], s[42:43], -8
	s_cmp_eq_u32 s38, s34
	s_load_b128 s[44:47], s[42:43], 0x0
	s_add_nc_u64 s[0:1], s[0:1], s[16:17]
	global_load_b128 v[16:19], v[16:17], off offset:-8
	s_wait_loadcnt 0x0
	s_wait_kmcnt 0x0
	v_mul_f64_e32 v[20:21], s[46:47], v[18:19]
	v_mul_f64_e32 v[22:23], s[46:47], v[16:17]
	s_delay_alu instid0(VALU_DEP_2) | instskip(SKIP_1) | instid1(VALU_DEP_2)
	v_fmac_f64_e32 v[20:21], s[44:45], v[16:17]
	s_wait_xcnt 0x0
	v_fma_f64 v[16:17], s[44:45], v[18:19], -v[22:23]
	s_delay_alu instid0(VALU_DEP_2) | instskip(NEXT) | instid1(VALU_DEP_2)
	v_add_f64_e32 v[10:11], v[10:11], v[20:21]
	v_add_f64_e32 v[8:9], v[8:9], v[16:17]
	s_cbranch_scc0 .LBB153_14
	s_branch .LBB153_11
.LBB153_15:                             ;   in Loop: Header=BB153_8 Depth=1
	s_or_b32 exec_lo, exec_lo, s27
	s_mov_b32 s1, 0
.LBB153_16:                             ;   in Loop: Header=BB153_8 Depth=1
	s_delay_alu instid0(SALU_CYCLE_1)
	s_and_not1_b32 vcc_lo, exec_lo, s1
	s_cbranch_vccnz .LBB153_25
; %bb.17:                               ;   in Loop: Header=BB153_8 Depth=1
	s_mov_b32 s42, exec_lo
	v_cmpx_gt_i32_e64 s40, v0
	s_cbranch_execz .LBB153_24
; %bb.18:                               ;   in Loop: Header=BB153_8 Depth=1
	s_load_b128 s[4:7], s[22:23], s8 offset:0x0 scale_offset
	s_ashr_i32 s27, s26, 31
	s_ashr_i32 s29, s28, 31
	s_lshl_b64 s[0:1], s[26:27], 4
	s_lshl_b64 s[34:35], s[28:29], 4
	v_dual_mov_b32 v6, v14 :: v_dual_mov_b32 v15, v0
	s_cmp_gt_i32 s30, 0
	s_add_nc_u64 s[0:1], s[12:13], s[0:1]
	s_cselect_b32 s27, -1, 0
	s_mov_b32 s29, 0
	s_add_nc_u64 s[30:31], s[12:13], s[34:35]
	s_branch .LBB153_21
.LBB153_19:                             ;   in Loop: Header=BB153_21 Depth=2
	v_mov_b64_e32 v[8:9], 0
	v_mov_b64_e32 v[10:11], 0
.LBB153_20:                             ;   in Loop: Header=BB153_21 Depth=2
	s_wait_kmcnt 0x0
	s_delay_alu instid0(VALU_DEP_1) | instskip(NEXT) | instid1(VALU_DEP_2)
	v_dual_mul_f64 v[12:13], s[6:7], v[8:9] :: v_dual_lshlrev_b32 v7, 4, v15
	v_mul_f64_e32 v[16:17], s[6:7], v[10:11]
	v_dual_add_nc_u32 v6, s9, v6 :: v_dual_add_nc_u32 v15, s19, v15
	s_delay_alu instid0(VALU_DEP_1) | instskip(SKIP_1) | instid1(VALU_DEP_4)
	v_cmp_le_i32_e32 vcc_lo, s40, v15
	s_or_b32 s29, vcc_lo, s29
	v_fma_f64 v[12:13], v[10:11], s[4:5], -v[12:13]
	s_delay_alu instid0(VALU_DEP_4)
	v_fmac_f64_e32 v[16:17], s[4:5], v[8:9]
	v_dual_add_nc_u32 v8, s41, v7 :: v_dual_add_nc_u32 v7, 0, v7
	ds_load_2addr_b64 v[8:11], v8 offset0:2 offset1:3
	s_wait_dscnt 0x0
	v_add_f64_e32 v[8:9], v[8:9], v[12:13]
	v_add_f64_e32 v[10:11], v[10:11], v[16:17]
	ds_store_2addr_b64 v7, v[8:9], v[10:11] offset1:1
	s_and_not1_b32 exec_lo, exec_lo, s29
	s_cbranch_execz .LBB153_24
.LBB153_21:                             ;   Parent Loop BB153_8 Depth=1
                                        ; =>  This Loop Header: Depth=2
                                        ;       Child Loop BB153_23 Depth 3
	s_and_not1_b32 vcc_lo, exec_lo, s27
	s_cbranch_vccnz .LBB153_19
; %bb.22:                               ;   in Loop: Header=BB153_21 Depth=2
	v_ashrrev_i32_e32 v7, 31, v6
	v_mov_b64_e32 v[8:9], 0
	v_mov_b64_e32 v[10:11], 0
	s_mov_b32 s43, 0
	s_mov_b64 s[34:35], s[0:1]
	v_lshl_add_u64 v[12:13], v[6:7], 4, s[30:31]
.LBB153_23:                             ;   Parent Loop BB153_8 Depth=1
                                        ;     Parent Loop BB153_21 Depth=2
                                        ; =>    This Inner Loop Header: Depth=3
	global_load_b128 v[16:19], v[12:13], off offset:-8
	s_add_nc_u64 s[48:49], s[34:35], -8
	s_wait_xcnt 0x0
	v_add_nc_u64_e32 v[12:13], 16, v[12:13]
	s_load_b128 s[44:47], s[48:49], 0x0
	s_add_co_i32 s43, s43, 1
	s_add_nc_u64 s[34:35], s[34:35], 16
	s_cmp_eq_u32 s38, s43
	s_wait_loadcnt 0x0
	s_wait_kmcnt 0x0
	v_mul_f64_e32 v[20:21], s[46:47], v[18:19]
	v_mul_f64_e32 v[18:19], s[44:45], v[18:19]
	s_delay_alu instid0(VALU_DEP_2) | instskip(NEXT) | instid1(VALU_DEP_2)
	v_fmac_f64_e32 v[20:21], s[44:45], v[16:17]
	v_fma_f64 v[16:17], v[16:17], s[46:47], -v[18:19]
	s_delay_alu instid0(VALU_DEP_2) | instskip(NEXT) | instid1(VALU_DEP_2)
	v_add_f64_e32 v[10:11], v[10:11], v[20:21]
	v_add_f64_e32 v[8:9], v[8:9], v[16:17]
	s_cbranch_scc0 .LBB153_23
	s_branch .LBB153_20
.LBB153_24:                             ;   in Loop: Header=BB153_8 Depth=1
	s_or_b32 exec_lo, exec_lo, s42
.LBB153_25:                             ;   in Loop: Header=BB153_8 Depth=1
	s_delay_alu instid0(SALU_CYCLE_1)
	s_mov_b32 s0, exec_lo
	s_wait_dscnt 0x0
	s_barrier_signal -1
	s_barrier_wait -1
	v_cmpx_gt_i32_e64 s40, v0
	s_cbranch_execz .LBB153_7
; %bb.26:                               ;   in Loop: Header=BB153_8 Depth=1
	v_dual_mov_b32 v10, v3 :: v_dual_mov_b32 v11, v0
	s_mov_b32 s1, 0
.LBB153_27:                             ;   Parent Loop BB153_8 Depth=1
                                        ; =>  This Loop Header: Depth=2
                                        ;       Child Loop BB153_28 Depth 3
	v_mov_b64_e32 v[6:7], 0
	v_mov_b64_e32 v[8:9], 0
	s_delay_alu instid0(VALU_DEP_3)
	v_mov_b32_e32 v12, v10
	s_mov_b32 s5, -1
	s_mov_b32 s4, 0
	s_mov_b32 s6, 0
.LBB153_28:                             ;   Parent Loop BB153_8 Depth=1
                                        ;     Parent Loop BB153_27 Depth=2
                                        ; =>    This Inner Loop Header: Depth=3
	s_delay_alu instid0(SALU_CYCLE_1)
	v_mov_b32_e32 v13, s6
	s_add_co_i32 s5, s5, 1
	s_add_co_i32 s6, s6, 16
	v_cmp_eq_u32_e32 vcc_lo, s5, v11
	ds_load_2addr_b64 v[16:19], v12 offset1:1
	ds_load_2addr_b64 v[20:23], v13 offset1:1
	v_add_nc_u32_e32 v12, s33, v12
	s_or_b32 s4, vcc_lo, s4
	s_wait_dscnt 0x0
	v_mul_f64_e32 v[24:25], v[22:23], v[18:19]
	v_mul_f64_e32 v[18:19], v[20:21], v[18:19]
	s_delay_alu instid0(VALU_DEP_2) | instskip(NEXT) | instid1(VALU_DEP_2)
	v_fma_f64 v[20:21], v[20:21], v[16:17], -v[24:25]
	v_fmac_f64_e32 v[18:19], v[22:23], v[16:17]
	s_delay_alu instid0(VALU_DEP_2) | instskip(NEXT) | instid1(VALU_DEP_2)
	v_add_f64_e32 v[6:7], v[6:7], v[20:21]
	v_add_f64_e32 v[8:9], v[8:9], v[18:19]
	s_and_not1_b32 exec_lo, exec_lo, s4
	s_cbranch_execnz .LBB153_28
; %bb.29:                               ;   in Loop: Header=BB153_27 Depth=2
	s_or_b32 exec_lo, exec_lo, s4
	v_lshl_add_u32 v12, v11, 4, s41
	v_dual_add_nc_u32 v11, s19, v11 :: v_dual_add_nc_u32 v10, s20, v10
	ds_store_2addr_b64 v12, v[6:7], v[8:9] offset0:2 offset1:3
	v_cmp_le_i32_e32 vcc_lo, s40, v11
	s_or_b32 s1, vcc_lo, s1
	s_delay_alu instid0(SALU_CYCLE_1)
	s_and_not1_b32 exec_lo, exec_lo, s1
	s_cbranch_execnz .LBB153_27
	s_branch .LBB153_7
.LBB153_30:
	s_and_saveexec_b32 s0, s2
	s_cbranch_execz .LBB153_35
; %bb.31:
	s_lshl_b32 s0, s18, 4
	s_mov_b32 s1, 0
	v_add3_u32 v2, 0, s0, v2
	s_lshl_b32 s2, s19, 4
.LBB153_32:                             ; =>This Loop Header: Depth=1
                                        ;     Child Loop BB153_33 Depth 2
	s_delay_alu instid0(VALU_DEP_1)
	v_dual_mov_b32 v3, v2 :: v_dual_mov_b32 v4, v0
	s_mov_b32 s4, 0
	s_mov_b32 s5, 0
.LBB153_33:                             ;   Parent Loop BB153_32 Depth=1
                                        ; =>  This Inner Loop Header: Depth=2
	ds_load_2addr_b64 v[6:9], v3 offset1:1
	s_add_co_i32 s5, s5, 1
	v_add_nc_u32_e32 v3, s0, v3
	v_cmp_eq_u32_e32 vcc_lo, s5, v1
	s_or_b32 s4, vcc_lo, s4
	s_wait_dscnt 0x0
	global_store_b128 v4, v[6:9], s[10:11] scale_offset
	s_wait_xcnt 0x0
	v_add_nc_u32_e32 v4, s3, v4
	s_and_not1_b32 exec_lo, exec_lo, s4
	s_cbranch_execnz .LBB153_33
; %bb.34:                               ;   in Loop: Header=BB153_32 Depth=1
	s_or_b32 exec_lo, exec_lo, s4
	v_dual_add_nc_u32 v0, s19, v0 :: v_dual_add_nc_u32 v1, s19, v1
	v_add_nc_u32_e32 v2, s2, v2
	s_delay_alu instid0(VALU_DEP_2) | instskip(SKIP_1) | instid1(SALU_CYCLE_1)
	v_cmp_le_i32_e32 vcc_lo, s18, v0
	s_or_b32 s1, vcc_lo, s1
	s_and_not1_b32 exec_lo, exec_lo, s1
	s_cbranch_execnz .LBB153_32
.LBB153_35:
	s_endpgm
	.section	.rodata,"a",@progbits
	.p2align	6, 0x0
	.amdhsa_kernel _ZN9rocsolver6v33100L21larft_kernel_backwardI19rocblas_complex_numIdEPS3_EEv15rocblas_storev_iiT0_iilPT_lS8_il
		.amdhsa_group_segment_fixed_size 0
		.amdhsa_private_segment_fixed_size 0
		.amdhsa_kernarg_size 336
		.amdhsa_user_sgpr_count 2
		.amdhsa_user_sgpr_dispatch_ptr 0
		.amdhsa_user_sgpr_queue_ptr 0
		.amdhsa_user_sgpr_kernarg_segment_ptr 1
		.amdhsa_user_sgpr_dispatch_id 0
		.amdhsa_user_sgpr_kernarg_preload_length 0
		.amdhsa_user_sgpr_kernarg_preload_offset 0
		.amdhsa_user_sgpr_private_segment_size 0
		.amdhsa_wavefront_size32 1
		.amdhsa_uses_dynamic_stack 0
		.amdhsa_enable_private_segment 0
		.amdhsa_system_sgpr_workgroup_id_x 1
		.amdhsa_system_sgpr_workgroup_id_y 1
		.amdhsa_system_sgpr_workgroup_id_z 0
		.amdhsa_system_sgpr_workgroup_info 0
		.amdhsa_system_vgpr_workitem_id 0
		.amdhsa_next_free_vgpr 26
		.amdhsa_next_free_sgpr 50
		.amdhsa_named_barrier_count 0
		.amdhsa_reserve_vcc 1
		.amdhsa_float_round_mode_32 0
		.amdhsa_float_round_mode_16_64 0
		.amdhsa_float_denorm_mode_32 3
		.amdhsa_float_denorm_mode_16_64 3
		.amdhsa_fp16_overflow 0
		.amdhsa_memory_ordered 1
		.amdhsa_forward_progress 1
		.amdhsa_inst_pref_size 13
		.amdhsa_round_robin_scheduling 0
		.amdhsa_exception_fp_ieee_invalid_op 0
		.amdhsa_exception_fp_denorm_src 0
		.amdhsa_exception_fp_ieee_div_zero 0
		.amdhsa_exception_fp_ieee_overflow 0
		.amdhsa_exception_fp_ieee_underflow 0
		.amdhsa_exception_fp_ieee_inexact 0
		.amdhsa_exception_int_div_zero 0
	.end_amdhsa_kernel
	.section	.text._ZN9rocsolver6v33100L21larft_kernel_backwardI19rocblas_complex_numIdEPS3_EEv15rocblas_storev_iiT0_iilPT_lS8_il,"axG",@progbits,_ZN9rocsolver6v33100L21larft_kernel_backwardI19rocblas_complex_numIdEPS3_EEv15rocblas_storev_iiT0_iilPT_lS8_il,comdat
.Lfunc_end153:
	.size	_ZN9rocsolver6v33100L21larft_kernel_backwardI19rocblas_complex_numIdEPS3_EEv15rocblas_storev_iiT0_iilPT_lS8_il, .Lfunc_end153-_ZN9rocsolver6v33100L21larft_kernel_backwardI19rocblas_complex_numIdEPS3_EEv15rocblas_storev_iiT0_iilPT_lS8_il
                                        ; -- End function
	.set _ZN9rocsolver6v33100L21larft_kernel_backwardI19rocblas_complex_numIdEPS3_EEv15rocblas_storev_iiT0_iilPT_lS8_il.num_vgpr, 26
	.set _ZN9rocsolver6v33100L21larft_kernel_backwardI19rocblas_complex_numIdEPS3_EEv15rocblas_storev_iiT0_iilPT_lS8_il.num_agpr, 0
	.set _ZN9rocsolver6v33100L21larft_kernel_backwardI19rocblas_complex_numIdEPS3_EEv15rocblas_storev_iiT0_iilPT_lS8_il.numbered_sgpr, 50
	.set _ZN9rocsolver6v33100L21larft_kernel_backwardI19rocblas_complex_numIdEPS3_EEv15rocblas_storev_iiT0_iilPT_lS8_il.num_named_barrier, 0
	.set _ZN9rocsolver6v33100L21larft_kernel_backwardI19rocblas_complex_numIdEPS3_EEv15rocblas_storev_iiT0_iilPT_lS8_il.private_seg_size, 0
	.set _ZN9rocsolver6v33100L21larft_kernel_backwardI19rocblas_complex_numIdEPS3_EEv15rocblas_storev_iiT0_iilPT_lS8_il.uses_vcc, 1
	.set _ZN9rocsolver6v33100L21larft_kernel_backwardI19rocblas_complex_numIdEPS3_EEv15rocblas_storev_iiT0_iilPT_lS8_il.uses_flat_scratch, 0
	.set _ZN9rocsolver6v33100L21larft_kernel_backwardI19rocblas_complex_numIdEPS3_EEv15rocblas_storev_iiT0_iilPT_lS8_il.has_dyn_sized_stack, 0
	.set _ZN9rocsolver6v33100L21larft_kernel_backwardI19rocblas_complex_numIdEPS3_EEv15rocblas_storev_iiT0_iilPT_lS8_il.has_recursion, 0
	.set _ZN9rocsolver6v33100L21larft_kernel_backwardI19rocblas_complex_numIdEPS3_EEv15rocblas_storev_iiT0_iilPT_lS8_il.has_indirect_call, 0
	.section	.AMDGPU.csdata,"",@progbits
; Kernel info:
; codeLenInByte = 1624
; TotalNumSgprs: 52
; NumVgprs: 26
; ScratchSize: 0
; MemoryBound: 1
; FloatMode: 240
; IeeeMode: 1
; LDSByteSize: 0 bytes/workgroup (compile time only)
; SGPRBlocks: 0
; VGPRBlocks: 1
; NumSGPRsForWavesPerEU: 52
; NumVGPRsForWavesPerEU: 26
; NamedBarCnt: 0
; Occupancy: 16
; WaveLimiterHint : 0
; COMPUTE_PGM_RSRC2:SCRATCH_EN: 0
; COMPUTE_PGM_RSRC2:USER_SGPR: 2
; COMPUTE_PGM_RSRC2:TRAP_HANDLER: 0
; COMPUTE_PGM_RSRC2:TGID_X_EN: 1
; COMPUTE_PGM_RSRC2:TGID_Y_EN: 1
; COMPUTE_PGM_RSRC2:TGID_Z_EN: 0
; COMPUTE_PGM_RSRC2:TIDIG_COMP_CNT: 0
	.section	.text._ZN9rocsolver6v33100L9copymatA1I19rocblas_complex_numIdEPS3_EEviiT0_iilPT_,"axG",@progbits,_ZN9rocsolver6v33100L9copymatA1I19rocblas_complex_numIdEPS3_EEviiT0_iilPT_,comdat
	.globl	_ZN9rocsolver6v33100L9copymatA1I19rocblas_complex_numIdEPS3_EEviiT0_iilPT_ ; -- Begin function _ZN9rocsolver6v33100L9copymatA1I19rocblas_complex_numIdEPS3_EEviiT0_iilPT_
	.p2align	8
	.type	_ZN9rocsolver6v33100L9copymatA1I19rocblas_complex_numIdEPS3_EEviiT0_iilPT_,@function
_ZN9rocsolver6v33100L9copymatA1I19rocblas_complex_numIdEPS3_EEviiT0_iilPT_: ; @_ZN9rocsolver6v33100L9copymatA1I19rocblas_complex_numIdEPS3_EEviiT0_iilPT_
; %bb.0:
	s_clause 0x1
	s_load_b32 s2, s[0:1], 0x34
	s_load_b64 s[12:13], s[0:1], 0x0
	s_bfe_u32 s4, ttmp6, 0x40010
	s_bfe_u32 s7, ttmp6, 0x4000c
	s_and_b32 s3, ttmp7, 0xffff
	s_add_co_i32 s4, s4, 1
	s_add_co_i32 s7, s7, 1
	s_bfe_u32 s5, ttmp6, 0x40004
	s_and_b32 s6, ttmp6, 15
	s_mul_i32 s4, s3, s4
	s_mul_i32 s7, ttmp9, s7
	s_getreg_b32 s14, hwreg(HW_REG_IB_STS2, 6, 4)
	v_and_b32_e32 v1, 0x3ff, v0
	v_bfe_u32 v0, v0, 10, 10
	s_add_co_i32 s5, s5, s4
	s_add_co_i32 s6, s6, s7
	s_wait_kmcnt 0x0
	s_lshr_b32 s4, s2, 16
	s_and_b32 s2, s2, 0xffff
	s_cmp_eq_u32 s14, 0
	s_cselect_b32 s3, s3, s5
	s_cselect_b32 s5, ttmp9, s6
	v_mad_u32 v0, s3, s4, v0
	v_mad_u32 v1, s5, s2, v1
	s_mov_b32 s3, 0
	s_delay_alu instid0(VALU_DEP_2) | instskip(NEXT) | instid1(VALU_DEP_2)
	v_cmp_gt_u32_e32 vcc_lo, s12, v0
	v_cmp_gt_u32_e64 s2, s13, v1
	s_and_b32 s2, s2, vcc_lo
	s_delay_alu instid0(SALU_CYCLE_1)
	s_and_saveexec_b32 s4, s2
	s_cbranch_execz .LBB154_2
; %bb.1:
	s_load_b256 s[4:11], s[0:1], 0x8
	s_wait_xcnt 0x0
	s_bfe_u32 s0, ttmp6, 0x40014
	s_lshr_b32 s2, ttmp7, 16
	s_add_co_i32 s0, s0, 1
	s_bfe_u32 s16, ttmp6, 0x40008
	s_mul_i32 s0, s2, s0
	s_ashr_i32 s1, s12, 31
	s_ashr_i32 s15, s13, 31
	s_add_co_i32 s16, s16, s0
	s_cmp_eq_u32 s14, 0
	s_mov_b32 s0, s12
	s_cselect_b32 s2, s2, s16
	s_mov_b32 s14, s13
	s_mul_u64 s[0:1], s[0:1], s[2:3]
	s_delay_alu instid0(SALU_CYCLE_1) | instskip(NEXT) | instid1(SALU_CYCLE_1)
	s_mul_u64 s[0:1], s[0:1], s[14:15]
	s_lshl_b64 s[0:1], s[0:1], 4
	s_wait_kmcnt 0x0
	v_mad_u32 v2, v1, s7, v0
	s_mul_u64 s[8:9], s[8:9], s[2:3]
	s_ashr_i32 s7, s6, 31
	s_lshl_b64 s[8:9], s[8:9], 4
	s_lshl_b64 s[6:7], s[6:7], 4
	s_add_nc_u64 s[4:5], s[4:5], s[8:9]
	v_mad_u32 v0, v1, s12, v0
	s_add_nc_u64 s[4:5], s[4:5], s[6:7]
	s_add_nc_u64 s[0:1], s[10:11], s[0:1]
	global_load_b128 v[2:5], v2, s[4:5] scale_offset
	s_wait_loadcnt 0x0
	global_store_b128 v0, v[2:5], s[0:1] scale_offset
.LBB154_2:
	s_endpgm
	.section	.rodata,"a",@progbits
	.p2align	6, 0x0
	.amdhsa_kernel _ZN9rocsolver6v33100L9copymatA1I19rocblas_complex_numIdEPS3_EEviiT0_iilPT_
		.amdhsa_group_segment_fixed_size 0
		.amdhsa_private_segment_fixed_size 0
		.amdhsa_kernarg_size 296
		.amdhsa_user_sgpr_count 2
		.amdhsa_user_sgpr_dispatch_ptr 0
		.amdhsa_user_sgpr_queue_ptr 0
		.amdhsa_user_sgpr_kernarg_segment_ptr 1
		.amdhsa_user_sgpr_dispatch_id 0
		.amdhsa_user_sgpr_kernarg_preload_length 0
		.amdhsa_user_sgpr_kernarg_preload_offset 0
		.amdhsa_user_sgpr_private_segment_size 0
		.amdhsa_wavefront_size32 1
		.amdhsa_uses_dynamic_stack 0
		.amdhsa_enable_private_segment 0
		.amdhsa_system_sgpr_workgroup_id_x 1
		.amdhsa_system_sgpr_workgroup_id_y 1
		.amdhsa_system_sgpr_workgroup_id_z 1
		.amdhsa_system_sgpr_workgroup_info 0
		.amdhsa_system_vgpr_workitem_id 1
		.amdhsa_next_free_vgpr 6
		.amdhsa_next_free_sgpr 17
		.amdhsa_named_barrier_count 0
		.amdhsa_reserve_vcc 1
		.amdhsa_float_round_mode_32 0
		.amdhsa_float_round_mode_16_64 0
		.amdhsa_float_denorm_mode_32 3
		.amdhsa_float_denorm_mode_16_64 3
		.amdhsa_fp16_overflow 0
		.amdhsa_memory_ordered 1
		.amdhsa_forward_progress 1
		.amdhsa_inst_pref_size 3
		.amdhsa_round_robin_scheduling 0
		.amdhsa_exception_fp_ieee_invalid_op 0
		.amdhsa_exception_fp_denorm_src 0
		.amdhsa_exception_fp_ieee_div_zero 0
		.amdhsa_exception_fp_ieee_overflow 0
		.amdhsa_exception_fp_ieee_underflow 0
		.amdhsa_exception_fp_ieee_inexact 0
		.amdhsa_exception_int_div_zero 0
	.end_amdhsa_kernel
	.section	.text._ZN9rocsolver6v33100L9copymatA1I19rocblas_complex_numIdEPS3_EEviiT0_iilPT_,"axG",@progbits,_ZN9rocsolver6v33100L9copymatA1I19rocblas_complex_numIdEPS3_EEviiT0_iilPT_,comdat
.Lfunc_end154:
	.size	_ZN9rocsolver6v33100L9copymatA1I19rocblas_complex_numIdEPS3_EEviiT0_iilPT_, .Lfunc_end154-_ZN9rocsolver6v33100L9copymatA1I19rocblas_complex_numIdEPS3_EEviiT0_iilPT_
                                        ; -- End function
	.set _ZN9rocsolver6v33100L9copymatA1I19rocblas_complex_numIdEPS3_EEviiT0_iilPT_.num_vgpr, 6
	.set _ZN9rocsolver6v33100L9copymatA1I19rocblas_complex_numIdEPS3_EEviiT0_iilPT_.num_agpr, 0
	.set _ZN9rocsolver6v33100L9copymatA1I19rocblas_complex_numIdEPS3_EEviiT0_iilPT_.numbered_sgpr, 17
	.set _ZN9rocsolver6v33100L9copymatA1I19rocblas_complex_numIdEPS3_EEviiT0_iilPT_.num_named_barrier, 0
	.set _ZN9rocsolver6v33100L9copymatA1I19rocblas_complex_numIdEPS3_EEviiT0_iilPT_.private_seg_size, 0
	.set _ZN9rocsolver6v33100L9copymatA1I19rocblas_complex_numIdEPS3_EEviiT0_iilPT_.uses_vcc, 1
	.set _ZN9rocsolver6v33100L9copymatA1I19rocblas_complex_numIdEPS3_EEviiT0_iilPT_.uses_flat_scratch, 0
	.set _ZN9rocsolver6v33100L9copymatA1I19rocblas_complex_numIdEPS3_EEviiT0_iilPT_.has_dyn_sized_stack, 0
	.set _ZN9rocsolver6v33100L9copymatA1I19rocblas_complex_numIdEPS3_EEviiT0_iilPT_.has_recursion, 0
	.set _ZN9rocsolver6v33100L9copymatA1I19rocblas_complex_numIdEPS3_EEviiT0_iilPT_.has_indirect_call, 0
	.section	.AMDGPU.csdata,"",@progbits
; Kernel info:
; codeLenInByte = 344
; TotalNumSgprs: 19
; NumVgprs: 6
; ScratchSize: 0
; MemoryBound: 0
; FloatMode: 240
; IeeeMode: 1
; LDSByteSize: 0 bytes/workgroup (compile time only)
; SGPRBlocks: 0
; VGPRBlocks: 0
; NumSGPRsForWavesPerEU: 19
; NumVGPRsForWavesPerEU: 6
; NamedBarCnt: 0
; Occupancy: 16
; WaveLimiterHint : 0
; COMPUTE_PGM_RSRC2:SCRATCH_EN: 0
; COMPUTE_PGM_RSRC2:USER_SGPR: 2
; COMPUTE_PGM_RSRC2:TRAP_HANDLER: 0
; COMPUTE_PGM_RSRC2:TGID_X_EN: 1
; COMPUTE_PGM_RSRC2:TGID_Y_EN: 1
; COMPUTE_PGM_RSRC2:TGID_Z_EN: 1
; COMPUTE_PGM_RSRC2:TIDIG_COMP_CNT: 1
	.section	.text._ZN9rocsolver6v33100L8addmatA1I19rocblas_complex_numIdEPS3_EEviiT0_iilPT_,"axG",@progbits,_ZN9rocsolver6v33100L8addmatA1I19rocblas_complex_numIdEPS3_EEviiT0_iilPT_,comdat
	.globl	_ZN9rocsolver6v33100L8addmatA1I19rocblas_complex_numIdEPS3_EEviiT0_iilPT_ ; -- Begin function _ZN9rocsolver6v33100L8addmatA1I19rocblas_complex_numIdEPS3_EEviiT0_iilPT_
	.p2align	8
	.type	_ZN9rocsolver6v33100L8addmatA1I19rocblas_complex_numIdEPS3_EEviiT0_iilPT_,@function
_ZN9rocsolver6v33100L8addmatA1I19rocblas_complex_numIdEPS3_EEviiT0_iilPT_: ; @_ZN9rocsolver6v33100L8addmatA1I19rocblas_complex_numIdEPS3_EEviiT0_iilPT_
; %bb.0:
	s_clause 0x1
	s_load_b32 s2, s[0:1], 0x34
	s_load_b64 s[12:13], s[0:1], 0x0
	s_bfe_u32 s4, ttmp6, 0x40010
	s_bfe_u32 s7, ttmp6, 0x4000c
	s_and_b32 s3, ttmp7, 0xffff
	s_add_co_i32 s4, s4, 1
	s_add_co_i32 s7, s7, 1
	s_bfe_u32 s5, ttmp6, 0x40004
	s_and_b32 s6, ttmp6, 15
	s_mul_i32 s4, s3, s4
	s_mul_i32 s7, ttmp9, s7
	s_getreg_b32 s14, hwreg(HW_REG_IB_STS2, 6, 4)
	v_and_b32_e32 v1, 0x3ff, v0
	v_bfe_u32 v0, v0, 10, 10
	s_add_co_i32 s5, s5, s4
	s_add_co_i32 s6, s6, s7
	s_wait_kmcnt 0x0
	s_lshr_b32 s4, s2, 16
	s_and_b32 s2, s2, 0xffff
	s_cmp_eq_u32 s14, 0
	s_cselect_b32 s3, s3, s5
	s_cselect_b32 s5, ttmp9, s6
	v_mad_u32 v0, s3, s4, v0
	v_mad_u32 v1, s5, s2, v1
	s_mov_b32 s3, 0
	s_delay_alu instid0(VALU_DEP_2) | instskip(NEXT) | instid1(VALU_DEP_2)
	v_cmp_gt_u32_e32 vcc_lo, s12, v0
	v_cmp_gt_u32_e64 s2, s13, v1
	s_and_b32 s2, s2, vcc_lo
	s_delay_alu instid0(SALU_CYCLE_1)
	s_and_saveexec_b32 s4, s2
	s_cbranch_execz .LBB155_2
; %bb.1:
	s_load_b256 s[4:11], s[0:1], 0x8
	s_wait_xcnt 0x0
	s_bfe_u32 s0, ttmp6, 0x40014
	s_lshr_b32 s2, ttmp7, 16
	s_add_co_i32 s0, s0, 1
	s_bfe_u32 s16, ttmp6, 0x40008
	s_mul_i32 s0, s2, s0
	s_ashr_i32 s1, s12, 31
	s_ashr_i32 s15, s13, 31
	s_add_co_i32 s16, s16, s0
	s_cmp_eq_u32 s14, 0
	v_mad_u32 v8, v1, s12, v0
	s_mov_b32 s0, s12
	s_cselect_b32 s2, s2, s16
	s_mov_b32 s14, s13
	s_mul_u64 s[0:1], s[0:1], s[2:3]
	s_delay_alu instid0(SALU_CYCLE_1) | instskip(NEXT) | instid1(SALU_CYCLE_1)
	s_mul_u64 s[0:1], s[0:1], s[14:15]
	s_lshl_b64 s[0:1], s[0:1], 4
	s_wait_kmcnt 0x0
	v_mad_u32 v9, v1, s7, v0
	s_mul_u64 s[2:3], s[8:9], s[2:3]
	s_ashr_i32 s7, s6, 31
	s_lshl_b64 s[2:3], s[2:3], 4
	s_lshl_b64 s[6:7], s[6:7], 4
	s_add_nc_u64 s[2:3], s[4:5], s[2:3]
	s_add_nc_u64 s[0:1], s[10:11], s[0:1]
	;; [unrolled: 1-line block ×3, first 2 shown]
	global_load_b128 v[0:3], v8, s[0:1] scale_offset
	global_load_b128 v[4:7], v9, s[2:3] scale_offset
	s_wait_loadcnt 0x0
	v_add_f64_e64 v[0:1], v[4:5], -v[0:1]
	v_add_f64_e64 v[2:3], v[6:7], -v[2:3]
	global_store_b128 v9, v[0:3], s[2:3] scale_offset
.LBB155_2:
	s_endpgm
	.section	.rodata,"a",@progbits
	.p2align	6, 0x0
	.amdhsa_kernel _ZN9rocsolver6v33100L8addmatA1I19rocblas_complex_numIdEPS3_EEviiT0_iilPT_
		.amdhsa_group_segment_fixed_size 0
		.amdhsa_private_segment_fixed_size 0
		.amdhsa_kernarg_size 296
		.amdhsa_user_sgpr_count 2
		.amdhsa_user_sgpr_dispatch_ptr 0
		.amdhsa_user_sgpr_queue_ptr 0
		.amdhsa_user_sgpr_kernarg_segment_ptr 1
		.amdhsa_user_sgpr_dispatch_id 0
		.amdhsa_user_sgpr_kernarg_preload_length 0
		.amdhsa_user_sgpr_kernarg_preload_offset 0
		.amdhsa_user_sgpr_private_segment_size 0
		.amdhsa_wavefront_size32 1
		.amdhsa_uses_dynamic_stack 0
		.amdhsa_enable_private_segment 0
		.amdhsa_system_sgpr_workgroup_id_x 1
		.amdhsa_system_sgpr_workgroup_id_y 1
		.amdhsa_system_sgpr_workgroup_id_z 1
		.amdhsa_system_sgpr_workgroup_info 0
		.amdhsa_system_vgpr_workitem_id 1
		.amdhsa_next_free_vgpr 10
		.amdhsa_next_free_sgpr 17
		.amdhsa_named_barrier_count 0
		.amdhsa_reserve_vcc 1
		.amdhsa_float_round_mode_32 0
		.amdhsa_float_round_mode_16_64 0
		.amdhsa_float_denorm_mode_32 3
		.amdhsa_float_denorm_mode_16_64 3
		.amdhsa_fp16_overflow 0
		.amdhsa_memory_ordered 1
		.amdhsa_forward_progress 1
		.amdhsa_inst_pref_size 3
		.amdhsa_round_robin_scheduling 0
		.amdhsa_exception_fp_ieee_invalid_op 0
		.amdhsa_exception_fp_denorm_src 0
		.amdhsa_exception_fp_ieee_div_zero 0
		.amdhsa_exception_fp_ieee_overflow 0
		.amdhsa_exception_fp_ieee_underflow 0
		.amdhsa_exception_fp_ieee_inexact 0
		.amdhsa_exception_int_div_zero 0
	.end_amdhsa_kernel
	.section	.text._ZN9rocsolver6v33100L8addmatA1I19rocblas_complex_numIdEPS3_EEviiT0_iilPT_,"axG",@progbits,_ZN9rocsolver6v33100L8addmatA1I19rocblas_complex_numIdEPS3_EEviiT0_iilPT_,comdat
.Lfunc_end155:
	.size	_ZN9rocsolver6v33100L8addmatA1I19rocblas_complex_numIdEPS3_EEviiT0_iilPT_, .Lfunc_end155-_ZN9rocsolver6v33100L8addmatA1I19rocblas_complex_numIdEPS3_EEviiT0_iilPT_
                                        ; -- End function
	.set _ZN9rocsolver6v33100L8addmatA1I19rocblas_complex_numIdEPS3_EEviiT0_iilPT_.num_vgpr, 10
	.set _ZN9rocsolver6v33100L8addmatA1I19rocblas_complex_numIdEPS3_EEviiT0_iilPT_.num_agpr, 0
	.set _ZN9rocsolver6v33100L8addmatA1I19rocblas_complex_numIdEPS3_EEviiT0_iilPT_.numbered_sgpr, 17
	.set _ZN9rocsolver6v33100L8addmatA1I19rocblas_complex_numIdEPS3_EEviiT0_iilPT_.num_named_barrier, 0
	.set _ZN9rocsolver6v33100L8addmatA1I19rocblas_complex_numIdEPS3_EEviiT0_iilPT_.private_seg_size, 0
	.set _ZN9rocsolver6v33100L8addmatA1I19rocblas_complex_numIdEPS3_EEviiT0_iilPT_.uses_vcc, 1
	.set _ZN9rocsolver6v33100L8addmatA1I19rocblas_complex_numIdEPS3_EEviiT0_iilPT_.uses_flat_scratch, 0
	.set _ZN9rocsolver6v33100L8addmatA1I19rocblas_complex_numIdEPS3_EEviiT0_iilPT_.has_dyn_sized_stack, 0
	.set _ZN9rocsolver6v33100L8addmatA1I19rocblas_complex_numIdEPS3_EEviiT0_iilPT_.has_recursion, 0
	.set _ZN9rocsolver6v33100L8addmatA1I19rocblas_complex_numIdEPS3_EEviiT0_iilPT_.has_indirect_call, 0
	.section	.AMDGPU.csdata,"",@progbits
; Kernel info:
; codeLenInByte = 372
; TotalNumSgprs: 19
; NumVgprs: 10
; ScratchSize: 0
; MemoryBound: 0
; FloatMode: 240
; IeeeMode: 1
; LDSByteSize: 0 bytes/workgroup (compile time only)
; SGPRBlocks: 0
; VGPRBlocks: 0
; NumSGPRsForWavesPerEU: 19
; NumVGPRsForWavesPerEU: 10
; NamedBarCnt: 0
; Occupancy: 16
; WaveLimiterHint : 0
; COMPUTE_PGM_RSRC2:SCRATCH_EN: 0
; COMPUTE_PGM_RSRC2:USER_SGPR: 2
; COMPUTE_PGM_RSRC2:TRAP_HANDLER: 0
; COMPUTE_PGM_RSRC2:TGID_X_EN: 1
; COMPUTE_PGM_RSRC2:TGID_Y_EN: 1
; COMPUTE_PGM_RSRC2:TGID_Z_EN: 1
; COMPUTE_PGM_RSRC2:TIDIG_COMP_CNT: 1
	.section	.text._ZN9rocsolver6v33100L15gesvdj_finalizeI19rocblas_complex_numIdEdEEviPT0_lPT_ilS7_il,"axG",@progbits,_ZN9rocsolver6v33100L15gesvdj_finalizeI19rocblas_complex_numIdEdEEviPT0_lPT_ilS7_il,comdat
	.globl	_ZN9rocsolver6v33100L15gesvdj_finalizeI19rocblas_complex_numIdEdEEviPT0_lPT_ilS7_il ; -- Begin function _ZN9rocsolver6v33100L15gesvdj_finalizeI19rocblas_complex_numIdEdEEviPT0_lPT_ilS7_il
	.p2align	8
	.type	_ZN9rocsolver6v33100L15gesvdj_finalizeI19rocblas_complex_numIdEdEEviPT0_lPT_ilS7_il,@function
_ZN9rocsolver6v33100L15gesvdj_finalizeI19rocblas_complex_numIdEdEEviPT0_lPT_ilS7_il: ; @_ZN9rocsolver6v33100L15gesvdj_finalizeI19rocblas_complex_numIdEdEEviPT0_lPT_ilS7_il
; %bb.0:
	s_clause 0x1
	s_load_b32 s2, s[0:1], 0x54
	s_load_b32 s10, s[0:1], 0x0
	s_bfe_u32 s3, ttmp6, 0x4000c
	s_and_b32 s4, ttmp6, 15
	s_add_co_i32 s5, s3, 1
	s_getreg_b32 s3, hwreg(HW_REG_IB_STS2, 6, 4)
	s_mul_i32 s5, ttmp9, s5
	s_delay_alu instid0(SALU_CYCLE_1) | instskip(SKIP_4) | instid1(SALU_CYCLE_1)
	s_add_co_i32 s4, s4, s5
	s_wait_kmcnt 0x0
	s_and_b32 s2, s2, 0xffff
	s_cmp_eq_u32 s3, 0
	s_cselect_b32 s4, ttmp9, s4
	v_mad_u32 v2, s4, s2, v0
	s_mov_b32 s2, 0
	s_mov_b32 s4, exec_lo
	s_delay_alu instid0(VALU_DEP_1) | instskip(NEXT) | instid1(VALU_DEP_1)
	v_max_i32_e32 v0, 0, v2
	v_cmpx_gt_i32_e64 s10, v0
	s_cbranch_execz .LBB156_7
; %bb.1:
	s_clause 0x3
	s_load_b128 s[4:7], s[0:1], 0x8
	s_load_b128 s[12:15], s[0:1], 0x28
	s_load_b64 s[8:9], s[0:1], 0x40
	s_load_b96 s[16:18], s[0:1], 0x18
	s_bfe_u32 s11, ttmp6, 0x40010
	s_wait_xcnt 0x0
	s_load_b32 s1, s[0:1], 0x38
	s_add_co_i32 s11, s11, 1
	s_wait_xcnt 0x0
	s_bfe_u32 s0, ttmp6, 0x40004
	s_mul_i32 s11, ttmp7, s11
	v_mov_b32_e32 v3, 0
	s_add_co_i32 s0, s0, s11
	s_cmp_eq_u32 s3, 0
	s_cselect_b32 s20, ttmp7, s0
	v_cmp_eq_u32_e64 s0, 0, v2
	s_ashr_i32 s21, s20, 31
	s_wait_kmcnt 0x0
	s_mul_u64 s[6:7], s[6:7], s[20:21]
	s_mul_u64 s[12:13], s[12:13], s[20:21]
	;; [unrolled: 1-line block ×3, first 2 shown]
	s_lshl_b64 s[6:7], s[6:7], 3
	s_lshl_b64 s[12:13], s[12:13], 4
	;; [unrolled: 1-line block ×3, first 2 shown]
	s_add_nc_u64 s[4:5], s[4:5], s[6:7]
	s_add_nc_u64 s[6:7], s[16:17], s[12:13]
	;; [unrolled: 1-line block ×3, first 2 shown]
	s_add_co_i32 s11, s18, 1
	s_branch .LBB156_3
.LBB156_2:                              ;   in Loop: Header=BB156_3 Depth=1
	s_wait_xcnt 0x0
	v_add_nc_u32_e32 v2, s1, v2
	s_add_co_i32 s10, s10, -1
	s_add_co_i32 s2, s2, s11
	s_cmp_lg_u32 s10, 0
	s_add_nc_u64 s[4:5], s[4:5], 8
	s_cbranch_scc0 .LBB156_7
.LBB156_3:                              ; =>This Inner Loop Header: Depth=1
	s_ashr_i32 s3, s2, 31
	s_delay_alu instid0(SALU_CYCLE_1) | instskip(NEXT) | instid1(SALU_CYCLE_1)
	s_lshl_b64 s[12:13], s[2:3], 4
	s_add_nc_u64 s[12:13], s[6:7], s[12:13]
	global_load_b64 v[0:1], v3, s[12:13]
	s_wait_xcnt 0x0
	s_and_saveexec_b32 s3, s0
	s_cbranch_execz .LBB156_5
; %bb.4:                                ;   in Loop: Header=BB156_3 Depth=1
	s_wait_loadcnt 0x0
	v_and_b32_e32 v5, 0x7fffffff, v1
	v_mov_b32_e32 v4, v0
	global_store_b64 v3, v[4:5], s[4:5]
.LBB156_5:                              ;   in Loop: Header=BB156_3 Depth=1
	s_wait_xcnt 0x0
	s_or_b32 exec_lo, exec_lo, s3
	s_wait_loadcnt 0x0
	v_cmp_ngt_f64_e32 vcc_lo, 0, v[0:1]
	s_cbranch_vccnz .LBB156_2
; %bb.6:                                ;   in Loop: Header=BB156_3 Depth=1
	global_load_b128 v[4:7], v2, s[8:9] scale_offset
	s_wait_loadcnt 0x0
	v_xor_b32_e32 v5, 0x80000000, v5
	v_xor_b32_e32 v7, 0x80000000, v7
	global_store_b128 v2, v[4:7], s[8:9] scale_offset
	s_branch .LBB156_2
.LBB156_7:
	s_endpgm
	.section	.rodata,"a",@progbits
	.p2align	6, 0x0
	.amdhsa_kernel _ZN9rocsolver6v33100L15gesvdj_finalizeI19rocblas_complex_numIdEdEEviPT0_lPT_ilS7_il
		.amdhsa_group_segment_fixed_size 0
		.amdhsa_private_segment_fixed_size 0
		.amdhsa_kernarg_size 328
		.amdhsa_user_sgpr_count 2
		.amdhsa_user_sgpr_dispatch_ptr 0
		.amdhsa_user_sgpr_queue_ptr 0
		.amdhsa_user_sgpr_kernarg_segment_ptr 1
		.amdhsa_user_sgpr_dispatch_id 0
		.amdhsa_user_sgpr_kernarg_preload_length 0
		.amdhsa_user_sgpr_kernarg_preload_offset 0
		.amdhsa_user_sgpr_private_segment_size 0
		.amdhsa_wavefront_size32 1
		.amdhsa_uses_dynamic_stack 0
		.amdhsa_enable_private_segment 0
		.amdhsa_system_sgpr_workgroup_id_x 1
		.amdhsa_system_sgpr_workgroup_id_y 1
		.amdhsa_system_sgpr_workgroup_id_z 0
		.amdhsa_system_sgpr_workgroup_info 0
		.amdhsa_system_vgpr_workitem_id 0
		.amdhsa_next_free_vgpr 8
		.amdhsa_next_free_sgpr 22
		.amdhsa_named_barrier_count 0
		.amdhsa_reserve_vcc 1
		.amdhsa_float_round_mode_32 0
		.amdhsa_float_round_mode_16_64 0
		.amdhsa_float_denorm_mode_32 3
		.amdhsa_float_denorm_mode_16_64 3
		.amdhsa_fp16_overflow 0
		.amdhsa_memory_ordered 1
		.amdhsa_forward_progress 1
		.amdhsa_inst_pref_size 4
		.amdhsa_round_robin_scheduling 0
		.amdhsa_exception_fp_ieee_invalid_op 0
		.amdhsa_exception_fp_denorm_src 0
		.amdhsa_exception_fp_ieee_div_zero 0
		.amdhsa_exception_fp_ieee_overflow 0
		.amdhsa_exception_fp_ieee_underflow 0
		.amdhsa_exception_fp_ieee_inexact 0
		.amdhsa_exception_int_div_zero 0
	.end_amdhsa_kernel
	.section	.text._ZN9rocsolver6v33100L15gesvdj_finalizeI19rocblas_complex_numIdEdEEviPT0_lPT_ilS7_il,"axG",@progbits,_ZN9rocsolver6v33100L15gesvdj_finalizeI19rocblas_complex_numIdEdEEviPT0_lPT_ilS7_il,comdat
.Lfunc_end156:
	.size	_ZN9rocsolver6v33100L15gesvdj_finalizeI19rocblas_complex_numIdEdEEviPT0_lPT_ilS7_il, .Lfunc_end156-_ZN9rocsolver6v33100L15gesvdj_finalizeI19rocblas_complex_numIdEdEEviPT0_lPT_ilS7_il
                                        ; -- End function
	.set _ZN9rocsolver6v33100L15gesvdj_finalizeI19rocblas_complex_numIdEdEEviPT0_lPT_ilS7_il.num_vgpr, 8
	.set _ZN9rocsolver6v33100L15gesvdj_finalizeI19rocblas_complex_numIdEdEEviPT0_lPT_ilS7_il.num_agpr, 0
	.set _ZN9rocsolver6v33100L15gesvdj_finalizeI19rocblas_complex_numIdEdEEviPT0_lPT_ilS7_il.numbered_sgpr, 22
	.set _ZN9rocsolver6v33100L15gesvdj_finalizeI19rocblas_complex_numIdEdEEviPT0_lPT_ilS7_il.num_named_barrier, 0
	.set _ZN9rocsolver6v33100L15gesvdj_finalizeI19rocblas_complex_numIdEdEEviPT0_lPT_ilS7_il.private_seg_size, 0
	.set _ZN9rocsolver6v33100L15gesvdj_finalizeI19rocblas_complex_numIdEdEEviPT0_lPT_ilS7_il.uses_vcc, 1
	.set _ZN9rocsolver6v33100L15gesvdj_finalizeI19rocblas_complex_numIdEdEEviPT0_lPT_ilS7_il.uses_flat_scratch, 0
	.set _ZN9rocsolver6v33100L15gesvdj_finalizeI19rocblas_complex_numIdEdEEviPT0_lPT_ilS7_il.has_dyn_sized_stack, 0
	.set _ZN9rocsolver6v33100L15gesvdj_finalizeI19rocblas_complex_numIdEdEEviPT0_lPT_ilS7_il.has_recursion, 0
	.set _ZN9rocsolver6v33100L15gesvdj_finalizeI19rocblas_complex_numIdEdEEviPT0_lPT_ilS7_il.has_indirect_call, 0
	.section	.AMDGPU.csdata,"",@progbits
; Kernel info:
; codeLenInByte = 428
; TotalNumSgprs: 24
; NumVgprs: 8
; ScratchSize: 0
; MemoryBound: 0
; FloatMode: 240
; IeeeMode: 1
; LDSByteSize: 0 bytes/workgroup (compile time only)
; SGPRBlocks: 0
; VGPRBlocks: 0
; NumSGPRsForWavesPerEU: 24
; NumVGPRsForWavesPerEU: 8
; NamedBarCnt: 0
; Occupancy: 16
; WaveLimiterHint : 0
; COMPUTE_PGM_RSRC2:SCRATCH_EN: 0
; COMPUTE_PGM_RSRC2:USER_SGPR: 2
; COMPUTE_PGM_RSRC2:TRAP_HANDLER: 0
; COMPUTE_PGM_RSRC2:TGID_X_EN: 1
; COMPUTE_PGM_RSRC2:TGID_Y_EN: 1
; COMPUTE_PGM_RSRC2:TGID_Z_EN: 0
; COMPUTE_PGM_RSRC2:TIDIG_COMP_CNT: 0
	.section	.text._ZN9rocsolver6v33100L16org2r_init_identI19rocblas_complex_numIdEPS3_EEviiiT0_iil,"axG",@progbits,_ZN9rocsolver6v33100L16org2r_init_identI19rocblas_complex_numIdEPS3_EEviiiT0_iil,comdat
	.globl	_ZN9rocsolver6v33100L16org2r_init_identI19rocblas_complex_numIdEPS3_EEviiiT0_iil ; -- Begin function _ZN9rocsolver6v33100L16org2r_init_identI19rocblas_complex_numIdEPS3_EEviiiT0_iil
	.p2align	8
	.type	_ZN9rocsolver6v33100L16org2r_init_identI19rocblas_complex_numIdEPS3_EEviiiT0_iil,@function
_ZN9rocsolver6v33100L16org2r_init_identI19rocblas_complex_numIdEPS3_EEviiiT0_iil: ; @_ZN9rocsolver6v33100L16org2r_init_identI19rocblas_complex_numIdEPS3_EEviiiT0_iil
; %bb.0:
	s_clause 0x1
	s_load_b32 s2, s[0:1], 0x34
	s_load_b96 s[8:10], s[0:1], 0x0
	s_bfe_u32 s4, ttmp6, 0x4000c
	s_bfe_u32 s6, ttmp6, 0x40010
	s_and_b32 s5, ttmp7, 0xffff
	s_add_co_i32 s4, s4, 1
	s_add_co_i32 s6, s6, 1
	s_and_b32 s3, ttmp6, 15
	s_bfe_u32 s7, ttmp6, 0x40004
	s_mul_i32 s4, ttmp9, s4
	s_mul_i32 s6, s5, s6
	s_getreg_b32 s11, hwreg(HW_REG_IB_STS2, 6, 4)
	v_bfe_u32 v2, v0, 10, 10
	v_and_b32_e32 v0, 0x3ff, v0
	s_add_co_i32 s3, s3, s4
	s_add_co_i32 s7, s7, s6
	s_wait_kmcnt 0x0
	s_lshr_b32 s4, s2, 16
	s_and_b32 s2, s2, 0xffff
	s_cmp_eq_u32 s11, 0
	s_cselect_b32 s3, ttmp9, s3
	s_cselect_b32 s5, s5, s7
	v_mad_u32 v1, s3, s2, v0
	v_mad_u32 v0, s5, s4, v2
	s_mov_b32 s3, 0
	s_delay_alu instid0(VALU_DEP_2) | instskip(NEXT) | instid1(VALU_DEP_2)
	v_cmp_gt_u32_e32 vcc_lo, s8, v1
	v_cmp_gt_u32_e64 s2, s9, v0
	s_and_b32 s2, vcc_lo, s2
	s_delay_alu instid0(SALU_CYCLE_1)
	s_and_saveexec_b32 s4, s2
	s_cbranch_execz .LBB157_11
; %bb.1:
	s_clause 0x1
	s_load_b128 s[4:7], s[0:1], 0x10
	s_load_b64 s[8:9], s[0:1], 0x20
	s_wait_xcnt 0x0
	s_bfe_u32 s0, ttmp6, 0x40014
	s_lshr_b32 s2, ttmp7, 16
	s_add_co_i32 s0, s0, 1
	s_bfe_u32 s1, ttmp6, 0x40008
	s_mul_i32 s0, s2, s0
	s_delay_alu instid0(SALU_CYCLE_1)
	s_add_co_i32 s0, s1, s0
	s_wait_kmcnt 0x0
	s_ashr_i32 s1, s6, 31
	s_cmp_eq_u32 s11, 0
	s_cselect_b32 s2, s2, s0
	s_mov_b32 s0, s6
	s_mul_u64 s[2:3], s[8:9], s[2:3]
	s_lshl_b64 s[0:1], s[0:1], 4
	s_lshl_b64 s[2:3], s[2:3], 4
	s_delay_alu instid0(SALU_CYCLE_1) | instskip(NEXT) | instid1(SALU_CYCLE_1)
	s_add_nc_u64 s[2:3], s[4:5], s[2:3]
	s_add_nc_u64 s[0:1], s[2:3], s[0:1]
	s_mov_b32 s2, exec_lo
	v_cmpx_ne_u32_e64 v1, v0
	s_xor_b32 s2, exec_lo, s2
	s_cbranch_execz .LBB157_9
; %bb.2:
	s_mov_b32 s3, exec_lo
	v_cmpx_le_u32_e64 v0, v1
	s_xor_b32 s3, exec_lo, s3
	s_cbranch_execz .LBB157_6
; %bb.3:
	s_mov_b32 s4, exec_lo
	v_cmpx_le_u32_e64 s10, v0
	s_cbranch_execz .LBB157_5
; %bb.4:
	v_mad_u32 v0, v0, s7, v1
	v_mov_b32_e32 v2, 0
	s_delay_alu instid0(VALU_DEP_1)
	v_dual_mov_b32 v3, v2 :: v_dual_mov_b32 v4, v2
	v_mov_b32_e32 v5, v2
	global_store_b128 v0, v[2:5], s[0:1] scale_offset
.LBB157_5:
	s_wait_xcnt 0x0
	s_or_b32 exec_lo, exec_lo, s4
                                        ; implicit-def: $vgpr0
                                        ; implicit-def: $vgpr1
.LBB157_6:
	s_and_not1_saveexec_b32 s3, s3
	s_cbranch_execz .LBB157_8
; %bb.7:
	v_mad_u32 v0, v0, s7, v1
	v_mov_b32_e32 v2, 0
	s_delay_alu instid0(VALU_DEP_1)
	v_dual_mov_b32 v3, v2 :: v_dual_mov_b32 v4, v2
	v_mov_b32_e32 v5, v2
	global_store_b128 v0, v[2:5], s[0:1] scale_offset
.LBB157_8:
	s_wait_xcnt 0x0
	s_or_b32 exec_lo, exec_lo, s3
                                        ; implicit-def: $vgpr0
.LBB157_9:
	s_and_not1_saveexec_b32 s2, s2
	s_cbranch_execz .LBB157_11
; %bb.10:
	v_mad_u32 v4, v0, s7, v0
	v_dual_mov_b32 v0, 0 :: v_dual_mov_b32 v1, 0x3ff00000
	s_delay_alu instid0(VALU_DEP_1)
	v_dual_mov_b32 v2, v0 :: v_dual_mov_b32 v3, v0
	global_store_b128 v4, v[0:3], s[0:1] scale_offset
.LBB157_11:
	s_endpgm
	.section	.rodata,"a",@progbits
	.p2align	6, 0x0
	.amdhsa_kernel _ZN9rocsolver6v33100L16org2r_init_identI19rocblas_complex_numIdEPS3_EEviiiT0_iil
		.amdhsa_group_segment_fixed_size 0
		.amdhsa_private_segment_fixed_size 0
		.amdhsa_kernarg_size 296
		.amdhsa_user_sgpr_count 2
		.amdhsa_user_sgpr_dispatch_ptr 0
		.amdhsa_user_sgpr_queue_ptr 0
		.amdhsa_user_sgpr_kernarg_segment_ptr 1
		.amdhsa_user_sgpr_dispatch_id 0
		.amdhsa_user_sgpr_kernarg_preload_length 0
		.amdhsa_user_sgpr_kernarg_preload_offset 0
		.amdhsa_user_sgpr_private_segment_size 0
		.amdhsa_wavefront_size32 1
		.amdhsa_uses_dynamic_stack 0
		.amdhsa_enable_private_segment 0
		.amdhsa_system_sgpr_workgroup_id_x 1
		.amdhsa_system_sgpr_workgroup_id_y 1
		.amdhsa_system_sgpr_workgroup_id_z 1
		.amdhsa_system_sgpr_workgroup_info 0
		.amdhsa_system_vgpr_workitem_id 1
		.amdhsa_next_free_vgpr 6
		.amdhsa_next_free_sgpr 12
		.amdhsa_named_barrier_count 0
		.amdhsa_reserve_vcc 1
		.amdhsa_float_round_mode_32 0
		.amdhsa_float_round_mode_16_64 0
		.amdhsa_float_denorm_mode_32 3
		.amdhsa_float_denorm_mode_16_64 3
		.amdhsa_fp16_overflow 0
		.amdhsa_memory_ordered 1
		.amdhsa_forward_progress 1
		.amdhsa_inst_pref_size 4
		.amdhsa_round_robin_scheduling 0
		.amdhsa_exception_fp_ieee_invalid_op 0
		.amdhsa_exception_fp_denorm_src 0
		.amdhsa_exception_fp_ieee_div_zero 0
		.amdhsa_exception_fp_ieee_overflow 0
		.amdhsa_exception_fp_ieee_underflow 0
		.amdhsa_exception_fp_ieee_inexact 0
		.amdhsa_exception_int_div_zero 0
	.end_amdhsa_kernel
	.section	.text._ZN9rocsolver6v33100L16org2r_init_identI19rocblas_complex_numIdEPS3_EEviiiT0_iil,"axG",@progbits,_ZN9rocsolver6v33100L16org2r_init_identI19rocblas_complex_numIdEPS3_EEviiiT0_iil,comdat
.Lfunc_end157:
	.size	_ZN9rocsolver6v33100L16org2r_init_identI19rocblas_complex_numIdEPS3_EEviiiT0_iil, .Lfunc_end157-_ZN9rocsolver6v33100L16org2r_init_identI19rocblas_complex_numIdEPS3_EEviiiT0_iil
                                        ; -- End function
	.set _ZN9rocsolver6v33100L16org2r_init_identI19rocblas_complex_numIdEPS3_EEviiiT0_iil.num_vgpr, 6
	.set _ZN9rocsolver6v33100L16org2r_init_identI19rocblas_complex_numIdEPS3_EEviiiT0_iil.num_agpr, 0
	.set _ZN9rocsolver6v33100L16org2r_init_identI19rocblas_complex_numIdEPS3_EEviiiT0_iil.numbered_sgpr, 12
	.set _ZN9rocsolver6v33100L16org2r_init_identI19rocblas_complex_numIdEPS3_EEviiiT0_iil.num_named_barrier, 0
	.set _ZN9rocsolver6v33100L16org2r_init_identI19rocblas_complex_numIdEPS3_EEviiiT0_iil.private_seg_size, 0
	.set _ZN9rocsolver6v33100L16org2r_init_identI19rocblas_complex_numIdEPS3_EEviiiT0_iil.uses_vcc, 1
	.set _ZN9rocsolver6v33100L16org2r_init_identI19rocblas_complex_numIdEPS3_EEviiiT0_iil.uses_flat_scratch, 0
	.set _ZN9rocsolver6v33100L16org2r_init_identI19rocblas_complex_numIdEPS3_EEviiiT0_iil.has_dyn_sized_stack, 0
	.set _ZN9rocsolver6v33100L16org2r_init_identI19rocblas_complex_numIdEPS3_EEviiiT0_iil.has_recursion, 0
	.set _ZN9rocsolver6v33100L16org2r_init_identI19rocblas_complex_numIdEPS3_EEviiiT0_iil.has_indirect_call, 0
	.section	.AMDGPU.csdata,"",@progbits
; Kernel info:
; codeLenInByte = 500
; TotalNumSgprs: 14
; NumVgprs: 6
; ScratchSize: 0
; MemoryBound: 0
; FloatMode: 240
; IeeeMode: 1
; LDSByteSize: 0 bytes/workgroup (compile time only)
; SGPRBlocks: 0
; VGPRBlocks: 0
; NumSGPRsForWavesPerEU: 14
; NumVGPRsForWavesPerEU: 6
; NamedBarCnt: 0
; Occupancy: 16
; WaveLimiterHint : 0
; COMPUTE_PGM_RSRC2:SCRATCH_EN: 0
; COMPUTE_PGM_RSRC2:USER_SGPR: 2
; COMPUTE_PGM_RSRC2:TRAP_HANDLER: 0
; COMPUTE_PGM_RSRC2:TGID_X_EN: 1
; COMPUTE_PGM_RSRC2:TGID_Y_EN: 1
; COMPUTE_PGM_RSRC2:TGID_Z_EN: 1
; COMPUTE_PGM_RSRC2:TIDIG_COMP_CNT: 1
	.section	.text._ZN9rocsolver6v33100L12subtract_tauI19rocblas_complex_numIdEPS3_EEviiT0_iilPT_l,"axG",@progbits,_ZN9rocsolver6v33100L12subtract_tauI19rocblas_complex_numIdEPS3_EEviiT0_iilPT_l,comdat
	.globl	_ZN9rocsolver6v33100L12subtract_tauI19rocblas_complex_numIdEPS3_EEviiT0_iilPT_l ; -- Begin function _ZN9rocsolver6v33100L12subtract_tauI19rocblas_complex_numIdEPS3_EEviiT0_iilPT_l
	.p2align	8
	.type	_ZN9rocsolver6v33100L12subtract_tauI19rocblas_complex_numIdEPS3_EEviiT0_iilPT_l,@function
_ZN9rocsolver6v33100L12subtract_tauI19rocblas_complex_numIdEPS3_EEviiT0_iilPT_l: ; @_ZN9rocsolver6v33100L12subtract_tauI19rocblas_complex_numIdEPS3_EEviiT0_iilPT_l
; %bb.0:
	s_clause 0x2
	s_load_b64 s[12:13], s[0:1], 0x10
	s_load_b64 s[2:3], s[0:1], 0x28
	s_load_b128 s[4:7], s[0:1], 0x18
	s_bfe_u32 s8, ttmp6, 0x4000c
	s_and_b32 s9, ttmp6, 15
	s_add_co_i32 s8, s8, 1
	s_getreg_b32 s10, hwreg(HW_REG_IB_STS2, 6, 4)
	s_mul_i32 s8, ttmp9, s8
	s_mov_b32 s17, 0
	s_add_co_i32 s9, s9, s8
	s_wait_kmcnt 0x0
	s_ashr_i32 s15, s12, 31
	s_cmp_eq_u32 s10, 0
	s_mov_b32 s14, s12
	s_cselect_b32 s16, ttmp9, s9
	s_delay_alu instid0(SALU_CYCLE_1)
	s_mul_u64 s[2:3], s[2:3], s[16:17]
	s_mul_u64 s[4:5], s[4:5], s[16:17]
	s_lshl_b64 s[2:3], s[2:3], 4
	s_lshl_b64 s[4:5], s[4:5], 4
	s_add_nc_u64 s[2:3], s[6:7], s[2:3]
	s_load_b128 s[8:11], s[2:3], 0x0
	s_wait_kmcnt 0x0
	v_dual_mov_b32 v4, 0 :: v_dual_mov_b32 v0, s8
	s_xor_b32 s6, s9, 0x80000000
	s_xor_b32 s7, s11, 0x80000000
	v_dual_mov_b32 v2, s10 :: v_dual_mov_b32 v1, s6
	v_mov_b32_e32 v3, s7
	global_store_b128 v4, v[0:3], s[2:3]
	s_wait_xcnt 0x0
	v_add_f64_e64 v[0:1], -s[8:9], 1.0
	s_load_b128 s[0:3], s[0:1], 0x0
	s_wait_kmcnt 0x0
	s_mul_i32 s1, s13, s1
	s_delay_alu instid0(SALU_CYCLE_1) | instskip(SKIP_3) | instid1(SALU_CYCLE_1)
	s_add_co_i32 s6, s1, s0
	s_add_nc_u64 s[0:1], s[2:3], s[4:5]
	v_mov_b32_e32 v4, s6
	s_lshl_b64 s[2:3], s[14:15], 4
	s_add_nc_u64 s[0:1], s[0:1], s[2:3]
	global_store_b128 v4, v[0:3], s[0:1] scale_offset
	s_endpgm
	.section	.rodata,"a",@progbits
	.p2align	6, 0x0
	.amdhsa_kernel _ZN9rocsolver6v33100L12subtract_tauI19rocblas_complex_numIdEPS3_EEviiT0_iilPT_l
		.amdhsa_group_segment_fixed_size 0
		.amdhsa_private_segment_fixed_size 0
		.amdhsa_kernarg_size 48
		.amdhsa_user_sgpr_count 2
		.amdhsa_user_sgpr_dispatch_ptr 0
		.amdhsa_user_sgpr_queue_ptr 0
		.amdhsa_user_sgpr_kernarg_segment_ptr 1
		.amdhsa_user_sgpr_dispatch_id 0
		.amdhsa_user_sgpr_kernarg_preload_length 0
		.amdhsa_user_sgpr_kernarg_preload_offset 0
		.amdhsa_user_sgpr_private_segment_size 0
		.amdhsa_wavefront_size32 1
		.amdhsa_uses_dynamic_stack 0
		.amdhsa_enable_private_segment 0
		.amdhsa_system_sgpr_workgroup_id_x 1
		.amdhsa_system_sgpr_workgroup_id_y 0
		.amdhsa_system_sgpr_workgroup_id_z 0
		.amdhsa_system_sgpr_workgroup_info 0
		.amdhsa_system_vgpr_workitem_id 0
		.amdhsa_next_free_vgpr 5
		.amdhsa_next_free_sgpr 18
		.amdhsa_named_barrier_count 0
		.amdhsa_reserve_vcc 0
		.amdhsa_float_round_mode_32 0
		.amdhsa_float_round_mode_16_64 0
		.amdhsa_float_denorm_mode_32 3
		.amdhsa_float_denorm_mode_16_64 3
		.amdhsa_fp16_overflow 0
		.amdhsa_memory_ordered 1
		.amdhsa_forward_progress 1
		.amdhsa_inst_pref_size 2
		.amdhsa_round_robin_scheduling 0
		.amdhsa_exception_fp_ieee_invalid_op 0
		.amdhsa_exception_fp_denorm_src 0
		.amdhsa_exception_fp_ieee_div_zero 0
		.amdhsa_exception_fp_ieee_overflow 0
		.amdhsa_exception_fp_ieee_underflow 0
		.amdhsa_exception_fp_ieee_inexact 0
		.amdhsa_exception_int_div_zero 0
	.end_amdhsa_kernel
	.section	.text._ZN9rocsolver6v33100L12subtract_tauI19rocblas_complex_numIdEPS3_EEviiT0_iilPT_l,"axG",@progbits,_ZN9rocsolver6v33100L12subtract_tauI19rocblas_complex_numIdEPS3_EEviiT0_iilPT_l,comdat
.Lfunc_end158:
	.size	_ZN9rocsolver6v33100L12subtract_tauI19rocblas_complex_numIdEPS3_EEviiT0_iilPT_l, .Lfunc_end158-_ZN9rocsolver6v33100L12subtract_tauI19rocblas_complex_numIdEPS3_EEviiT0_iilPT_l
                                        ; -- End function
	.set _ZN9rocsolver6v33100L12subtract_tauI19rocblas_complex_numIdEPS3_EEviiT0_iilPT_l.num_vgpr, 5
	.set _ZN9rocsolver6v33100L12subtract_tauI19rocblas_complex_numIdEPS3_EEviiT0_iilPT_l.num_agpr, 0
	.set _ZN9rocsolver6v33100L12subtract_tauI19rocblas_complex_numIdEPS3_EEviiT0_iilPT_l.numbered_sgpr, 18
	.set _ZN9rocsolver6v33100L12subtract_tauI19rocblas_complex_numIdEPS3_EEviiT0_iilPT_l.num_named_barrier, 0
	.set _ZN9rocsolver6v33100L12subtract_tauI19rocblas_complex_numIdEPS3_EEviiT0_iilPT_l.private_seg_size, 0
	.set _ZN9rocsolver6v33100L12subtract_tauI19rocblas_complex_numIdEPS3_EEviiT0_iilPT_l.uses_vcc, 0
	.set _ZN9rocsolver6v33100L12subtract_tauI19rocblas_complex_numIdEPS3_EEviiT0_iilPT_l.uses_flat_scratch, 0
	.set _ZN9rocsolver6v33100L12subtract_tauI19rocblas_complex_numIdEPS3_EEviiT0_iilPT_l.has_dyn_sized_stack, 0
	.set _ZN9rocsolver6v33100L12subtract_tauI19rocblas_complex_numIdEPS3_EEviiT0_iilPT_l.has_recursion, 0
	.set _ZN9rocsolver6v33100L12subtract_tauI19rocblas_complex_numIdEPS3_EEviiT0_iilPT_l.has_indirect_call, 0
	.section	.AMDGPU.csdata,"",@progbits
; Kernel info:
; codeLenInByte = 236
; TotalNumSgprs: 18
; NumVgprs: 5
; ScratchSize: 0
; MemoryBound: 0
; FloatMode: 240
; IeeeMode: 1
; LDSByteSize: 0 bytes/workgroup (compile time only)
; SGPRBlocks: 0
; VGPRBlocks: 0
; NumSGPRsForWavesPerEU: 18
; NumVGPRsForWavesPerEU: 5
; NamedBarCnt: 0
; Occupancy: 16
; WaveLimiterHint : 0
; COMPUTE_PGM_RSRC2:SCRATCH_EN: 0
; COMPUTE_PGM_RSRC2:USER_SGPR: 2
; COMPUTE_PGM_RSRC2:TRAP_HANDLER: 0
; COMPUTE_PGM_RSRC2:TGID_X_EN: 1
; COMPUTE_PGM_RSRC2:TGID_Y_EN: 0
; COMPUTE_PGM_RSRC2:TGID_Z_EN: 0
; COMPUTE_PGM_RSRC2:TIDIG_COMP_CNT: 0
	.section	.text._ZN9rocsolver6v33100L6restauI19rocblas_complex_numIdEEEviPT_l,"axG",@progbits,_ZN9rocsolver6v33100L6restauI19rocblas_complex_numIdEEEviPT_l,comdat
	.globl	_ZN9rocsolver6v33100L6restauI19rocblas_complex_numIdEEEviPT_l ; -- Begin function _ZN9rocsolver6v33100L6restauI19rocblas_complex_numIdEEEviPT_l
	.p2align	8
	.type	_ZN9rocsolver6v33100L6restauI19rocblas_complex_numIdEEEviPT_l,@function
_ZN9rocsolver6v33100L6restauI19rocblas_complex_numIdEEEviPT_l: ; @_ZN9rocsolver6v33100L6restauI19rocblas_complex_numIdEEEviPT_l
; %bb.0:
	s_clause 0x1
	s_load_b32 s3, s[0:1], 0x24
	s_load_b32 s4, s[0:1], 0x0
	s_bfe_u32 s2, ttmp6, 0x4000c
	s_and_b32 s5, ttmp6, 15
	s_add_co_i32 s6, s2, 1
	s_getreg_b32 s2, hwreg(HW_REG_IB_STS2, 6, 4)
	s_mul_i32 s6, ttmp9, s6
	s_delay_alu instid0(SALU_CYCLE_1) | instskip(SKIP_4) | instid1(SALU_CYCLE_1)
	s_add_co_i32 s5, s5, s6
	s_wait_kmcnt 0x0
	s_and_b32 s3, s3, 0xffff
	s_cmp_eq_u32 s2, 0
	s_cselect_b32 s5, ttmp9, s5
	v_mad_u32 v0, s5, s3, v0
	s_mov_b32 s3, 0
	s_delay_alu instid0(VALU_DEP_1)
	v_cmp_gt_u32_e32 vcc_lo, s4, v0
	s_and_saveexec_b32 s4, vcc_lo
	s_cbranch_execz .LBB159_2
; %bb.1:
	s_load_b128 s[4:7], s[0:1], 0x8
	s_wait_xcnt 0x0
	s_bfe_u32 s0, ttmp6, 0x40010
	s_bfe_u32 s1, ttmp6, 0x40004
	s_add_co_i32 s0, s0, 1
	s_delay_alu instid0(SALU_CYCLE_1) | instskip(NEXT) | instid1(SALU_CYCLE_1)
	s_mul_i32 s0, ttmp7, s0
	s_add_co_i32 s1, s1, s0
	s_cmp_eq_u32 s2, 0
	s_cselect_b32 s2, ttmp7, s1
	s_wait_kmcnt 0x0
	s_mul_u64 s[0:1], s[6:7], s[2:3]
	s_delay_alu instid0(SALU_CYCLE_1) | instskip(NEXT) | instid1(SALU_CYCLE_1)
	s_lshl_b64 s[0:1], s[0:1], 4
	s_add_nc_u64 s[0:1], s[4:5], s[0:1]
	global_load_b128 v[2:5], v0, s[0:1] scale_offset
	s_wait_loadcnt 0x0
	v_xor_b32_e32 v3, 0x80000000, v3
	v_xor_b32_e32 v5, 0x80000000, v5
	global_store_b128 v0, v[2:5], s[0:1] scale_offset
.LBB159_2:
	s_endpgm
	.section	.rodata,"a",@progbits
	.p2align	6, 0x0
	.amdhsa_kernel _ZN9rocsolver6v33100L6restauI19rocblas_complex_numIdEEEviPT_l
		.amdhsa_group_segment_fixed_size 0
		.amdhsa_private_segment_fixed_size 0
		.amdhsa_kernarg_size 280
		.amdhsa_user_sgpr_count 2
		.amdhsa_user_sgpr_dispatch_ptr 0
		.amdhsa_user_sgpr_queue_ptr 0
		.amdhsa_user_sgpr_kernarg_segment_ptr 1
		.amdhsa_user_sgpr_dispatch_id 0
		.amdhsa_user_sgpr_kernarg_preload_length 0
		.amdhsa_user_sgpr_kernarg_preload_offset 0
		.amdhsa_user_sgpr_private_segment_size 0
		.amdhsa_wavefront_size32 1
		.amdhsa_uses_dynamic_stack 0
		.amdhsa_enable_private_segment 0
		.amdhsa_system_sgpr_workgroup_id_x 1
		.amdhsa_system_sgpr_workgroup_id_y 1
		.amdhsa_system_sgpr_workgroup_id_z 0
		.amdhsa_system_sgpr_workgroup_info 0
		.amdhsa_system_vgpr_workitem_id 0
		.amdhsa_next_free_vgpr 6
		.amdhsa_next_free_sgpr 8
		.amdhsa_named_barrier_count 0
		.amdhsa_reserve_vcc 1
		.amdhsa_float_round_mode_32 0
		.amdhsa_float_round_mode_16_64 0
		.amdhsa_float_denorm_mode_32 3
		.amdhsa_float_denorm_mode_16_64 3
		.amdhsa_fp16_overflow 0
		.amdhsa_memory_ordered 1
		.amdhsa_forward_progress 1
		.amdhsa_inst_pref_size 2
		.amdhsa_round_robin_scheduling 0
		.amdhsa_exception_fp_ieee_invalid_op 0
		.amdhsa_exception_fp_denorm_src 0
		.amdhsa_exception_fp_ieee_div_zero 0
		.amdhsa_exception_fp_ieee_overflow 0
		.amdhsa_exception_fp_ieee_underflow 0
		.amdhsa_exception_fp_ieee_inexact 0
		.amdhsa_exception_int_div_zero 0
	.end_amdhsa_kernel
	.section	.text._ZN9rocsolver6v33100L6restauI19rocblas_complex_numIdEEEviPT_l,"axG",@progbits,_ZN9rocsolver6v33100L6restauI19rocblas_complex_numIdEEEviPT_l,comdat
.Lfunc_end159:
	.size	_ZN9rocsolver6v33100L6restauI19rocblas_complex_numIdEEEviPT_l, .Lfunc_end159-_ZN9rocsolver6v33100L6restauI19rocblas_complex_numIdEEEviPT_l
                                        ; -- End function
	.set _ZN9rocsolver6v33100L6restauI19rocblas_complex_numIdEEEviPT_l.num_vgpr, 6
	.set _ZN9rocsolver6v33100L6restauI19rocblas_complex_numIdEEEviPT_l.num_agpr, 0
	.set _ZN9rocsolver6v33100L6restauI19rocblas_complex_numIdEEEviPT_l.numbered_sgpr, 8
	.set _ZN9rocsolver6v33100L6restauI19rocblas_complex_numIdEEEviPT_l.num_named_barrier, 0
	.set _ZN9rocsolver6v33100L6restauI19rocblas_complex_numIdEEEviPT_l.private_seg_size, 0
	.set _ZN9rocsolver6v33100L6restauI19rocblas_complex_numIdEEEviPT_l.uses_vcc, 1
	.set _ZN9rocsolver6v33100L6restauI19rocblas_complex_numIdEEEviPT_l.uses_flat_scratch, 0
	.set _ZN9rocsolver6v33100L6restauI19rocblas_complex_numIdEEEviPT_l.has_dyn_sized_stack, 0
	.set _ZN9rocsolver6v33100L6restauI19rocblas_complex_numIdEEEviPT_l.has_recursion, 0
	.set _ZN9rocsolver6v33100L6restauI19rocblas_complex_numIdEEEviPT_l.has_indirect_call, 0
	.section	.AMDGPU.csdata,"",@progbits
; Kernel info:
; codeLenInByte = 220
; TotalNumSgprs: 10
; NumVgprs: 6
; ScratchSize: 0
; MemoryBound: 0
; FloatMode: 240
; IeeeMode: 1
; LDSByteSize: 0 bytes/workgroup (compile time only)
; SGPRBlocks: 0
; VGPRBlocks: 0
; NumSGPRsForWavesPerEU: 10
; NumVGPRsForWavesPerEU: 6
; NamedBarCnt: 0
; Occupancy: 16
; WaveLimiterHint : 0
; COMPUTE_PGM_RSRC2:SCRATCH_EN: 0
; COMPUTE_PGM_RSRC2:USER_SGPR: 2
; COMPUTE_PGM_RSRC2:TRAP_HANDLER: 0
; COMPUTE_PGM_RSRC2:TGID_X_EN: 1
; COMPUTE_PGM_RSRC2:TGID_Y_EN: 1
; COMPUTE_PGM_RSRC2:TGID_Z_EN: 0
; COMPUTE_PGM_RSRC2:TIDIG_COMP_CNT: 0
	.section	.text._ZN9rocsolver6v33100L8set_zeroI19rocblas_complex_numIdEPS3_EEviiT0_iil13rocblas_fill_,"axG",@progbits,_ZN9rocsolver6v33100L8set_zeroI19rocblas_complex_numIdEPS3_EEviiT0_iil13rocblas_fill_,comdat
	.globl	_ZN9rocsolver6v33100L8set_zeroI19rocblas_complex_numIdEPS3_EEviiT0_iil13rocblas_fill_ ; -- Begin function _ZN9rocsolver6v33100L8set_zeroI19rocblas_complex_numIdEPS3_EEviiT0_iil13rocblas_fill_
	.p2align	8
	.type	_ZN9rocsolver6v33100L8set_zeroI19rocblas_complex_numIdEPS3_EEviiT0_iil13rocblas_fill_,@function
_ZN9rocsolver6v33100L8set_zeroI19rocblas_complex_numIdEPS3_EEviiT0_iil13rocblas_fill_: ; @_ZN9rocsolver6v33100L8set_zeroI19rocblas_complex_numIdEPS3_EEviiT0_iil13rocblas_fill_
; %bb.0:
	s_clause 0x1
	s_load_b32 s2, s[0:1], 0x34
	s_load_b64 s[4:5], s[0:1], 0x0
	s_bfe_u32 s7, ttmp6, 0x40010
	s_bfe_u32 s10, ttmp6, 0x4000c
	s_and_b32 s6, ttmp7, 0xffff
	s_add_co_i32 s7, s7, 1
	s_add_co_i32 s10, s10, 1
	s_bfe_u32 s8, ttmp6, 0x40004
	s_and_b32 s9, ttmp6, 15
	s_mul_i32 s7, s6, s7
	s_mul_i32 s10, ttmp9, s10
	s_getreg_b32 s3, hwreg(HW_REG_IB_STS2, 6, 4)
	v_and_b32_e32 v1, 0x3ff, v0
	v_bfe_u32 v2, v0, 10, 10
	s_add_co_i32 s8, s8, s7
	s_add_co_i32 s9, s9, s10
	s_wait_kmcnt 0x0
	s_lshr_b32 s7, s2, 16
	s_and_b32 s2, s2, 0xffff
	s_cmp_eq_u32 s3, 0
	s_cselect_b32 s9, ttmp9, s9
	s_cselect_b32 s6, s6, s8
	v_mad_u32 v0, s9, s2, v1
	v_mad_u32 v1, s6, s7, v2
	s_delay_alu instid0(VALU_DEP_2) | instskip(NEXT) | instid1(VALU_DEP_2)
	v_cmp_gt_u32_e32 vcc_lo, s4, v0
	v_cmp_gt_u32_e64 s2, s5, v1
	s_and_b32 s2, vcc_lo, s2
	s_delay_alu instid0(SALU_CYCLE_1)
	s_and_saveexec_b32 s4, s2
	s_cbranch_execz .LBB160_12
; %bb.1:
	s_load_b32 s4, s[0:1], 0x20
	s_wait_kmcnt 0x0
	s_cmp_lt_i32 s4, 0x7a
	s_cbranch_scc1 .LBB160_4
; %bb.2:
	s_cmp_gt_i32 s4, 0x7a
	s_cbranch_scc0 .LBB160_5
; %bb.3:
	s_cmp_eq_u32 s4, 0x7b
	s_cselect_b32 s2, -1, 0
	s_cbranch_execz .LBB160_6
	s_branch .LBB160_7
.LBB160_4:
	s_mov_b32 s2, 0
	s_cbranch_execnz .LBB160_8
	s_branch .LBB160_10
.LBB160_5:
	s_mov_b32 s2, 0
.LBB160_6:
	v_cmp_gt_u32_e32 vcc_lo, v1, v0
	s_and_not1_b32 s2, s2, exec_lo
	s_and_b32 s5, vcc_lo, exec_lo
	s_delay_alu instid0(SALU_CYCLE_1)
	s_or_b32 s2, s2, s5
.LBB160_7:
	s_branch .LBB160_10
.LBB160_8:
	s_cmp_eq_u32 s4, 0x79
	s_cbranch_scc0 .LBB160_10
; %bb.9:
	v_cmp_gt_u32_e32 vcc_lo, v0, v1
	s_and_not1_b32 s2, s2, exec_lo
	s_and_b32 s4, vcc_lo, exec_lo
	s_delay_alu instid0(SALU_CYCLE_1)
	s_or_b32 s2, s2, s4
.LBB160_10:
	s_delay_alu instid0(SALU_CYCLE_1)
	s_and_b32 exec_lo, exec_lo, s2
	s_cbranch_execz .LBB160_12
; %bb.11:
	s_clause 0x1
	s_load_b128 s[4:7], s[0:1], 0x8
	s_load_b64 s[8:9], s[0:1], 0x18
	s_wait_xcnt 0x0
	s_bfe_u32 s0, ttmp6, 0x40014
	s_lshr_b32 s2, ttmp7, 16
	s_add_co_i32 s0, s0, 1
	s_bfe_u32 s10, ttmp6, 0x40008
	s_mul_i32 s0, s2, s0
	s_mov_b32 s1, 0
	s_add_co_i32 s10, s10, s0
	v_mov_b32_e32 v2, 0
	s_delay_alu instid0(VALU_DEP_1)
	v_dual_mov_b32 v3, v2 :: v_dual_mov_b32 v4, v2
	v_mov_b32_e32 v5, v2
	s_wait_kmcnt 0x0
	s_ashr_i32 s11, s6, 31
	s_cmp_eq_u32 s3, 0
	v_mad_u32 v0, v1, s7, v0
	s_cselect_b32 s0, s2, s10
	s_mov_b32 s10, s6
	s_mul_u64 s[0:1], s[8:9], s[0:1]
	s_lshl_b64 s[2:3], s[10:11], 4
	s_lshl_b64 s[0:1], s[0:1], 4
	s_delay_alu instid0(SALU_CYCLE_1) | instskip(NEXT) | instid1(SALU_CYCLE_1)
	s_add_nc_u64 s[0:1], s[4:5], s[0:1]
	s_add_nc_u64 s[0:1], s[0:1], s[2:3]
	global_store_b128 v0, v[2:5], s[0:1] scale_offset
.LBB160_12:
	s_endpgm
	.section	.rodata,"a",@progbits
	.p2align	6, 0x0
	.amdhsa_kernel _ZN9rocsolver6v33100L8set_zeroI19rocblas_complex_numIdEPS3_EEviiT0_iil13rocblas_fill_
		.amdhsa_group_segment_fixed_size 0
		.amdhsa_private_segment_fixed_size 0
		.amdhsa_kernarg_size 296
		.amdhsa_user_sgpr_count 2
		.amdhsa_user_sgpr_dispatch_ptr 0
		.amdhsa_user_sgpr_queue_ptr 0
		.amdhsa_user_sgpr_kernarg_segment_ptr 1
		.amdhsa_user_sgpr_dispatch_id 0
		.amdhsa_user_sgpr_kernarg_preload_length 0
		.amdhsa_user_sgpr_kernarg_preload_offset 0
		.amdhsa_user_sgpr_private_segment_size 0
		.amdhsa_wavefront_size32 1
		.amdhsa_uses_dynamic_stack 0
		.amdhsa_enable_private_segment 0
		.amdhsa_system_sgpr_workgroup_id_x 1
		.amdhsa_system_sgpr_workgroup_id_y 1
		.amdhsa_system_sgpr_workgroup_id_z 1
		.amdhsa_system_sgpr_workgroup_info 0
		.amdhsa_system_vgpr_workitem_id 1
		.amdhsa_next_free_vgpr 6
		.amdhsa_next_free_sgpr 12
		.amdhsa_named_barrier_count 0
		.amdhsa_reserve_vcc 1
		.amdhsa_float_round_mode_32 0
		.amdhsa_float_round_mode_16_64 0
		.amdhsa_float_denorm_mode_32 3
		.amdhsa_float_denorm_mode_16_64 3
		.amdhsa_fp16_overflow 0
		.amdhsa_memory_ordered 1
		.amdhsa_forward_progress 1
		.amdhsa_inst_pref_size 4
		.amdhsa_round_robin_scheduling 0
		.amdhsa_exception_fp_ieee_invalid_op 0
		.amdhsa_exception_fp_denorm_src 0
		.amdhsa_exception_fp_ieee_div_zero 0
		.amdhsa_exception_fp_ieee_overflow 0
		.amdhsa_exception_fp_ieee_underflow 0
		.amdhsa_exception_fp_ieee_inexact 0
		.amdhsa_exception_int_div_zero 0
	.end_amdhsa_kernel
	.section	.text._ZN9rocsolver6v33100L8set_zeroI19rocblas_complex_numIdEPS3_EEviiT0_iil13rocblas_fill_,"axG",@progbits,_ZN9rocsolver6v33100L8set_zeroI19rocblas_complex_numIdEPS3_EEviiT0_iil13rocblas_fill_,comdat
.Lfunc_end160:
	.size	_ZN9rocsolver6v33100L8set_zeroI19rocblas_complex_numIdEPS3_EEviiT0_iil13rocblas_fill_, .Lfunc_end160-_ZN9rocsolver6v33100L8set_zeroI19rocblas_complex_numIdEPS3_EEviiT0_iil13rocblas_fill_
                                        ; -- End function
	.set _ZN9rocsolver6v33100L8set_zeroI19rocblas_complex_numIdEPS3_EEviiT0_iil13rocblas_fill_.num_vgpr, 6
	.set _ZN9rocsolver6v33100L8set_zeroI19rocblas_complex_numIdEPS3_EEviiT0_iil13rocblas_fill_.num_agpr, 0
	.set _ZN9rocsolver6v33100L8set_zeroI19rocblas_complex_numIdEPS3_EEviiT0_iil13rocblas_fill_.numbered_sgpr, 12
	.set _ZN9rocsolver6v33100L8set_zeroI19rocblas_complex_numIdEPS3_EEviiT0_iil13rocblas_fill_.num_named_barrier, 0
	.set _ZN9rocsolver6v33100L8set_zeroI19rocblas_complex_numIdEPS3_EEviiT0_iil13rocblas_fill_.private_seg_size, 0
	.set _ZN9rocsolver6v33100L8set_zeroI19rocblas_complex_numIdEPS3_EEviiT0_iil13rocblas_fill_.uses_vcc, 1
	.set _ZN9rocsolver6v33100L8set_zeroI19rocblas_complex_numIdEPS3_EEviiT0_iil13rocblas_fill_.uses_flat_scratch, 0
	.set _ZN9rocsolver6v33100L8set_zeroI19rocblas_complex_numIdEPS3_EEviiT0_iil13rocblas_fill_.has_dyn_sized_stack, 0
	.set _ZN9rocsolver6v33100L8set_zeroI19rocblas_complex_numIdEPS3_EEviiT0_iil13rocblas_fill_.has_recursion, 0
	.set _ZN9rocsolver6v33100L8set_zeroI19rocblas_complex_numIdEPS3_EEviiT0_iil13rocblas_fill_.has_indirect_call, 0
	.section	.AMDGPU.csdata,"",@progbits
; Kernel info:
; codeLenInByte = 464
; TotalNumSgprs: 14
; NumVgprs: 6
; ScratchSize: 0
; MemoryBound: 0
; FloatMode: 240
; IeeeMode: 1
; LDSByteSize: 0 bytes/workgroup (compile time only)
; SGPRBlocks: 0
; VGPRBlocks: 0
; NumSGPRsForWavesPerEU: 14
; NumVGPRsForWavesPerEU: 6
; NamedBarCnt: 0
; Occupancy: 16
; WaveLimiterHint : 0
; COMPUTE_PGM_RSRC2:SCRATCH_EN: 0
; COMPUTE_PGM_RSRC2:USER_SGPR: 2
; COMPUTE_PGM_RSRC2:TRAP_HANDLER: 0
; COMPUTE_PGM_RSRC2:TGID_X_EN: 1
; COMPUTE_PGM_RSRC2:TGID_Y_EN: 1
; COMPUTE_PGM_RSRC2:TGID_Z_EN: 1
; COMPUTE_PGM_RSRC2:TIDIG_COMP_CNT: 1
	.section	.text._ZN9rocsolver6v33100L14copy_trans_matI19rocblas_complex_numIdES3_PS3_S4_NS0_7no_maskEEEv18rocblas_operation_iiT1_iilT2_iilT3_13rocblas_fill_17rocblas_diagonal_,"axG",@progbits,_ZN9rocsolver6v33100L14copy_trans_matI19rocblas_complex_numIdES3_PS3_S4_NS0_7no_maskEEEv18rocblas_operation_iiT1_iilT2_iilT3_13rocblas_fill_17rocblas_diagonal_,comdat
	.globl	_ZN9rocsolver6v33100L14copy_trans_matI19rocblas_complex_numIdES3_PS3_S4_NS0_7no_maskEEEv18rocblas_operation_iiT1_iilT2_iilT3_13rocblas_fill_17rocblas_diagonal_ ; -- Begin function _ZN9rocsolver6v33100L14copy_trans_matI19rocblas_complex_numIdES3_PS3_S4_NS0_7no_maskEEEv18rocblas_operation_iiT1_iilT2_iilT3_13rocblas_fill_17rocblas_diagonal_
	.p2align	8
	.type	_ZN9rocsolver6v33100L14copy_trans_matI19rocblas_complex_numIdES3_PS3_S4_NS0_7no_maskEEEv18rocblas_operation_iiT1_iilT2_iilT3_13rocblas_fill_17rocblas_diagonal_,@function
_ZN9rocsolver6v33100L14copy_trans_matI19rocblas_complex_numIdES3_PS3_S4_NS0_7no_maskEEEv18rocblas_operation_iiT1_iilT2_iilT3_13rocblas_fill_17rocblas_diagonal_: ; @_ZN9rocsolver6v33100L14copy_trans_matI19rocblas_complex_numIdES3_PS3_S4_NS0_7no_maskEEEv18rocblas_operation_iiT1_iilT2_iilT3_13rocblas_fill_17rocblas_diagonal_
; %bb.0:
	s_clause 0x1
	s_load_b32 s2, s[0:1], 0x5c
	s_load_b96 s[16:18], s[0:1], 0x0
	s_bfe_u32 s5, ttmp6, 0x4000c
	s_bfe_u32 s7, ttmp6, 0x40010
	s_and_b32 s6, ttmp7, 0xffff
	s_add_co_i32 s5, s5, 1
	s_add_co_i32 s7, s7, 1
	s_and_b32 s4, ttmp6, 15
	s_bfe_u32 s8, ttmp6, 0x40004
	s_mul_i32 s5, ttmp9, s5
	s_mul_i32 s7, s6, s7
	s_getreg_b32 s3, hwreg(HW_REG_IB_STS2, 6, 4)
	v_bfe_u32 v1, v0, 10, 10
	v_and_b32_e32 v0, 0x3ff, v0
	s_add_co_i32 s4, s4, s5
	s_add_co_i32 s8, s8, s7
	s_wait_kmcnt 0x0
	s_lshr_b32 s5, s2, 16
	s_and_b32 s2, s2, 0xffff
	s_cmp_eq_u32 s3, 0
	s_cselect_b32 s4, ttmp9, s4
	s_cselect_b32 s6, s6, s8
	v_mad_u32 v2, s4, s2, v0
	v_mad_u32 v3, s6, s5, v1
	s_delay_alu instid0(VALU_DEP_2) | instskip(NEXT) | instid1(VALU_DEP_2)
	v_cmp_gt_u32_e32 vcc_lo, s17, v2
	v_cmp_gt_u32_e64 s2, s18, v3
	s_and_b32 s2, s2, vcc_lo
	s_delay_alu instid0(SALU_CYCLE_1)
	s_and_saveexec_b32 s4, s2
	s_cbranch_execz .LBB161_18
; %bb.1:
	s_load_b64 s[4:5], s[0:1], 0x44
	s_wait_kmcnt 0x0
	s_cmp_lt_i32 s4, 0x7a
	s_cbranch_scc1 .LBB161_4
; %bb.2:
	s_cmp_gt_i32 s4, 0x7a
	s_cbranch_scc0 .LBB161_5
; %bb.3:
	s_cmp_lg_u32 s4, 0x7b
	s_mov_b32 s6, -1
	s_cselect_b32 s7, -1, 0
	s_cbranch_execz .LBB161_6
	s_branch .LBB161_7
.LBB161_4:
	s_mov_b32 s7, 0
	s_mov_b32 s6, 0
	s_cbranch_execnz .LBB161_8
	s_branch .LBB161_10
.LBB161_5:
	s_mov_b32 s6, 0
	s_mov_b32 s7, 0
.LBB161_6:
	v_cmp_gt_u32_e32 vcc_lo, v2, v3
	v_cmp_le_u32_e64 s2, v2, v3
	s_and_not1_b32 s6, s6, exec_lo
	s_and_not1_b32 s7, s7, exec_lo
	s_and_b32 s8, vcc_lo, exec_lo
	s_and_b32 s2, s2, exec_lo
	s_or_b32 s6, s6, s8
	s_or_b32 s7, s7, s2
.LBB161_7:
	s_branch .LBB161_10
.LBB161_8:
	s_cmp_eq_u32 s4, 0x79
	s_mov_b32 s7, -1
	s_cbranch_scc0 .LBB161_10
; %bb.9:
	v_cmp_gt_u32_e32 vcc_lo, v3, v2
	v_cmp_le_u32_e64 s2, v3, v2
	s_and_not1_b32 s4, s6, exec_lo
	s_and_b32 s6, vcc_lo, exec_lo
	s_or_not1_b32 s7, s2, exec_lo
	s_or_b32 s6, s4, s6
.LBB161_10:
	s_and_saveexec_b32 s2, s7
; %bb.11:
	v_cmp_eq_u32_e32 vcc_lo, v2, v3
	s_cmp_eq_u32 s5, 0x83
	s_cselect_b32 s4, -1, 0
	s_and_not1_b32 s5, s6, exec_lo
	s_and_b32 s4, s4, vcc_lo
	s_delay_alu instid0(SALU_CYCLE_1) | instskip(NEXT) | instid1(SALU_CYCLE_1)
	s_and_b32 s4, s4, exec_lo
	s_or_b32 s6, s5, s4
; %bb.12:
	s_or_b32 exec_lo, exec_lo, s2
	s_delay_alu instid0(SALU_CYCLE_1)
	s_and_b32 exec_lo, exec_lo, s6
	s_cbranch_execz .LBB161_18
; %bb.13:
	s_clause 0x1
	s_load_b256 s[4:11], s[0:1], 0x10
	s_load_b128 s[12:15], s[0:1], 0x30
	s_wait_xcnt 0x0
	s_bfe_u32 s0, ttmp6, 0x40014
	s_lshr_b32 s17, ttmp7, 16
	s_add_co_i32 s0, s0, 1
	s_bfe_u32 s2, ttmp6, 0x40008
	s_mul_i32 s0, s17, s0
	s_mov_b32 s1, 0
	s_add_co_i32 s0, s2, s0
	v_mov_b32_e32 v1, 0
	s_wait_kmcnt 0x0
	s_ashr_i32 s19, s6, 31
	s_cmp_eq_u32 s3, 0
	v_mad_u32 v0, v3, s7, v2
	s_cselect_b32 s0, s17, s0
	s_mov_b32 s18, s6
	s_mul_u64 s[8:9], s[8:9], s[0:1]
	s_lshl_b64 s[6:7], s[18:19], 4
	s_lshl_b64 s[8:9], s[8:9], 4
	s_mul_u64 s[14:15], s[14:15], s[0:1]
	s_add_nc_u64 s[4:5], s[4:5], s[8:9]
	s_mov_b32 s2, s12
	s_add_nc_u64 s[4:5], s[4:5], s[6:7]
	s_ashr_i32 s3, s12, 31
	s_lshl_b64 s[14:15], s[14:15], 4
	v_lshl_add_u64 v[0:1], v[0:1], 4, s[4:5]
	s_add_nc_u64 s[8:9], s[10:11], s[14:15]
	s_lshl_b64 s[2:3], s[2:3], 4
	s_mov_b32 s4, -1
	s_add_nc_u64 s[2:3], s[8:9], s[2:3]
	s_cmp_lt_i32 s16, 0x71
	s_mov_b32 s0, 0
	s_cbranch_scc0 .LBB161_19
; %bb.14:
	s_and_b32 vcc_lo, exec_lo, s4
	s_cbranch_vccnz .LBB161_22
.LBB161_15:
	s_and_not1_b32 vcc_lo, exec_lo, s0
	s_cbranch_vccz .LBB161_23
.LBB161_16:
	s_and_not1_b32 vcc_lo, exec_lo, s1
	s_cbranch_vccnz .LBB161_18
.LBB161_17:
	global_load_b128 v[4:7], v[0:1], off
	s_wait_xcnt 0x0
	v_mad_u32 v0, v2, s13, v3
	s_wait_loadcnt 0x0
	global_store_b128 v0, v[4:7], s[2:3] scale_offset
.LBB161_18:
	s_endpgm
.LBB161_19:
	s_cmp_eq_u32 s16, 0x71
	s_mov_b32 s0, -1
	s_cbranch_scc0 .LBB161_21
; %bb.20:
	global_load_b128 v[4:7], v[0:1], off
	v_mad_u32 v8, v2, s13, v3
	s_mov_b32 s0, 0
	s_wait_loadcnt 0x0
	v_xor_b32_e32 v7, 0x80000000, v7
	global_store_b128 v8, v[4:7], s[2:3] scale_offset
.LBB161_21:
	s_branch .LBB161_15
.LBB161_22:
	s_cmp_lg_u32 s16, 0x70
	s_mov_b32 s1, -1
	s_cselect_b32 s0, -1, 0
	s_delay_alu instid0(SALU_CYCLE_1)
	s_and_not1_b32 vcc_lo, exec_lo, s0
	s_cbranch_vccnz .LBB161_16
.LBB161_23:
	global_load_b128 v[4:7], v[0:1], off
	v_mad_u32 v8, v3, s13, v2
	s_wait_loadcnt 0x0
	global_store_b128 v8, v[4:7], s[2:3] scale_offset
	s_cbranch_execz .LBB161_17
	s_branch .LBB161_18
	.section	.rodata,"a",@progbits
	.p2align	6, 0x0
	.amdhsa_kernel _ZN9rocsolver6v33100L14copy_trans_matI19rocblas_complex_numIdES3_PS3_S4_NS0_7no_maskEEEv18rocblas_operation_iiT1_iilT2_iilT3_13rocblas_fill_17rocblas_diagonal_
		.amdhsa_group_segment_fixed_size 0
		.amdhsa_private_segment_fixed_size 0
		.amdhsa_kernarg_size 336
		.amdhsa_user_sgpr_count 2
		.amdhsa_user_sgpr_dispatch_ptr 0
		.amdhsa_user_sgpr_queue_ptr 0
		.amdhsa_user_sgpr_kernarg_segment_ptr 1
		.amdhsa_user_sgpr_dispatch_id 0
		.amdhsa_user_sgpr_kernarg_preload_length 0
		.amdhsa_user_sgpr_kernarg_preload_offset 0
		.amdhsa_user_sgpr_private_segment_size 0
		.amdhsa_wavefront_size32 1
		.amdhsa_uses_dynamic_stack 0
		.amdhsa_enable_private_segment 0
		.amdhsa_system_sgpr_workgroup_id_x 1
		.amdhsa_system_sgpr_workgroup_id_y 1
		.amdhsa_system_sgpr_workgroup_id_z 1
		.amdhsa_system_sgpr_workgroup_info 0
		.amdhsa_system_vgpr_workitem_id 1
		.amdhsa_next_free_vgpr 9
		.amdhsa_next_free_sgpr 20
		.amdhsa_named_barrier_count 0
		.amdhsa_reserve_vcc 1
		.amdhsa_float_round_mode_32 0
		.amdhsa_float_round_mode_16_64 0
		.amdhsa_float_denorm_mode_32 3
		.amdhsa_float_denorm_mode_16_64 3
		.amdhsa_fp16_overflow 0
		.amdhsa_memory_ordered 1
		.amdhsa_forward_progress 1
		.amdhsa_inst_pref_size 7
		.amdhsa_round_robin_scheduling 0
		.amdhsa_exception_fp_ieee_invalid_op 0
		.amdhsa_exception_fp_denorm_src 0
		.amdhsa_exception_fp_ieee_div_zero 0
		.amdhsa_exception_fp_ieee_overflow 0
		.amdhsa_exception_fp_ieee_underflow 0
		.amdhsa_exception_fp_ieee_inexact 0
		.amdhsa_exception_int_div_zero 0
	.end_amdhsa_kernel
	.section	.text._ZN9rocsolver6v33100L14copy_trans_matI19rocblas_complex_numIdES3_PS3_S4_NS0_7no_maskEEEv18rocblas_operation_iiT1_iilT2_iilT3_13rocblas_fill_17rocblas_diagonal_,"axG",@progbits,_ZN9rocsolver6v33100L14copy_trans_matI19rocblas_complex_numIdES3_PS3_S4_NS0_7no_maskEEEv18rocblas_operation_iiT1_iilT2_iilT3_13rocblas_fill_17rocblas_diagonal_,comdat
.Lfunc_end161:
	.size	_ZN9rocsolver6v33100L14copy_trans_matI19rocblas_complex_numIdES3_PS3_S4_NS0_7no_maskEEEv18rocblas_operation_iiT1_iilT2_iilT3_13rocblas_fill_17rocblas_diagonal_, .Lfunc_end161-_ZN9rocsolver6v33100L14copy_trans_matI19rocblas_complex_numIdES3_PS3_S4_NS0_7no_maskEEEv18rocblas_operation_iiT1_iilT2_iilT3_13rocblas_fill_17rocblas_diagonal_
                                        ; -- End function
	.set _ZN9rocsolver6v33100L14copy_trans_matI19rocblas_complex_numIdES3_PS3_S4_NS0_7no_maskEEEv18rocblas_operation_iiT1_iilT2_iilT3_13rocblas_fill_17rocblas_diagonal_.num_vgpr, 9
	.set _ZN9rocsolver6v33100L14copy_trans_matI19rocblas_complex_numIdES3_PS3_S4_NS0_7no_maskEEEv18rocblas_operation_iiT1_iilT2_iilT3_13rocblas_fill_17rocblas_diagonal_.num_agpr, 0
	.set _ZN9rocsolver6v33100L14copy_trans_matI19rocblas_complex_numIdES3_PS3_S4_NS0_7no_maskEEEv18rocblas_operation_iiT1_iilT2_iilT3_13rocblas_fill_17rocblas_diagonal_.numbered_sgpr, 20
	.set _ZN9rocsolver6v33100L14copy_trans_matI19rocblas_complex_numIdES3_PS3_S4_NS0_7no_maskEEEv18rocblas_operation_iiT1_iilT2_iilT3_13rocblas_fill_17rocblas_diagonal_.num_named_barrier, 0
	.set _ZN9rocsolver6v33100L14copy_trans_matI19rocblas_complex_numIdES3_PS3_S4_NS0_7no_maskEEEv18rocblas_operation_iiT1_iilT2_iilT3_13rocblas_fill_17rocblas_diagonal_.private_seg_size, 0
	.set _ZN9rocsolver6v33100L14copy_trans_matI19rocblas_complex_numIdES3_PS3_S4_NS0_7no_maskEEEv18rocblas_operation_iiT1_iilT2_iilT3_13rocblas_fill_17rocblas_diagonal_.uses_vcc, 1
	.set _ZN9rocsolver6v33100L14copy_trans_matI19rocblas_complex_numIdES3_PS3_S4_NS0_7no_maskEEEv18rocblas_operation_iiT1_iilT2_iilT3_13rocblas_fill_17rocblas_diagonal_.uses_flat_scratch, 0
	.set _ZN9rocsolver6v33100L14copy_trans_matI19rocblas_complex_numIdES3_PS3_S4_NS0_7no_maskEEEv18rocblas_operation_iiT1_iilT2_iilT3_13rocblas_fill_17rocblas_diagonal_.has_dyn_sized_stack, 0
	.set _ZN9rocsolver6v33100L14copy_trans_matI19rocblas_complex_numIdES3_PS3_S4_NS0_7no_maskEEEv18rocblas_operation_iiT1_iilT2_iilT3_13rocblas_fill_17rocblas_diagonal_.has_recursion, 0
	.set _ZN9rocsolver6v33100L14copy_trans_matI19rocblas_complex_numIdES3_PS3_S4_NS0_7no_maskEEEv18rocblas_operation_iiT1_iilT2_iilT3_13rocblas_fill_17rocblas_diagonal_.has_indirect_call, 0
	.section	.AMDGPU.csdata,"",@progbits
; Kernel info:
; codeLenInByte = 776
; TotalNumSgprs: 22
; NumVgprs: 9
; ScratchSize: 0
; MemoryBound: 0
; FloatMode: 240
; IeeeMode: 1
; LDSByteSize: 0 bytes/workgroup (compile time only)
; SGPRBlocks: 0
; VGPRBlocks: 0
; NumSGPRsForWavesPerEU: 22
; NumVGPRsForWavesPerEU: 9
; NamedBarCnt: 0
; Occupancy: 16
; WaveLimiterHint : 0
; COMPUTE_PGM_RSRC2:SCRATCH_EN: 0
; COMPUTE_PGM_RSRC2:USER_SGPR: 2
; COMPUTE_PGM_RSRC2:TRAP_HANDLER: 0
; COMPUTE_PGM_RSRC2:TGID_X_EN: 1
; COMPUTE_PGM_RSRC2:TGID_Y_EN: 1
; COMPUTE_PGM_RSRC2:TGID_Z_EN: 1
; COMPUTE_PGM_RSRC2:TIDIG_COMP_CNT: 1
	.section	.text._ZN9rocsolver6v33100L8set_diagI19rocblas_complex_numIdEiS3_PS3_TnNSt9enable_ifIXoont18rocblas_is_complexIT_E18rocblas_is_complexIT1_EEiE4typeELi0EEEvPS7_llT2_lT0_lSC_b,"axG",@progbits,_ZN9rocsolver6v33100L8set_diagI19rocblas_complex_numIdEiS3_PS3_TnNSt9enable_ifIXoont18rocblas_is_complexIT_E18rocblas_is_complexIT1_EEiE4typeELi0EEEvPS7_llT2_lT0_lSC_b,comdat
	.globl	_ZN9rocsolver6v33100L8set_diagI19rocblas_complex_numIdEiS3_PS3_TnNSt9enable_ifIXoont18rocblas_is_complexIT_E18rocblas_is_complexIT1_EEiE4typeELi0EEEvPS7_llT2_lT0_lSC_b ; -- Begin function _ZN9rocsolver6v33100L8set_diagI19rocblas_complex_numIdEiS3_PS3_TnNSt9enable_ifIXoont18rocblas_is_complexIT_E18rocblas_is_complexIT1_EEiE4typeELi0EEEvPS7_llT2_lT0_lSC_b
	.p2align	8
	.type	_ZN9rocsolver6v33100L8set_diagI19rocblas_complex_numIdEiS3_PS3_TnNSt9enable_ifIXoont18rocblas_is_complexIT_E18rocblas_is_complexIT1_EEiE4typeELi0EEEvPS7_llT2_lT0_lSC_b,@function
_ZN9rocsolver6v33100L8set_diagI19rocblas_complex_numIdEiS3_PS3_TnNSt9enable_ifIXoont18rocblas_is_complexIT_E18rocblas_is_complexIT1_EEiE4typeELi0EEEvPS7_llT2_lT0_lSC_b: ; @_ZN9rocsolver6v33100L8set_diagI19rocblas_complex_numIdEiS3_PS3_TnNSt9enable_ifIXoont18rocblas_is_complexIT_E18rocblas_is_complexIT1_EEiE4typeELi0EEEvPS7_llT2_lT0_lSC_b
; %bb.0:
	s_load_u16 s4, s[0:1], 0x4e
	s_bfe_u32 s2, ttmp6, 0x40010
	s_bfe_u32 s6, ttmp6, 0x40004
	s_add_co_i32 s5, s2, 1
	s_load_b64 s[2:3], s[0:1], 0x38
	s_mul_i32 s5, ttmp7, s5
	s_getreg_b32 s12, hwreg(HW_REG_IB_STS2, 6, 4)
	s_add_co_i32 s6, s6, s5
	v_bfe_u32 v0, v0, 10, 10
	s_cmp_eq_u32 s12, 0
	s_cselect_b32 s5, ttmp7, s6
	s_wait_kmcnt 0x0
	s_delay_alu instid0(VALU_DEP_1) | instskip(NEXT) | instid1(VALU_DEP_1)
	v_mad_u32 v0, s5, s4, v0
	v_cmp_gt_i32_e32 vcc_lo, s2, v0
	s_and_saveexec_b32 s2, vcc_lo
	s_cbranch_execz .LBB162_5
; %bb.1:
	s_clause 0x2
	s_load_b96 s[16:18], s[0:1], 0x20
	s_load_b64 s[14:15], s[0:1], 0x30
	s_load_b256 s[4:11], s[0:1], 0x0
	s_bitcmp1_b32 s3, 0
	s_cselect_b32 s19, -1, 0
	s_wait_xcnt 0x0
	s_bfe_u32 s0, ttmp6, 0x4000c
	s_and_b32 s1, ttmp6, 15
	s_add_co_i32 s0, s0, 1
	s_delay_alu instid0(SALU_CYCLE_1) | instskip(NEXT) | instid1(SALU_CYCLE_1)
	s_mul_i32 s0, ttmp9, s0
	s_add_co_i32 s1, s1, s0
	s_cmp_eq_u32 s12, 0
	s_cselect_b32 s0, ttmp9, s1
	s_and_b32 vcc_lo, exec_lo, s19
	s_ashr_i32 s1, s0, 31
	s_wait_kmcnt 0x0
	v_mad_u32 v2, v0, s18, v0
	s_mul_u64 s[2:3], s[14:15], s[0:1]
	s_lshl_b64 s[12:13], s[16:17], 4
	s_lshl_b64 s[2:3], s[2:3], 4
	s_mul_u64 s[0:1], s[8:9], s[0:1]
	s_add_nc_u64 s[2:3], s[10:11], s[2:3]
	s_lshl_b64 s[0:1], s[0:1], 4
	s_add_nc_u64 s[2:3], s[2:3], s[12:13]
	s_lshl_b64 s[6:7], s[6:7], 4
	s_add_nc_u64 s[0:1], s[4:5], s[0:1]
	s_delay_alu instid0(SALU_CYCLE_1) | instskip(SKIP_2) | instid1(VALU_DEP_1)
	s_add_nc_u64 s[0:1], s[0:1], s[6:7]
	global_load_b128 v[6:9], v2, s[2:3] scale_offset
	v_ashrrev_i32_e32 v3, 31, v2
	v_lshl_add_u64 v[4:5], v[2:3], 4, s[2:3]
	s_wait_loadcnt 0x0
	global_store_b128 v0, v[6:9], s[0:1] scale_offset
	s_cbranch_vccnz .LBB162_3
; %bb.2:
	global_load_b128 v[0:3], v[4:5], off
	s_branch .LBB162_4
.LBB162_3:
	s_wait_xcnt 0x0
	v_mov_b64_e32 v[0:1], 1.0
	v_mov_b64_e32 v[2:3], 0
.LBB162_4:
	s_wait_loadcnt 0x0
	global_store_b128 v[4:5], v[0:3], off
.LBB162_5:
	s_endpgm
	.section	.rodata,"a",@progbits
	.p2align	6, 0x0
	.amdhsa_kernel _ZN9rocsolver6v33100L8set_diagI19rocblas_complex_numIdEiS3_PS3_TnNSt9enable_ifIXoont18rocblas_is_complexIT_E18rocblas_is_complexIT1_EEiE4typeELi0EEEvPS7_llT2_lT0_lSC_b
		.amdhsa_group_segment_fixed_size 0
		.amdhsa_private_segment_fixed_size 0
		.amdhsa_kernarg_size 320
		.amdhsa_user_sgpr_count 2
		.amdhsa_user_sgpr_dispatch_ptr 0
		.amdhsa_user_sgpr_queue_ptr 0
		.amdhsa_user_sgpr_kernarg_segment_ptr 1
		.amdhsa_user_sgpr_dispatch_id 0
		.amdhsa_user_sgpr_kernarg_preload_length 0
		.amdhsa_user_sgpr_kernarg_preload_offset 0
		.amdhsa_user_sgpr_private_segment_size 0
		.amdhsa_wavefront_size32 1
		.amdhsa_uses_dynamic_stack 0
		.amdhsa_enable_private_segment 0
		.amdhsa_system_sgpr_workgroup_id_x 1
		.amdhsa_system_sgpr_workgroup_id_y 1
		.amdhsa_system_sgpr_workgroup_id_z 0
		.amdhsa_system_sgpr_workgroup_info 0
		.amdhsa_system_vgpr_workitem_id 1
		.amdhsa_next_free_vgpr 10
		.amdhsa_next_free_sgpr 20
		.amdhsa_named_barrier_count 0
		.amdhsa_reserve_vcc 1
		.amdhsa_float_round_mode_32 0
		.amdhsa_float_round_mode_16_64 0
		.amdhsa_float_denorm_mode_32 3
		.amdhsa_float_denorm_mode_16_64 3
		.amdhsa_fp16_overflow 0
		.amdhsa_memory_ordered 1
		.amdhsa_forward_progress 1
		.amdhsa_inst_pref_size 3
		.amdhsa_round_robin_scheduling 0
		.amdhsa_exception_fp_ieee_invalid_op 0
		.amdhsa_exception_fp_denorm_src 0
		.amdhsa_exception_fp_ieee_div_zero 0
		.amdhsa_exception_fp_ieee_overflow 0
		.amdhsa_exception_fp_ieee_underflow 0
		.amdhsa_exception_fp_ieee_inexact 0
		.amdhsa_exception_int_div_zero 0
	.end_amdhsa_kernel
	.section	.text._ZN9rocsolver6v33100L8set_diagI19rocblas_complex_numIdEiS3_PS3_TnNSt9enable_ifIXoont18rocblas_is_complexIT_E18rocblas_is_complexIT1_EEiE4typeELi0EEEvPS7_llT2_lT0_lSC_b,"axG",@progbits,_ZN9rocsolver6v33100L8set_diagI19rocblas_complex_numIdEiS3_PS3_TnNSt9enable_ifIXoont18rocblas_is_complexIT_E18rocblas_is_complexIT1_EEiE4typeELi0EEEvPS7_llT2_lT0_lSC_b,comdat
.Lfunc_end162:
	.size	_ZN9rocsolver6v33100L8set_diagI19rocblas_complex_numIdEiS3_PS3_TnNSt9enable_ifIXoont18rocblas_is_complexIT_E18rocblas_is_complexIT1_EEiE4typeELi0EEEvPS7_llT2_lT0_lSC_b, .Lfunc_end162-_ZN9rocsolver6v33100L8set_diagI19rocblas_complex_numIdEiS3_PS3_TnNSt9enable_ifIXoont18rocblas_is_complexIT_E18rocblas_is_complexIT1_EEiE4typeELi0EEEvPS7_llT2_lT0_lSC_b
                                        ; -- End function
	.set _ZN9rocsolver6v33100L8set_diagI19rocblas_complex_numIdEiS3_PS3_TnNSt9enable_ifIXoont18rocblas_is_complexIT_E18rocblas_is_complexIT1_EEiE4typeELi0EEEvPS7_llT2_lT0_lSC_b.num_vgpr, 10
	.set _ZN9rocsolver6v33100L8set_diagI19rocblas_complex_numIdEiS3_PS3_TnNSt9enable_ifIXoont18rocblas_is_complexIT_E18rocblas_is_complexIT1_EEiE4typeELi0EEEvPS7_llT2_lT0_lSC_b.num_agpr, 0
	.set _ZN9rocsolver6v33100L8set_diagI19rocblas_complex_numIdEiS3_PS3_TnNSt9enable_ifIXoont18rocblas_is_complexIT_E18rocblas_is_complexIT1_EEiE4typeELi0EEEvPS7_llT2_lT0_lSC_b.numbered_sgpr, 20
	.set _ZN9rocsolver6v33100L8set_diagI19rocblas_complex_numIdEiS3_PS3_TnNSt9enable_ifIXoont18rocblas_is_complexIT_E18rocblas_is_complexIT1_EEiE4typeELi0EEEvPS7_llT2_lT0_lSC_b.num_named_barrier, 0
	.set _ZN9rocsolver6v33100L8set_diagI19rocblas_complex_numIdEiS3_PS3_TnNSt9enable_ifIXoont18rocblas_is_complexIT_E18rocblas_is_complexIT1_EEiE4typeELi0EEEvPS7_llT2_lT0_lSC_b.private_seg_size, 0
	.set _ZN9rocsolver6v33100L8set_diagI19rocblas_complex_numIdEiS3_PS3_TnNSt9enable_ifIXoont18rocblas_is_complexIT_E18rocblas_is_complexIT1_EEiE4typeELi0EEEvPS7_llT2_lT0_lSC_b.uses_vcc, 1
	.set _ZN9rocsolver6v33100L8set_diagI19rocblas_complex_numIdEiS3_PS3_TnNSt9enable_ifIXoont18rocblas_is_complexIT_E18rocblas_is_complexIT1_EEiE4typeELi0EEEvPS7_llT2_lT0_lSC_b.uses_flat_scratch, 0
	.set _ZN9rocsolver6v33100L8set_diagI19rocblas_complex_numIdEiS3_PS3_TnNSt9enable_ifIXoont18rocblas_is_complexIT_E18rocblas_is_complexIT1_EEiE4typeELi0EEEvPS7_llT2_lT0_lSC_b.has_dyn_sized_stack, 0
	.set _ZN9rocsolver6v33100L8set_diagI19rocblas_complex_numIdEiS3_PS3_TnNSt9enable_ifIXoont18rocblas_is_complexIT_E18rocblas_is_complexIT1_EEiE4typeELi0EEEvPS7_llT2_lT0_lSC_b.has_recursion, 0
	.set _ZN9rocsolver6v33100L8set_diagI19rocblas_complex_numIdEiS3_PS3_TnNSt9enable_ifIXoont18rocblas_is_complexIT_E18rocblas_is_complexIT1_EEiE4typeELi0EEEvPS7_llT2_lT0_lSC_b.has_indirect_call, 0
	.section	.AMDGPU.csdata,"",@progbits
; Kernel info:
; codeLenInByte = 324
; TotalNumSgprs: 22
; NumVgprs: 10
; ScratchSize: 0
; MemoryBound: 1
; FloatMode: 240
; IeeeMode: 1
; LDSByteSize: 0 bytes/workgroup (compile time only)
; SGPRBlocks: 0
; VGPRBlocks: 0
; NumSGPRsForWavesPerEU: 22
; NumVGPRsForWavesPerEU: 10
; NamedBarCnt: 0
; Occupancy: 16
; WaveLimiterHint : 0
; COMPUTE_PGM_RSRC2:SCRATCH_EN: 0
; COMPUTE_PGM_RSRC2:USER_SGPR: 2
; COMPUTE_PGM_RSRC2:TRAP_HANDLER: 0
; COMPUTE_PGM_RSRC2:TGID_X_EN: 1
; COMPUTE_PGM_RSRC2:TGID_Y_EN: 1
; COMPUTE_PGM_RSRC2:TGID_Z_EN: 0
; COMPUTE_PGM_RSRC2:TIDIG_COMP_CNT: 1
	.section	.text._ZN9rocsolver6v33100L12restore_diagI19rocblas_complex_numIdEiS3_PS3_EEvPT1_llT2_lT0_lS8_,"axG",@progbits,_ZN9rocsolver6v33100L12restore_diagI19rocblas_complex_numIdEiS3_PS3_EEvPT1_llT2_lT0_lS8_,comdat
	.globl	_ZN9rocsolver6v33100L12restore_diagI19rocblas_complex_numIdEiS3_PS3_EEvPT1_llT2_lT0_lS8_ ; -- Begin function _ZN9rocsolver6v33100L12restore_diagI19rocblas_complex_numIdEiS3_PS3_EEvPT1_llT2_lT0_lS8_
	.p2align	8
	.type	_ZN9rocsolver6v33100L12restore_diagI19rocblas_complex_numIdEiS3_PS3_EEvPT1_llT2_lT0_lS8_,@function
_ZN9rocsolver6v33100L12restore_diagI19rocblas_complex_numIdEiS3_PS3_EEvPT1_llT2_lT0_lS8_: ; @_ZN9rocsolver6v33100L12restore_diagI19rocblas_complex_numIdEiS3_PS3_EEvPT1_llT2_lT0_lS8_
; %bb.0:
	s_clause 0x1
	s_load_u16 s3, s[0:1], 0x4e
	s_load_b32 s4, s[0:1], 0x38
	s_bfe_u32 s2, ttmp6, 0x40010
	s_bfe_u32 s5, ttmp6, 0x40004
	s_add_co_i32 s2, s2, 1
	v_bfe_u32 v0, v0, 10, 10
	s_mul_i32 s2, ttmp7, s2
	s_delay_alu instid0(SALU_CYCLE_1) | instskip(SKIP_1) | instid1(SALU_CYCLE_1)
	s_add_co_i32 s5, s5, s2
	s_getreg_b32 s2, hwreg(HW_REG_IB_STS2, 6, 4)
	s_cmp_eq_u32 s2, 0
	s_cselect_b32 s5, ttmp7, s5
	s_wait_kmcnt 0x0
	v_mad_u32 v0, s5, s3, v0
	s_mov_b32 s3, exec_lo
	s_delay_alu instid0(VALU_DEP_1)
	v_cmpx_gt_i32_e64 s4, v0
	s_cbranch_execz .LBB163_2
; %bb.1:
	s_load_b256 s[4:11], s[0:1], 0x0
	s_bfe_u32 s3, ttmp6, 0x4000c
	s_and_b32 s12, ttmp6, 15
	s_add_co_i32 s3, s3, 1
	s_delay_alu instid0(SALU_CYCLE_1) | instskip(NEXT) | instid1(SALU_CYCLE_1)
	s_mul_i32 s3, ttmp9, s3
	s_add_co_i32 s12, s12, s3
	s_cmp_eq_u32 s2, 0
	s_cselect_b32 s2, ttmp9, s12
	s_delay_alu instid0(SALU_CYCLE_1) | instskip(SKIP_4) | instid1(SALU_CYCLE_1)
	s_ashr_i32 s3, s2, 31
	s_wait_kmcnt 0x0
	s_mul_u64 s[8:9], s[8:9], s[2:3]
	s_lshl_b64 s[6:7], s[6:7], 4
	s_lshl_b64 s[8:9], s[8:9], 4
	s_add_nc_u64 s[4:5], s[4:5], s[8:9]
	s_delay_alu instid0(SALU_CYCLE_1)
	s_add_nc_u64 s[4:5], s[4:5], s[6:7]
	global_load_b128 v[2:5], v0, s[4:5] scale_offset
	s_wait_xcnt 0x0
	s_clause 0x1
	s_load_b96 s[4:6], s[0:1], 0x20
	s_load_b64 s[8:9], s[0:1], 0x30
	s_wait_kmcnt 0x0
	v_mad_u32 v0, v0, s6, v0
	s_mul_u64 s[0:1], s[8:9], s[2:3]
	s_lshl_b64 s[2:3], s[4:5], 4
	s_lshl_b64 s[0:1], s[0:1], 4
	s_delay_alu instid0(SALU_CYCLE_1) | instskip(NEXT) | instid1(SALU_CYCLE_1)
	s_add_nc_u64 s[0:1], s[10:11], s[0:1]
	s_add_nc_u64 s[0:1], s[0:1], s[2:3]
	s_wait_loadcnt 0x0
	global_store_b128 v0, v[2:5], s[0:1] scale_offset
.LBB163_2:
	s_endpgm
	.section	.rodata,"a",@progbits
	.p2align	6, 0x0
	.amdhsa_kernel _ZN9rocsolver6v33100L12restore_diagI19rocblas_complex_numIdEiS3_PS3_EEvPT1_llT2_lT0_lS8_
		.amdhsa_group_segment_fixed_size 0
		.amdhsa_private_segment_fixed_size 0
		.amdhsa_kernarg_size 320
		.amdhsa_user_sgpr_count 2
		.amdhsa_user_sgpr_dispatch_ptr 0
		.amdhsa_user_sgpr_queue_ptr 0
		.amdhsa_user_sgpr_kernarg_segment_ptr 1
		.amdhsa_user_sgpr_dispatch_id 0
		.amdhsa_user_sgpr_kernarg_preload_length 0
		.amdhsa_user_sgpr_kernarg_preload_offset 0
		.amdhsa_user_sgpr_private_segment_size 0
		.amdhsa_wavefront_size32 1
		.amdhsa_uses_dynamic_stack 0
		.amdhsa_enable_private_segment 0
		.amdhsa_system_sgpr_workgroup_id_x 1
		.amdhsa_system_sgpr_workgroup_id_y 1
		.amdhsa_system_sgpr_workgroup_id_z 0
		.amdhsa_system_sgpr_workgroup_info 0
		.amdhsa_system_vgpr_workitem_id 1
		.amdhsa_next_free_vgpr 6
		.amdhsa_next_free_sgpr 13
		.amdhsa_named_barrier_count 0
		.amdhsa_reserve_vcc 0
		.amdhsa_float_round_mode_32 0
		.amdhsa_float_round_mode_16_64 0
		.amdhsa_float_denorm_mode_32 3
		.amdhsa_float_denorm_mode_16_64 3
		.amdhsa_fp16_overflow 0
		.amdhsa_memory_ordered 1
		.amdhsa_forward_progress 1
		.amdhsa_inst_pref_size 3
		.amdhsa_round_robin_scheduling 0
		.amdhsa_exception_fp_ieee_invalid_op 0
		.amdhsa_exception_fp_denorm_src 0
		.amdhsa_exception_fp_ieee_div_zero 0
		.amdhsa_exception_fp_ieee_overflow 0
		.amdhsa_exception_fp_ieee_underflow 0
		.amdhsa_exception_fp_ieee_inexact 0
		.amdhsa_exception_int_div_zero 0
	.end_amdhsa_kernel
	.section	.text._ZN9rocsolver6v33100L12restore_diagI19rocblas_complex_numIdEiS3_PS3_EEvPT1_llT2_lT0_lS8_,"axG",@progbits,_ZN9rocsolver6v33100L12restore_diagI19rocblas_complex_numIdEiS3_PS3_EEvPT1_llT2_lT0_lS8_,comdat
.Lfunc_end163:
	.size	_ZN9rocsolver6v33100L12restore_diagI19rocblas_complex_numIdEiS3_PS3_EEvPT1_llT2_lT0_lS8_, .Lfunc_end163-_ZN9rocsolver6v33100L12restore_diagI19rocblas_complex_numIdEiS3_PS3_EEvPT1_llT2_lT0_lS8_
                                        ; -- End function
	.set _ZN9rocsolver6v33100L12restore_diagI19rocblas_complex_numIdEiS3_PS3_EEvPT1_llT2_lT0_lS8_.num_vgpr, 6
	.set _ZN9rocsolver6v33100L12restore_diagI19rocblas_complex_numIdEiS3_PS3_EEvPT1_llT2_lT0_lS8_.num_agpr, 0
	.set _ZN9rocsolver6v33100L12restore_diagI19rocblas_complex_numIdEiS3_PS3_EEvPT1_llT2_lT0_lS8_.numbered_sgpr, 13
	.set _ZN9rocsolver6v33100L12restore_diagI19rocblas_complex_numIdEiS3_PS3_EEvPT1_llT2_lT0_lS8_.num_named_barrier, 0
	.set _ZN9rocsolver6v33100L12restore_diagI19rocblas_complex_numIdEiS3_PS3_EEvPT1_llT2_lT0_lS8_.private_seg_size, 0
	.set _ZN9rocsolver6v33100L12restore_diagI19rocblas_complex_numIdEiS3_PS3_EEvPT1_llT2_lT0_lS8_.uses_vcc, 0
	.set _ZN9rocsolver6v33100L12restore_diagI19rocblas_complex_numIdEiS3_PS3_EEvPT1_llT2_lT0_lS8_.uses_flat_scratch, 0
	.set _ZN9rocsolver6v33100L12restore_diagI19rocblas_complex_numIdEiS3_PS3_EEvPT1_llT2_lT0_lS8_.has_dyn_sized_stack, 0
	.set _ZN9rocsolver6v33100L12restore_diagI19rocblas_complex_numIdEiS3_PS3_EEvPT1_llT2_lT0_lS8_.has_recursion, 0
	.set _ZN9rocsolver6v33100L12restore_diagI19rocblas_complex_numIdEiS3_PS3_EEvPT1_llT2_lT0_lS8_.has_indirect_call, 0
	.section	.AMDGPU.csdata,"",@progbits
; Kernel info:
; codeLenInByte = 276
; TotalNumSgprs: 13
; NumVgprs: 6
; ScratchSize: 0
; MemoryBound: 0
; FloatMode: 240
; IeeeMode: 1
; LDSByteSize: 0 bytes/workgroup (compile time only)
; SGPRBlocks: 0
; VGPRBlocks: 0
; NumSGPRsForWavesPerEU: 13
; NumVGPRsForWavesPerEU: 6
; NamedBarCnt: 0
; Occupancy: 16
; WaveLimiterHint : 0
; COMPUTE_PGM_RSRC2:SCRATCH_EN: 0
; COMPUTE_PGM_RSRC2:USER_SGPR: 2
; COMPUTE_PGM_RSRC2:TRAP_HANDLER: 0
; COMPUTE_PGM_RSRC2:TGID_X_EN: 1
; COMPUTE_PGM_RSRC2:TGID_Y_EN: 1
; COMPUTE_PGM_RSRC2:TGID_Z_EN: 0
; COMPUTE_PGM_RSRC2:TIDIG_COMP_CNT: 1
	.section	.text._ZN9rocsolver6v33100L16orgl2_init_identI19rocblas_complex_numIdEPS3_EEviiiT0_iil,"axG",@progbits,_ZN9rocsolver6v33100L16orgl2_init_identI19rocblas_complex_numIdEPS3_EEviiiT0_iil,comdat
	.globl	_ZN9rocsolver6v33100L16orgl2_init_identI19rocblas_complex_numIdEPS3_EEviiiT0_iil ; -- Begin function _ZN9rocsolver6v33100L16orgl2_init_identI19rocblas_complex_numIdEPS3_EEviiiT0_iil
	.p2align	8
	.type	_ZN9rocsolver6v33100L16orgl2_init_identI19rocblas_complex_numIdEPS3_EEviiiT0_iil,@function
_ZN9rocsolver6v33100L16orgl2_init_identI19rocblas_complex_numIdEPS3_EEviiiT0_iil: ; @_ZN9rocsolver6v33100L16orgl2_init_identI19rocblas_complex_numIdEPS3_EEviiiT0_iil
; %bb.0:
	s_clause 0x1
	s_load_b32 s2, s[0:1], 0x34
	s_load_b96 s[8:10], s[0:1], 0x0
	s_bfe_u32 s4, ttmp6, 0x4000c
	s_bfe_u32 s6, ttmp6, 0x40010
	s_and_b32 s5, ttmp7, 0xffff
	s_add_co_i32 s4, s4, 1
	s_add_co_i32 s6, s6, 1
	s_and_b32 s3, ttmp6, 15
	s_bfe_u32 s7, ttmp6, 0x40004
	s_mul_i32 s4, ttmp9, s4
	s_mul_i32 s6, s5, s6
	s_getreg_b32 s11, hwreg(HW_REG_IB_STS2, 6, 4)
	v_bfe_u32 v2, v0, 10, 10
	v_and_b32_e32 v0, 0x3ff, v0
	s_add_co_i32 s3, s3, s4
	s_add_co_i32 s7, s7, s6
	s_wait_kmcnt 0x0
	s_lshr_b32 s4, s2, 16
	s_and_b32 s2, s2, 0xffff
	s_cmp_eq_u32 s11, 0
	s_cselect_b32 s3, ttmp9, s3
	s_cselect_b32 s5, s5, s7
	v_mad_u32 v1, s3, s2, v0
	v_mad_u32 v0, s5, s4, v2
	s_mov_b32 s3, 0
	s_delay_alu instid0(VALU_DEP_2) | instskip(NEXT) | instid1(VALU_DEP_2)
	v_cmp_gt_u32_e32 vcc_lo, s8, v1
	v_cmp_gt_u32_e64 s2, s9, v0
	s_and_b32 s2, vcc_lo, s2
	s_delay_alu instid0(SALU_CYCLE_1)
	s_and_saveexec_b32 s4, s2
	s_cbranch_execz .LBB164_11
; %bb.1:
	s_clause 0x1
	s_load_b128 s[4:7], s[0:1], 0x10
	s_load_b64 s[8:9], s[0:1], 0x20
	s_wait_xcnt 0x0
	s_bfe_u32 s0, ttmp6, 0x40014
	s_lshr_b32 s2, ttmp7, 16
	s_add_co_i32 s0, s0, 1
	s_bfe_u32 s1, ttmp6, 0x40008
	s_mul_i32 s0, s2, s0
	s_delay_alu instid0(SALU_CYCLE_1)
	s_add_co_i32 s0, s1, s0
	s_wait_kmcnt 0x0
	s_ashr_i32 s1, s6, 31
	s_cmp_eq_u32 s11, 0
	s_cselect_b32 s2, s2, s0
	s_mov_b32 s0, s6
	s_mul_u64 s[2:3], s[8:9], s[2:3]
	s_lshl_b64 s[0:1], s[0:1], 4
	s_lshl_b64 s[2:3], s[2:3], 4
	s_delay_alu instid0(SALU_CYCLE_1) | instskip(NEXT) | instid1(SALU_CYCLE_1)
	s_add_nc_u64 s[2:3], s[4:5], s[2:3]
	s_add_nc_u64 s[0:1], s[2:3], s[0:1]
	s_mov_b32 s2, exec_lo
	v_cmpx_ne_u32_e64 v1, v0
	s_xor_b32 s2, exec_lo, s2
	s_cbranch_execz .LBB164_9
; %bb.2:
	s_mov_b32 s3, exec_lo
	v_cmpx_ge_u32_e64 v0, v1
	s_xor_b32 s3, exec_lo, s3
	s_cbranch_execz .LBB164_6
; %bb.3:
	s_mov_b32 s4, exec_lo
	v_cmpx_le_u32_e64 s10, v1
	s_cbranch_execz .LBB164_5
; %bb.4:
	v_mad_u32 v0, v0, s7, v1
	v_mov_b32_e32 v2, 0
	s_delay_alu instid0(VALU_DEP_1)
	v_dual_mov_b32 v3, v2 :: v_dual_mov_b32 v4, v2
	v_mov_b32_e32 v5, v2
	global_store_b128 v0, v[2:5], s[0:1] scale_offset
.LBB164_5:
	s_wait_xcnt 0x0
	s_or_b32 exec_lo, exec_lo, s4
                                        ; implicit-def: $vgpr0
                                        ; implicit-def: $vgpr1
.LBB164_6:
	s_and_not1_saveexec_b32 s3, s3
	s_cbranch_execz .LBB164_8
; %bb.7:
	v_mad_u32 v0, v0, s7, v1
	v_mov_b32_e32 v2, 0
	s_delay_alu instid0(VALU_DEP_1)
	v_dual_mov_b32 v3, v2 :: v_dual_mov_b32 v4, v2
	v_mov_b32_e32 v5, v2
	global_store_b128 v0, v[2:5], s[0:1] scale_offset
.LBB164_8:
	s_wait_xcnt 0x0
	s_or_b32 exec_lo, exec_lo, s3
                                        ; implicit-def: $vgpr0
.LBB164_9:
	s_and_not1_saveexec_b32 s2, s2
	s_cbranch_execz .LBB164_11
; %bb.10:
	v_mad_u32 v4, v0, s7, v0
	v_dual_mov_b32 v0, 0 :: v_dual_mov_b32 v1, 0x3ff00000
	s_delay_alu instid0(VALU_DEP_1)
	v_dual_mov_b32 v2, v0 :: v_dual_mov_b32 v3, v0
	global_store_b128 v4, v[0:3], s[0:1] scale_offset
.LBB164_11:
	s_endpgm
	.section	.rodata,"a",@progbits
	.p2align	6, 0x0
	.amdhsa_kernel _ZN9rocsolver6v33100L16orgl2_init_identI19rocblas_complex_numIdEPS3_EEviiiT0_iil
		.amdhsa_group_segment_fixed_size 0
		.amdhsa_private_segment_fixed_size 0
		.amdhsa_kernarg_size 296
		.amdhsa_user_sgpr_count 2
		.amdhsa_user_sgpr_dispatch_ptr 0
		.amdhsa_user_sgpr_queue_ptr 0
		.amdhsa_user_sgpr_kernarg_segment_ptr 1
		.amdhsa_user_sgpr_dispatch_id 0
		.amdhsa_user_sgpr_kernarg_preload_length 0
		.amdhsa_user_sgpr_kernarg_preload_offset 0
		.amdhsa_user_sgpr_private_segment_size 0
		.amdhsa_wavefront_size32 1
		.amdhsa_uses_dynamic_stack 0
		.amdhsa_enable_private_segment 0
		.amdhsa_system_sgpr_workgroup_id_x 1
		.amdhsa_system_sgpr_workgroup_id_y 1
		.amdhsa_system_sgpr_workgroup_id_z 1
		.amdhsa_system_sgpr_workgroup_info 0
		.amdhsa_system_vgpr_workitem_id 1
		.amdhsa_next_free_vgpr 6
		.amdhsa_next_free_sgpr 12
		.amdhsa_named_barrier_count 0
		.amdhsa_reserve_vcc 1
		.amdhsa_float_round_mode_32 0
		.amdhsa_float_round_mode_16_64 0
		.amdhsa_float_denorm_mode_32 3
		.amdhsa_float_denorm_mode_16_64 3
		.amdhsa_fp16_overflow 0
		.amdhsa_memory_ordered 1
		.amdhsa_forward_progress 1
		.amdhsa_inst_pref_size 4
		.amdhsa_round_robin_scheduling 0
		.amdhsa_exception_fp_ieee_invalid_op 0
		.amdhsa_exception_fp_denorm_src 0
		.amdhsa_exception_fp_ieee_div_zero 0
		.amdhsa_exception_fp_ieee_overflow 0
		.amdhsa_exception_fp_ieee_underflow 0
		.amdhsa_exception_fp_ieee_inexact 0
		.amdhsa_exception_int_div_zero 0
	.end_amdhsa_kernel
	.section	.text._ZN9rocsolver6v33100L16orgl2_init_identI19rocblas_complex_numIdEPS3_EEviiiT0_iil,"axG",@progbits,_ZN9rocsolver6v33100L16orgl2_init_identI19rocblas_complex_numIdEPS3_EEviiiT0_iil,comdat
.Lfunc_end164:
	.size	_ZN9rocsolver6v33100L16orgl2_init_identI19rocblas_complex_numIdEPS3_EEviiiT0_iil, .Lfunc_end164-_ZN9rocsolver6v33100L16orgl2_init_identI19rocblas_complex_numIdEPS3_EEviiiT0_iil
                                        ; -- End function
	.set _ZN9rocsolver6v33100L16orgl2_init_identI19rocblas_complex_numIdEPS3_EEviiiT0_iil.num_vgpr, 6
	.set _ZN9rocsolver6v33100L16orgl2_init_identI19rocblas_complex_numIdEPS3_EEviiiT0_iil.num_agpr, 0
	.set _ZN9rocsolver6v33100L16orgl2_init_identI19rocblas_complex_numIdEPS3_EEviiiT0_iil.numbered_sgpr, 12
	.set _ZN9rocsolver6v33100L16orgl2_init_identI19rocblas_complex_numIdEPS3_EEviiiT0_iil.num_named_barrier, 0
	.set _ZN9rocsolver6v33100L16orgl2_init_identI19rocblas_complex_numIdEPS3_EEviiiT0_iil.private_seg_size, 0
	.set _ZN9rocsolver6v33100L16orgl2_init_identI19rocblas_complex_numIdEPS3_EEviiiT0_iil.uses_vcc, 1
	.set _ZN9rocsolver6v33100L16orgl2_init_identI19rocblas_complex_numIdEPS3_EEviiiT0_iil.uses_flat_scratch, 0
	.set _ZN9rocsolver6v33100L16orgl2_init_identI19rocblas_complex_numIdEPS3_EEviiiT0_iil.has_dyn_sized_stack, 0
	.set _ZN9rocsolver6v33100L16orgl2_init_identI19rocblas_complex_numIdEPS3_EEviiiT0_iil.has_recursion, 0
	.set _ZN9rocsolver6v33100L16orgl2_init_identI19rocblas_complex_numIdEPS3_EEviiiT0_iil.has_indirect_call, 0
	.section	.AMDGPU.csdata,"",@progbits
; Kernel info:
; codeLenInByte = 500
; TotalNumSgprs: 14
; NumVgprs: 6
; ScratchSize: 0
; MemoryBound: 0
; FloatMode: 240
; IeeeMode: 1
; LDSByteSize: 0 bytes/workgroup (compile time only)
; SGPRBlocks: 0
; VGPRBlocks: 0
; NumSGPRsForWavesPerEU: 14
; NumVGPRsForWavesPerEU: 6
; NamedBarCnt: 0
; Occupancy: 16
; WaveLimiterHint : 0
; COMPUTE_PGM_RSRC2:SCRATCH_EN: 0
; COMPUTE_PGM_RSRC2:USER_SGPR: 2
; COMPUTE_PGM_RSRC2:TRAP_HANDLER: 0
; COMPUTE_PGM_RSRC2:TGID_X_EN: 1
; COMPUTE_PGM_RSRC2:TGID_Y_EN: 1
; COMPUTE_PGM_RSRC2:TGID_Z_EN: 1
; COMPUTE_PGM_RSRC2:TIDIG_COMP_CNT: 1
	.text
	.p2alignl 7, 3214868480
	.fill 96, 4, 3214868480
	.section	.AMDGPU.gpr_maximums,"",@progbits
	.set amdgpu.max_num_vgpr, 49
	.set amdgpu.max_num_agpr, 0
	.set amdgpu.max_num_sgpr, 34
	.text
	.type	__const.__assert_fail.fmt,@object ; @__const.__assert_fail.fmt
	.section	.rodata.str1.16,"aMS",@progbits,1
	.p2align	4, 0x0
__const.__assert_fail.fmt:
	.asciz	"%s:%u: %s: Device-side assertion `%s' failed.\n"
	.size	__const.__assert_fail.fmt, 47

	.type	.str.3,@object                  ; @.str.3
	.section	.rodata.str1.1,"aMS",@progbits,1
.str.3:
	.asciz	"total_bytes <= max_lds"
	.size	.str.3, 23

	.type	.str.4,@object                  ; @.str.4
.str.4:
	.asciz	"/root/src/amdgpu-assembly/repos/ROCm__rocSOLVER/library/src/lapack/roclapack_syevj_heevj.hpp"
	.size	.str.4, 93

	.type	__PRETTY_FUNCTION__._ZN9rocsolver6v33100L17syevj_diag_rotateILb0EffPfEEvbiiT2_iilPT0_Pii,@object ; @__PRETTY_FUNCTION__._ZN9rocsolver6v33100L17syevj_diag_rotateILb0EffPfEEvbiiT2_iilPT0_Pii
__PRETTY_FUNCTION__._ZN9rocsolver6v33100L17syevj_diag_rotateILb0EffPfEEvbiiT2_iilPT0_Pii:
	.asciz	"void rocsolver::syevj_diag_rotate(const bool, const rocblas_int, const rocblas_int, U, const rocblas_int, const rocblas_int, const rocblas_stride, T *, rocblas_int *, rocblas_int) [APPLY_LEFT = false, T = float, S = float, U = float *]"
	.size	__PRETTY_FUNCTION__._ZN9rocsolver6v33100L17syevj_diag_rotateILb0EffPfEEvbiiT2_iilPT0_Pii, 236

	.type	__PRETTY_FUNCTION__._ZN9rocsolver6v33100L17syevj_diag_rotateILb1EffPfEEvbiiT2_iilPT0_Pii,@object ; @__PRETTY_FUNCTION__._ZN9rocsolver6v33100L17syevj_diag_rotateILb1EffPfEEvbiiT2_iilPT0_Pii
__PRETTY_FUNCTION__._ZN9rocsolver6v33100L17syevj_diag_rotateILb1EffPfEEvbiiT2_iilPT0_Pii:
	.asciz	"void rocsolver::syevj_diag_rotate(const bool, const rocblas_int, const rocblas_int, U, const rocblas_int, const rocblas_int, const rocblas_stride, T *, rocblas_int *, rocblas_int) [APPLY_LEFT = true, T = float, S = float, U = float *]"
	.size	__PRETTY_FUNCTION__._ZN9rocsolver6v33100L17syevj_diag_rotateILb1EffPfEEvbiiT2_iilPT0_Pii, 235

	.type	__PRETTY_FUNCTION__._ZN9rocsolver6v33100L17syevj_diag_rotateILb0EddPdEEvbiiT2_iilPT0_Pii,@object ; @__PRETTY_FUNCTION__._ZN9rocsolver6v33100L17syevj_diag_rotateILb0EddPdEEvbiiT2_iilPT0_Pii
__PRETTY_FUNCTION__._ZN9rocsolver6v33100L17syevj_diag_rotateILb0EddPdEEvbiiT2_iilPT0_Pii:
	.asciz	"void rocsolver::syevj_diag_rotate(const bool, const rocblas_int, const rocblas_int, U, const rocblas_int, const rocblas_int, const rocblas_stride, T *, rocblas_int *, rocblas_int) [APPLY_LEFT = false, T = double, S = double, U = double *]"
	.size	__PRETTY_FUNCTION__._ZN9rocsolver6v33100L17syevj_diag_rotateILb0EddPdEEvbiiT2_iilPT0_Pii, 239

	.type	__PRETTY_FUNCTION__._ZN9rocsolver6v33100L17syevj_diag_rotateILb1EddPdEEvbiiT2_iilPT0_Pii,@object ; @__PRETTY_FUNCTION__._ZN9rocsolver6v33100L17syevj_diag_rotateILb1EddPdEEvbiiT2_iilPT0_Pii
__PRETTY_FUNCTION__._ZN9rocsolver6v33100L17syevj_diag_rotateILb1EddPdEEvbiiT2_iilPT0_Pii:
	.asciz	"void rocsolver::syevj_diag_rotate(const bool, const rocblas_int, const rocblas_int, U, const rocblas_int, const rocblas_int, const rocblas_stride, T *, rocblas_int *, rocblas_int) [APPLY_LEFT = true, T = double, S = double, U = double *]"
	.size	__PRETTY_FUNCTION__._ZN9rocsolver6v33100L17syevj_diag_rotateILb1EddPdEEvbiiT2_iilPT0_Pii, 238

	.type	__PRETTY_FUNCTION__._ZN9rocsolver6v33100L17syevj_diag_rotateILb0E19rocblas_complex_numIfEfPS3_EEvbiiT2_iilPT0_Pii,@object ; @__PRETTY_FUNCTION__._ZN9rocsolver6v33100L17syevj_diag_rotateILb0E19rocblas_complex_numIfEfPS3_EEvbiiT2_iilPT0_Pii
__PRETTY_FUNCTION__._ZN9rocsolver6v33100L17syevj_diag_rotateILb0E19rocblas_complex_numIfEfPS3_EEvbiiT2_iilPT0_Pii:
	.asciz	"void rocsolver::syevj_diag_rotate(const bool, const rocblas_int, const rocblas_int, U, const rocblas_int, const rocblas_int, const rocblas_stride, T *, rocblas_int *, rocblas_int) [APPLY_LEFT = false, T = rocblas_complex_num<float>, S = float, U = rocblas_complex_num<float> *]"
	.size	__PRETTY_FUNCTION__._ZN9rocsolver6v33100L17syevj_diag_rotateILb0E19rocblas_complex_numIfEfPS3_EEvbiiT2_iilPT0_Pii, 278

	.type	__PRETTY_FUNCTION__._ZN9rocsolver6v33100L17syevj_diag_rotateILb1E19rocblas_complex_numIfEfPS3_EEvbiiT2_iilPT0_Pii,@object ; @__PRETTY_FUNCTION__._ZN9rocsolver6v33100L17syevj_diag_rotateILb1E19rocblas_complex_numIfEfPS3_EEvbiiT2_iilPT0_Pii
__PRETTY_FUNCTION__._ZN9rocsolver6v33100L17syevj_diag_rotateILb1E19rocblas_complex_numIfEfPS3_EEvbiiT2_iilPT0_Pii:
	.asciz	"void rocsolver::syevj_diag_rotate(const bool, const rocblas_int, const rocblas_int, U, const rocblas_int, const rocblas_int, const rocblas_stride, T *, rocblas_int *, rocblas_int) [APPLY_LEFT = true, T = rocblas_complex_num<float>, S = float, U = rocblas_complex_num<float> *]"
	.size	__PRETTY_FUNCTION__._ZN9rocsolver6v33100L17syevj_diag_rotateILb1E19rocblas_complex_numIfEfPS3_EEvbiiT2_iilPT0_Pii, 277

	.type	__PRETTY_FUNCTION__._ZN9rocsolver6v33100L17syevj_diag_rotateILb0E19rocblas_complex_numIdEdPS3_EEvbiiT2_iilPT0_Pii,@object ; @__PRETTY_FUNCTION__._ZN9rocsolver6v33100L17syevj_diag_rotateILb0E19rocblas_complex_numIdEdPS3_EEvbiiT2_iilPT0_Pii
__PRETTY_FUNCTION__._ZN9rocsolver6v33100L17syevj_diag_rotateILb0E19rocblas_complex_numIdEdPS3_EEvbiiT2_iilPT0_Pii:
	.asciz	"void rocsolver::syevj_diag_rotate(const bool, const rocblas_int, const rocblas_int, U, const rocblas_int, const rocblas_int, const rocblas_stride, T *, rocblas_int *, rocblas_int) [APPLY_LEFT = false, T = rocblas_complex_num<double>, S = double, U = rocblas_complex_num<double> *]"
	.size	__PRETTY_FUNCTION__._ZN9rocsolver6v33100L17syevj_diag_rotateILb0E19rocblas_complex_numIdEdPS3_EEvbiiT2_iilPT0_Pii, 281

	.type	__PRETTY_FUNCTION__._ZN9rocsolver6v33100L17syevj_diag_rotateILb1E19rocblas_complex_numIdEdPS3_EEvbiiT2_iilPT0_Pii,@object ; @__PRETTY_FUNCTION__._ZN9rocsolver6v33100L17syevj_diag_rotateILb1E19rocblas_complex_numIdEdPS3_EEvbiiT2_iilPT0_Pii
__PRETTY_FUNCTION__._ZN9rocsolver6v33100L17syevj_diag_rotateILb1E19rocblas_complex_numIdEdPS3_EEvbiiT2_iilPT0_Pii:
	.asciz	"void rocsolver::syevj_diag_rotate(const bool, const rocblas_int, const rocblas_int, U, const rocblas_int, const rocblas_int, const rocblas_stride, T *, rocblas_int *, rocblas_int) [APPLY_LEFT = true, T = rocblas_complex_num<double>, S = double, U = rocblas_complex_num<double> *]"
	.size	__PRETTY_FUNCTION__._ZN9rocsolver6v33100L17syevj_diag_rotateILb1E19rocblas_complex_numIdEdPS3_EEvbiiT2_iilPT0_Pii, 280

	.type	__hip_cuid_47a56be14386b943,@object ; @__hip_cuid_47a56be14386b943
	.section	.bss,"aw",@nobits
	.globl	__hip_cuid_47a56be14386b943
__hip_cuid_47a56be14386b943:
	.byte	0                               ; 0x0
	.size	__hip_cuid_47a56be14386b943, 1

	.ident	"AMD clang version 22.0.0git (https://github.com/RadeonOpenCompute/llvm-project roc-7.2.4 26084 f58b06dce1f9c15707c5f808fd002e18c2accf7e)"
	.section	".note.GNU-stack","",@progbits
	.addrsig
	.addrsig_sym __hip_cuid_47a56be14386b943
	.amdgpu_metadata
---
amdhsa.kernels:
  - .args:
      - .address_space:  global
        .offset:         0
        .size:           8
        .value_kind:     global_buffer
      - .offset:         8
        .size:           4
        .value_kind:     by_value
      - .offset:         12
        .size:           4
        .value_kind:     by_value
    .group_segment_fixed_size: 0
    .kernarg_segment_align: 8
    .kernarg_segment_size: 16
    .language:       OpenCL C
    .language_version:
      - 2
      - 0
    .max_flat_workgroup_size: 32
    .name:           _ZN9rocsolver6v33100L6iota_nIfEEvPT_jS2_
    .private_segment_fixed_size: 0
    .sgpr_count:     6
    .sgpr_spill_count: 0
    .symbol:         _ZN9rocsolver6v33100L6iota_nIfEEvPT_jS2_.kd
    .uniform_work_group_size: 1
    .uses_dynamic_stack: false
    .vgpr_count:     2
    .vgpr_spill_count: 0
    .wavefront_size: 32
  - .args:
      - .address_space:  global
        .offset:         0
        .size:           8
        .value_kind:     global_buffer
      - .offset:         8
        .size:           4
        .value_kind:     by_value
      - .offset:         12
        .size:           4
        .value_kind:     by_value
      - .offset:         16
        .size:           4
        .value_kind:     by_value
      - .offset:         24
        .size:           4
        .value_kind:     hidden_block_count_x
      - .offset:         28
        .size:           4
        .value_kind:     hidden_block_count_y
      - .offset:         32
        .size:           4
        .value_kind:     hidden_block_count_z
      - .offset:         36
        .size:           2
        .value_kind:     hidden_group_size_x
      - .offset:         38
        .size:           2
        .value_kind:     hidden_group_size_y
      - .offset:         40
        .size:           2
        .value_kind:     hidden_group_size_z
      - .offset:         42
        .size:           2
        .value_kind:     hidden_remainder_x
      - .offset:         44
        .size:           2
        .value_kind:     hidden_remainder_y
      - .offset:         46
        .size:           2
        .value_kind:     hidden_remainder_z
      - .offset:         64
        .size:           8
        .value_kind:     hidden_global_offset_x
      - .offset:         72
        .size:           8
        .value_kind:     hidden_global_offset_y
      - .offset:         80
        .size:           8
        .value_kind:     hidden_global_offset_z
      - .offset:         88
        .size:           2
        .value_kind:     hidden_grid_dims
    .group_segment_fixed_size: 0
    .kernarg_segment_align: 8
    .kernarg_segment_size: 280
    .language:       OpenCL C
    .language_version:
      - 2
      - 0
    .max_flat_workgroup_size: 1024
    .name:           _ZN9rocsolver6v33100L10reset_infoIfiiEEvPT_T0_T1_S4_
    .private_segment_fixed_size: 0
    .sgpr_count:     9
    .sgpr_spill_count: 0
    .symbol:         _ZN9rocsolver6v33100L10reset_infoIfiiEEvPT_T0_T1_S4_.kd
    .uniform_work_group_size: 1
    .uses_dynamic_stack: false
    .vgpr_count:     2
    .vgpr_spill_count: 0
    .wavefront_size: 32
  - .args:
      - .address_space:  global
        .offset:         0
        .size:           8
        .value_kind:     global_buffer
      - .offset:         8
        .size:           4
        .value_kind:     by_value
      - .offset:         12
        .size:           4
        .value_kind:     by_value
      - .offset:         16
        .size:           4
        .value_kind:     by_value
      - .offset:         24
        .size:           4
        .value_kind:     hidden_block_count_x
      - .offset:         28
        .size:           4
        .value_kind:     hidden_block_count_y
      - .offset:         32
        .size:           4
        .value_kind:     hidden_block_count_z
      - .offset:         36
        .size:           2
        .value_kind:     hidden_group_size_x
      - .offset:         38
        .size:           2
        .value_kind:     hidden_group_size_y
      - .offset:         40
        .size:           2
        .value_kind:     hidden_group_size_z
      - .offset:         42
        .size:           2
        .value_kind:     hidden_remainder_x
      - .offset:         44
        .size:           2
        .value_kind:     hidden_remainder_y
      - .offset:         46
        .size:           2
        .value_kind:     hidden_remainder_z
      - .offset:         64
        .size:           8
        .value_kind:     hidden_global_offset_x
      - .offset:         72
        .size:           8
        .value_kind:     hidden_global_offset_y
      - .offset:         80
        .size:           8
        .value_kind:     hidden_global_offset_z
      - .offset:         88
        .size:           2
        .value_kind:     hidden_grid_dims
    .group_segment_fixed_size: 0
    .kernarg_segment_align: 8
    .kernarg_segment_size: 280
    .language:       OpenCL C
    .language_version:
      - 2
      - 0
    .max_flat_workgroup_size: 1024
    .name:           _ZN9rocsolver6v33100L10reset_infoIiiiEEvPT_T0_T1_S4_
    .private_segment_fixed_size: 0
    .sgpr_count:     9
    .sgpr_spill_count: 0
    .symbol:         _ZN9rocsolver6v33100L10reset_infoIiiiEEvPT_T0_T1_S4_.kd
    .uniform_work_group_size: 1
    .uses_dynamic_stack: false
    .vgpr_count:     2
    .vgpr_spill_count: 0
    .wavefront_size: 32
  - .args:
      - .offset:         0
        .size:           4
        .value_kind:     by_value
      - .address_space:  global
        .offset:         8
        .size:           8
        .value_kind:     global_buffer
      - .offset:         16
        .size:           8
        .value_kind:     by_value
      - .address_space:  global
        .offset:         24
        .size:           8
        .value_kind:     global_buffer
      - .offset:         32
        .size:           8
        .value_kind:     by_value
      - .offset:         40
        .size:           4
        .value_kind:     by_value
      - .offset:         48
        .size:           4
        .value_kind:     hidden_block_count_x
      - .offset:         52
        .size:           4
        .value_kind:     hidden_block_count_y
      - .offset:         56
        .size:           4
        .value_kind:     hidden_block_count_z
      - .offset:         60
        .size:           2
        .value_kind:     hidden_group_size_x
      - .offset:         62
        .size:           2
        .value_kind:     hidden_group_size_y
      - .offset:         64
        .size:           2
        .value_kind:     hidden_group_size_z
      - .offset:         66
        .size:           2
        .value_kind:     hidden_remainder_x
      - .offset:         68
        .size:           2
        .value_kind:     hidden_remainder_y
      - .offset:         70
        .size:           2
        .value_kind:     hidden_remainder_z
      - .offset:         88
        .size:           8
        .value_kind:     hidden_global_offset_x
      - .offset:         96
        .size:           8
        .value_kind:     hidden_global_offset_y
      - .offset:         104
        .size:           8
        .value_kind:     hidden_global_offset_z
      - .offset:         112
        .size:           2
        .value_kind:     hidden_grid_dims
    .group_segment_fixed_size: 0
    .kernarg_segment_align: 8
    .kernarg_segment_size: 304
    .language:       OpenCL C
    .language_version:
      - 2
      - 0
    .max_flat_workgroup_size: 1024
    .name:           _ZN9rocsolver6v33100L16syev_scalar_caseIfPfTnNSt9enable_ifIXnt18rocblas_is_complexIT_EEiE4typeELi0EEEv14rocblas_evect_T0_lPS4_li
    .private_segment_fixed_size: 0
    .sgpr_count:     12
    .sgpr_spill_count: 0
    .symbol:         _ZN9rocsolver6v33100L16syev_scalar_caseIfPfTnNSt9enable_ifIXnt18rocblas_is_complexIT_EEiE4typeELi0EEEv14rocblas_evect_T0_lPS4_li.kd
    .uniform_work_group_size: 1
    .uses_dynamic_stack: false
    .vgpr_count:     5
    .vgpr_spill_count: 0
    .wavefront_size: 32
  - .args:
      - .offset:         0
        .size:           4
        .value_kind:     by_value
      - .offset:         4
        .size:           4
        .value_kind:     by_value
      - .offset:         8
        .size:           4
        .value_kind:     by_value
      - .offset:         12
        .size:           4
        .value_kind:     by_value
      - .address_space:  global
        .offset:         16
        .size:           8
        .value_kind:     global_buffer
      - .offset:         24
        .size:           4
        .value_kind:     by_value
      - .offset:         28
        .size:           4
        .value_kind:     by_value
      - .offset:         32
        .size:           8
        .value_kind:     by_value
      - .offset:         40
        .size:           4
        .value_kind:     by_value
      - .offset:         44
        .size:           4
        .value_kind:     by_value
      - .address_space:  global
        .offset:         48
        .size:           8
        .value_kind:     global_buffer
      - .offset:         56
        .size:           4
        .value_kind:     by_value
      - .address_space:  global
        .offset:         64
        .size:           8
        .value_kind:     global_buffer
      - .address_space:  global
        .offset:         72
        .size:           8
        .value_kind:     global_buffer
      - .offset:         80
        .size:           8
        .value_kind:     by_value
      - .address_space:  global
        .offset:         88
        .size:           8
        .value_kind:     global_buffer
      - .address_space:  global
        .offset:         96
        .size:           8
        .value_kind:     global_buffer
    .group_segment_fixed_size: 0
    .kernarg_segment_align: 8
    .kernarg_segment_size: 104
    .language:       OpenCL C
    .language_version:
      - 2
      - 0
    .max_flat_workgroup_size: 1024
    .name:           _ZN9rocsolver6v33100L18syevj_small_kernelIffPfEEv14rocblas_esort_14rocblas_evect_13rocblas_fill_iT1_iilT0_S7_PS7_iPiS8_lS9_PT_
    .private_segment_fixed_size: 0
    .sgpr_count:     63
    .sgpr_spill_count: 0
    .symbol:         _ZN9rocsolver6v33100L18syevj_small_kernelIffPfEEv14rocblas_esort_14rocblas_evect_13rocblas_fill_iT1_iilT0_S7_PS7_iPiS8_lS9_PT_.kd
    .uniform_work_group_size: 1
    .uses_dynamic_stack: false
    .vgpr_count:     38
    .vgpr_spill_count: 0
    .wavefront_size: 32
  - .args:
      - .offset:         0
        .size:           4
        .value_kind:     by_value
      - .offset:         4
        .size:           4
        .value_kind:     by_value
      - .offset:         8
        .size:           4
        .value_kind:     by_value
      - .offset:         12
        .size:           4
        .value_kind:     by_value
      - .address_space:  global
        .offset:         16
        .size:           8
        .value_kind:     global_buffer
      - .offset:         24
        .size:           4
        .value_kind:     by_value
      - .offset:         28
        .size:           4
        .value_kind:     by_value
      - .offset:         32
        .size:           8
        .value_kind:     by_value
      - .offset:         40
        .size:           4
        .value_kind:     by_value
      - .address_space:  global
        .offset:         48
        .size:           8
        .value_kind:     global_buffer
      - .address_space:  global
        .offset:         56
        .size:           8
        .value_kind:     global_buffer
      - .address_space:  global
        .offset:         64
        .size:           8
        .value_kind:     global_buffer
      - .address_space:  global
        .offset:         72
        .size:           8
        .value_kind:     global_buffer
      - .address_space:  global
        .offset:         80
        .size:           8
        .value_kind:     global_buffer
      - .address_space:  global
        .offset:         88
        .size:           8
        .value_kind:     global_buffer
      - .offset:         96
        .size:           4
        .value_kind:     hidden_block_count_x
      - .offset:         100
        .size:           4
        .value_kind:     hidden_block_count_y
      - .offset:         104
        .size:           4
        .value_kind:     hidden_block_count_z
      - .offset:         108
        .size:           2
        .value_kind:     hidden_group_size_x
      - .offset:         110
        .size:           2
        .value_kind:     hidden_group_size_y
      - .offset:         112
        .size:           2
        .value_kind:     hidden_group_size_z
      - .offset:         114
        .size:           2
        .value_kind:     hidden_remainder_x
      - .offset:         116
        .size:           2
        .value_kind:     hidden_remainder_y
      - .offset:         118
        .size:           2
        .value_kind:     hidden_remainder_z
      - .offset:         136
        .size:           8
        .value_kind:     hidden_global_offset_x
      - .offset:         144
        .size:           8
        .value_kind:     hidden_global_offset_y
      - .offset:         152
        .size:           8
        .value_kind:     hidden_global_offset_z
      - .offset:         160
        .size:           2
        .value_kind:     hidden_grid_dims
      - .offset:         216
        .size:           4
        .value_kind:     hidden_dynamic_lds_size
    .group_segment_fixed_size: 0
    .kernarg_segment_align: 8
    .kernarg_segment_size: 352
    .language:       OpenCL C
    .language_version:
      - 2
      - 0
    .max_flat_workgroup_size: 1024
    .name:           _ZN9rocsolver6v33100L10syevj_initIffPfEEv14rocblas_evect_13rocblas_fill_iiT1_iilT0_PS6_PT_S7_PiSA_SA_
    .private_segment_fixed_size: 0
    .sgpr_count:     42
    .sgpr_spill_count: 0
    .symbol:         _ZN9rocsolver6v33100L10syevj_initIffPfEEv14rocblas_evect_13rocblas_fill_iiT1_iilT0_PS6_PT_S7_PiSA_SA_.kd
    .uniform_work_group_size: 1
    .uses_dynamic_stack: false
    .vgpr_count:     24
    .vgpr_spill_count: 0
    .wavefront_size: 32
  - .args:
      - .offset:         0
        .size:           4
        .value_kind:     by_value
      - .address_space:  global
        .offset:         8
        .size:           8
        .value_kind:     global_buffer
      - .offset:         16
        .size:           4
        .value_kind:     by_value
      - .offset:         20
        .size:           4
        .value_kind:     by_value
      - .offset:         24
        .size:           8
        .value_kind:     by_value
      - .offset:         32
        .size:           4
        .value_kind:     by_value
      - .address_space:  global
        .offset:         40
        .size:           8
        .value_kind:     global_buffer
      - .address_space:  global
        .offset:         48
        .size:           8
        .value_kind:     global_buffer
      - .offset:         56
        .size:           4
        .value_kind:     hidden_block_count_x
      - .offset:         60
        .size:           4
        .value_kind:     hidden_block_count_y
      - .offset:         64
        .size:           4
        .value_kind:     hidden_block_count_z
      - .offset:         68
        .size:           2
        .value_kind:     hidden_group_size_x
      - .offset:         70
        .size:           2
        .value_kind:     hidden_group_size_y
      - .offset:         72
        .size:           2
        .value_kind:     hidden_group_size_z
      - .offset:         74
        .size:           2
        .value_kind:     hidden_remainder_x
      - .offset:         76
        .size:           2
        .value_kind:     hidden_remainder_y
      - .offset:         78
        .size:           2
        .value_kind:     hidden_remainder_z
      - .offset:         96
        .size:           8
        .value_kind:     hidden_global_offset_x
      - .offset:         104
        .size:           8
        .value_kind:     hidden_global_offset_y
      - .offset:         112
        .size:           8
        .value_kind:     hidden_global_offset_z
      - .offset:         120
        .size:           2
        .value_kind:     hidden_grid_dims
      - .offset:         176
        .size:           4
        .value_kind:     hidden_dynamic_lds_size
    .group_segment_fixed_size: 0
    .kernarg_segment_align: 8
    .kernarg_segment_size: 312
    .language:       OpenCL C
    .language_version:
      - 2
      - 0
    .max_flat_workgroup_size: 1024
    .name:           _ZN9rocsolver6v33100L17syevj_diag_kernelIffPfEEviT1_iilT0_PT_Pi
    .private_segment_fixed_size: 0
    .sgpr_count:     25
    .sgpr_spill_count: 0
    .symbol:         _ZN9rocsolver6v33100L17syevj_diag_kernelIffPfEEviT1_iilT0_PT_Pi.kd
    .uniform_work_group_size: 1
    .uses_dynamic_stack: false
    .vgpr_count:     26
    .vgpr_spill_count: 0
    .wavefront_size: 32
  - .args:
      - .offset:         0
        .size:           1
        .value_kind:     by_value
      - .offset:         4
        .size:           4
        .value_kind:     by_value
      - .address_space:  global
        .offset:         8
        .size:           8
        .value_kind:     global_buffer
      - .offset:         16
        .size:           4
        .value_kind:     by_value
      - .offset:         20
        .size:           4
        .value_kind:     by_value
      - .offset:         24
        .size:           8
        .value_kind:     by_value
      - .address_space:  global
        .offset:         32
        .size:           8
        .value_kind:     global_buffer
      - .address_space:  global
        .offset:         40
        .size:           8
        .value_kind:     global_buffer
      - .offset:         48
        .size:           4
        .value_kind:     hidden_block_count_x
      - .offset:         52
        .size:           4
        .value_kind:     hidden_block_count_y
      - .offset:         56
        .size:           4
        .value_kind:     hidden_block_count_z
      - .offset:         60
        .size:           2
        .value_kind:     hidden_group_size_x
      - .offset:         62
        .size:           2
        .value_kind:     hidden_group_size_y
      - .offset:         64
        .size:           2
        .value_kind:     hidden_group_size_z
      - .offset:         66
        .size:           2
        .value_kind:     hidden_remainder_x
      - .offset:         68
        .size:           2
        .value_kind:     hidden_remainder_y
      - .offset:         70
        .size:           2
        .value_kind:     hidden_remainder_z
      - .offset:         88
        .size:           8
        .value_kind:     hidden_global_offset_x
      - .offset:         96
        .size:           8
        .value_kind:     hidden_global_offset_y
      - .offset:         104
        .size:           8
        .value_kind:     hidden_global_offset_z
      - .offset:         112
        .size:           2
        .value_kind:     hidden_grid_dims
    .group_segment_fixed_size: 0
    .kernarg_segment_align: 8
    .kernarg_segment_size: 304
    .language:       OpenCL C
    .language_version:
      - 2
      - 0
    .max_flat_workgroup_size: 1024
    .name:           _ZN9rocsolver6v33100L21syevj_diag_rotate_orgILb0EffPfEEvbiT2_iilPT0_Pi
    .private_segment_fixed_size: 0
    .sgpr_count:     20
    .sgpr_spill_count: 0
    .symbol:         _ZN9rocsolver6v33100L21syevj_diag_rotate_orgILb0EffPfEEvbiT2_iilPT0_Pi.kd
    .uniform_work_group_size: 1
    .uses_dynamic_stack: false
    .vgpr_count:     8
    .vgpr_spill_count: 0
    .wavefront_size: 32
  - .args:
      - .offset:         0
        .size:           1
        .value_kind:     by_value
      - .offset:         4
        .size:           4
        .value_kind:     by_value
      - .address_space:  global
        .offset:         8
        .size:           8
        .value_kind:     global_buffer
      - .offset:         16
        .size:           4
        .value_kind:     by_value
      - .offset:         20
        .size:           4
        .value_kind:     by_value
      - .offset:         24
        .size:           8
        .value_kind:     by_value
      - .address_space:  global
        .offset:         32
        .size:           8
        .value_kind:     global_buffer
      - .address_space:  global
        .offset:         40
        .size:           8
        .value_kind:     global_buffer
      - .offset:         48
        .size:           4
        .value_kind:     hidden_block_count_x
      - .offset:         52
        .size:           4
        .value_kind:     hidden_block_count_y
      - .offset:         56
        .size:           4
        .value_kind:     hidden_block_count_z
      - .offset:         60
        .size:           2
        .value_kind:     hidden_group_size_x
      - .offset:         62
        .size:           2
        .value_kind:     hidden_group_size_y
      - .offset:         64
        .size:           2
        .value_kind:     hidden_group_size_z
      - .offset:         66
        .size:           2
        .value_kind:     hidden_remainder_x
      - .offset:         68
        .size:           2
        .value_kind:     hidden_remainder_y
      - .offset:         70
        .size:           2
        .value_kind:     hidden_remainder_z
      - .offset:         88
        .size:           8
        .value_kind:     hidden_global_offset_x
      - .offset:         96
        .size:           8
        .value_kind:     hidden_global_offset_y
      - .offset:         104
        .size:           8
        .value_kind:     hidden_global_offset_z
      - .offset:         112
        .size:           2
        .value_kind:     hidden_grid_dims
    .group_segment_fixed_size: 0
    .kernarg_segment_align: 8
    .kernarg_segment_size: 304
    .language:       OpenCL C
    .language_version:
      - 2
      - 0
    .max_flat_workgroup_size: 1024
    .name:           _ZN9rocsolver6v33100L21syevj_diag_rotate_orgILb1EffPfEEvbiT2_iilPT0_Pi
    .private_segment_fixed_size: 0
    .sgpr_count:     19
    .sgpr_spill_count: 0
    .symbol:         _ZN9rocsolver6v33100L21syevj_diag_rotate_orgILb1EffPfEEvbiT2_iilPT0_Pi.kd
    .uniform_work_group_size: 1
    .uses_dynamic_stack: false
    .vgpr_count:     8
    .vgpr_spill_count: 0
    .wavefront_size: 32
  - .args:
      - .offset:         0
        .size:           1
        .value_kind:     by_value
      - .offset:         4
        .size:           4
        .value_kind:     by_value
      - .offset:         8
        .size:           4
        .value_kind:     by_value
      - .address_space:  global
        .offset:         16
        .size:           8
        .value_kind:     global_buffer
      - .offset:         24
        .size:           4
        .value_kind:     by_value
      - .offset:         28
        .size:           4
        .value_kind:     by_value
      - .offset:         32
        .size:           8
        .value_kind:     by_value
      - .address_space:  global
        .offset:         40
        .size:           8
        .value_kind:     global_buffer
      - .address_space:  global
        .offset:         48
        .size:           8
        .value_kind:     global_buffer
      - .offset:         56
        .size:           4
        .value_kind:     by_value
      - .offset:         64
        .size:           4
        .value_kind:     hidden_block_count_x
      - .offset:         68
        .size:           4
        .value_kind:     hidden_block_count_y
      - .offset:         72
        .size:           4
        .value_kind:     hidden_block_count_z
      - .offset:         76
        .size:           2
        .value_kind:     hidden_group_size_x
      - .offset:         78
        .size:           2
        .value_kind:     hidden_group_size_y
      - .offset:         80
        .size:           2
        .value_kind:     hidden_group_size_z
      - .offset:         82
        .size:           2
        .value_kind:     hidden_remainder_x
      - .offset:         84
        .size:           2
        .value_kind:     hidden_remainder_y
      - .offset:         86
        .size:           2
        .value_kind:     hidden_remainder_z
      - .offset:         104
        .size:           8
        .value_kind:     hidden_global_offset_x
      - .offset:         112
        .size:           8
        .value_kind:     hidden_global_offset_y
      - .offset:         120
        .size:           8
        .value_kind:     hidden_global_offset_z
      - .offset:         128
        .size:           2
        .value_kind:     hidden_grid_dims
      - .offset:         144
        .size:           8
        .value_kind:     hidden_hostcall_buffer
      - .offset:         184
        .size:           4
        .value_kind:     hidden_dynamic_lds_size
    .group_segment_fixed_size: 0
    .kernarg_segment_align: 8
    .kernarg_segment_size: 320
    .language:       OpenCL C
    .language_version:
      - 2
      - 0
    .max_flat_workgroup_size: 1024
    .name:           _ZN9rocsolver6v33100L17syevj_diag_rotateILb0EffPfEEvbiiT2_iilPT0_Pii
    .private_segment_fixed_size: 64
    .sgpr_count:     62
    .sgpr_spill_count: 0
    .symbol:         _ZN9rocsolver6v33100L17syevj_diag_rotateILb0EffPfEEvbiiT2_iilPT0_Pii.kd
    .uniform_work_group_size: 1
    .uses_dynamic_stack: false
    .vgpr_count:     49
    .vgpr_spill_count: 0
    .wavefront_size: 32
  - .args:
      - .offset:         0
        .size:           1
        .value_kind:     by_value
      - .offset:         4
        .size:           4
        .value_kind:     by_value
      - .offset:         8
        .size:           4
        .value_kind:     by_value
      - .address_space:  global
        .offset:         16
        .size:           8
        .value_kind:     global_buffer
      - .offset:         24
        .size:           4
        .value_kind:     by_value
      - .offset:         28
        .size:           4
        .value_kind:     by_value
      - .offset:         32
        .size:           8
        .value_kind:     by_value
      - .address_space:  global
        .offset:         40
        .size:           8
        .value_kind:     global_buffer
      - .address_space:  global
        .offset:         48
        .size:           8
        .value_kind:     global_buffer
      - .offset:         56
        .size:           4
        .value_kind:     by_value
      - .offset:         64
        .size:           4
        .value_kind:     hidden_block_count_x
      - .offset:         68
        .size:           4
        .value_kind:     hidden_block_count_y
      - .offset:         72
        .size:           4
        .value_kind:     hidden_block_count_z
      - .offset:         76
        .size:           2
        .value_kind:     hidden_group_size_x
      - .offset:         78
        .size:           2
        .value_kind:     hidden_group_size_y
      - .offset:         80
        .size:           2
        .value_kind:     hidden_group_size_z
      - .offset:         82
        .size:           2
        .value_kind:     hidden_remainder_x
      - .offset:         84
        .size:           2
        .value_kind:     hidden_remainder_y
      - .offset:         86
        .size:           2
        .value_kind:     hidden_remainder_z
      - .offset:         104
        .size:           8
        .value_kind:     hidden_global_offset_x
      - .offset:         112
        .size:           8
        .value_kind:     hidden_global_offset_y
      - .offset:         120
        .size:           8
        .value_kind:     hidden_global_offset_z
      - .offset:         128
        .size:           2
        .value_kind:     hidden_grid_dims
      - .offset:         144
        .size:           8
        .value_kind:     hidden_hostcall_buffer
      - .offset:         184
        .size:           4
        .value_kind:     hidden_dynamic_lds_size
    .group_segment_fixed_size: 0
    .kernarg_segment_align: 8
    .kernarg_segment_size: 320
    .language:       OpenCL C
    .language_version:
      - 2
      - 0
    .max_flat_workgroup_size: 1024
    .name:           _ZN9rocsolver6v33100L17syevj_diag_rotateILb1EffPfEEvbiiT2_iilPT0_Pii
    .private_segment_fixed_size: 64
    .sgpr_count:     60
    .sgpr_spill_count: 0
    .symbol:         _ZN9rocsolver6v33100L17syevj_diag_rotateILb1EffPfEEvbiiT2_iilPT0_Pii.kd
    .uniform_work_group_size: 1
    .uses_dynamic_stack: false
    .vgpr_count:     49
    .vgpr_spill_count: 0
    .wavefront_size: 32
  - .args:
      - .offset:         0
        .size:           4
        .value_kind:     by_value
      - .offset:         4
        .size:           4
        .value_kind:     by_value
      - .address_space:  global
        .offset:         8
        .size:           8
        .value_kind:     global_buffer
      - .offset:         16
        .size:           4
        .value_kind:     by_value
      - .offset:         20
        .size:           4
        .value_kind:     by_value
      - .offset:         24
        .size:           8
        .value_kind:     by_value
      - .offset:         32
        .size:           4
        .value_kind:     by_value
      - .address_space:  global
        .offset:         40
        .size:           8
        .value_kind:     global_buffer
      - .address_space:  global
        .offset:         48
        .size:           8
        .value_kind:     global_buffer
      - .address_space:  global
        .offset:         56
        .size:           8
        .value_kind:     global_buffer
      - .address_space:  global
        .offset:         64
        .size:           8
        .value_kind:     global_buffer
      - .offset:         72
        .size:           4
        .value_kind:     hidden_block_count_x
      - .offset:         76
        .size:           4
        .value_kind:     hidden_block_count_y
      - .offset:         80
        .size:           4
        .value_kind:     hidden_block_count_z
      - .offset:         84
        .size:           2
        .value_kind:     hidden_group_size_x
      - .offset:         86
        .size:           2
        .value_kind:     hidden_group_size_y
      - .offset:         88
        .size:           2
        .value_kind:     hidden_group_size_z
      - .offset:         90
        .size:           2
        .value_kind:     hidden_remainder_x
      - .offset:         92
        .size:           2
        .value_kind:     hidden_remainder_y
      - .offset:         94
        .size:           2
        .value_kind:     hidden_remainder_z
      - .offset:         112
        .size:           8
        .value_kind:     hidden_global_offset_x
      - .offset:         120
        .size:           8
        .value_kind:     hidden_global_offset_y
      - .offset:         128
        .size:           8
        .value_kind:     hidden_global_offset_z
      - .offset:         136
        .size:           2
        .value_kind:     hidden_grid_dims
      - .offset:         192
        .size:           4
        .value_kind:     hidden_dynamic_lds_size
    .group_segment_fixed_size: 0
    .kernarg_segment_align: 8
    .kernarg_segment_size: 328
    .language:       OpenCL C
    .language_version:
      - 2
      - 0
    .max_flat_workgroup_size: 1024
    .name:           _ZN9rocsolver6v33100L21syevj_offd_kernel_orgIffPfEEviiT1_iilT0_PT_PiS7_S7_
    .private_segment_fixed_size: 0
    .sgpr_count:     26
    .sgpr_spill_count: 0
    .symbol:         _ZN9rocsolver6v33100L21syevj_offd_kernel_orgIffPfEEviiT1_iilT0_PT_PiS7_S7_.kd
    .uniform_work_group_size: 1
    .uses_dynamic_stack: false
    .vgpr_count:     41
    .vgpr_spill_count: 0
    .wavefront_size: 32
  - .args:
      - .offset:         0
        .size:           4
        .value_kind:     by_value
      - .offset:         4
        .size:           4
        .value_kind:     by_value
      - .address_space:  global
        .offset:         8
        .size:           8
        .value_kind:     global_buffer
      - .offset:         16
        .size:           4
        .value_kind:     by_value
      - .offset:         20
        .size:           4
        .value_kind:     by_value
      - .offset:         24
        .size:           8
        .value_kind:     by_value
      - .offset:         32
        .size:           4
        .value_kind:     by_value
      - .address_space:  global
        .offset:         40
        .size:           8
        .value_kind:     global_buffer
      - .address_space:  global
        .offset:         48
        .size:           8
        .value_kind:     global_buffer
      - .address_space:  global
        .offset:         56
        .size:           8
        .value_kind:     global_buffer
      - .address_space:  global
        .offset:         64
        .size:           8
        .value_kind:     global_buffer
      - .offset:         72
        .size:           4
        .value_kind:     by_value
      - .offset:         80
        .size:           4
        .value_kind:     hidden_block_count_x
      - .offset:         84
        .size:           4
        .value_kind:     hidden_block_count_y
      - .offset:         88
        .size:           4
        .value_kind:     hidden_block_count_z
      - .offset:         92
        .size:           2
        .value_kind:     hidden_group_size_x
      - .offset:         94
        .size:           2
        .value_kind:     hidden_group_size_y
      - .offset:         96
        .size:           2
        .value_kind:     hidden_group_size_z
      - .offset:         98
        .size:           2
        .value_kind:     hidden_remainder_x
      - .offset:         100
        .size:           2
        .value_kind:     hidden_remainder_y
      - .offset:         102
        .size:           2
        .value_kind:     hidden_remainder_z
      - .offset:         120
        .size:           8
        .value_kind:     hidden_global_offset_x
      - .offset:         128
        .size:           8
        .value_kind:     hidden_global_offset_y
      - .offset:         136
        .size:           8
        .value_kind:     hidden_global_offset_z
      - .offset:         144
        .size:           2
        .value_kind:     hidden_grid_dims
      - .offset:         200
        .size:           4
        .value_kind:     hidden_dynamic_lds_size
    .group_segment_fixed_size: 0
    .kernarg_segment_align: 8
    .kernarg_segment_size: 336
    .language:       OpenCL C
    .language_version:
      - 2
      - 0
    .max_flat_workgroup_size: 1024
    .name:           _ZN9rocsolver6v33100L17syevj_offd_kernelIffPfEEviiT1_iilT0_PT_PiS7_S7_i
    .private_segment_fixed_size: 0
    .sgpr_count:     69
    .sgpr_spill_count: 0
    .symbol:         _ZN9rocsolver6v33100L17syevj_offd_kernelIffPfEEviiT1_iilT0_PT_PiS7_S7_i.kd
    .uniform_work_group_size: 1
    .uses_dynamic_stack: false
    .vgpr_count:     37
    .vgpr_spill_count: 0
    .wavefront_size: 32
  - .args:
      - .offset:         0
        .size:           1
        .value_kind:     by_value
      - .offset:         4
        .size:           4
        .value_kind:     by_value
      - .offset:         8
        .size:           4
        .value_kind:     by_value
      - .address_space:  global
        .offset:         16
        .size:           8
        .value_kind:     global_buffer
      - .offset:         24
        .size:           4
        .value_kind:     by_value
      - .offset:         28
        .size:           4
        .value_kind:     by_value
      - .offset:         32
        .size:           8
        .value_kind:     by_value
      - .address_space:  global
        .offset:         40
        .size:           8
        .value_kind:     global_buffer
      - .address_space:  global
        .offset:         48
        .size:           8
        .value_kind:     global_buffer
      - .address_space:  global
        .offset:         56
        .size:           8
        .value_kind:     global_buffer
      - .address_space:  global
        .offset:         64
        .size:           8
        .value_kind:     global_buffer
      - .offset:         72
        .size:           4
        .value_kind:     hidden_block_count_x
      - .offset:         76
        .size:           4
        .value_kind:     hidden_block_count_y
      - .offset:         80
        .size:           4
        .value_kind:     hidden_block_count_z
      - .offset:         84
        .size:           2
        .value_kind:     hidden_group_size_x
      - .offset:         86
        .size:           2
        .value_kind:     hidden_group_size_y
      - .offset:         88
        .size:           2
        .value_kind:     hidden_group_size_z
      - .offset:         90
        .size:           2
        .value_kind:     hidden_remainder_x
      - .offset:         92
        .size:           2
        .value_kind:     hidden_remainder_y
      - .offset:         94
        .size:           2
        .value_kind:     hidden_remainder_z
      - .offset:         112
        .size:           8
        .value_kind:     hidden_global_offset_x
      - .offset:         120
        .size:           8
        .value_kind:     hidden_global_offset_y
      - .offset:         128
        .size:           8
        .value_kind:     hidden_global_offset_z
      - .offset:         136
        .size:           2
        .value_kind:     hidden_grid_dims
    .group_segment_fixed_size: 0
    .kernarg_segment_align: 8
    .kernarg_segment_size: 328
    .language:       OpenCL C
    .language_version:
      - 2
      - 0
    .max_flat_workgroup_size: 1024
    .name:           _ZN9rocsolver6v33100L21syevj_offd_rotate_orgILb0EffPfEEvbiiT2_iilPT0_PiS6_S6_
    .private_segment_fixed_size: 0
    .sgpr_count:     24
    .sgpr_spill_count: 0
    .symbol:         _ZN9rocsolver6v33100L21syevj_offd_rotate_orgILb0EffPfEEvbiiT2_iilPT0_PiS6_S6_.kd
    .uniform_work_group_size: 1
    .uses_dynamic_stack: false
    .vgpr_count:     9
    .vgpr_spill_count: 0
    .wavefront_size: 32
  - .args:
      - .offset:         0
        .size:           1
        .value_kind:     by_value
      - .offset:         4
        .size:           4
        .value_kind:     by_value
      - .offset:         8
        .size:           4
        .value_kind:     by_value
      - .address_space:  global
        .offset:         16
        .size:           8
        .value_kind:     global_buffer
      - .offset:         24
        .size:           4
        .value_kind:     by_value
      - .offset:         28
        .size:           4
        .value_kind:     by_value
      - .offset:         32
        .size:           8
        .value_kind:     by_value
      - .address_space:  global
        .offset:         40
        .size:           8
        .value_kind:     global_buffer
      - .address_space:  global
        .offset:         48
        .size:           8
        .value_kind:     global_buffer
      - .address_space:  global
        .offset:         56
        .size:           8
        .value_kind:     global_buffer
      - .address_space:  global
        .offset:         64
        .size:           8
        .value_kind:     global_buffer
      - .offset:         72
        .size:           4
        .value_kind:     by_value
      - .offset:         80
        .size:           4
        .value_kind:     hidden_block_count_x
      - .offset:         84
        .size:           4
        .value_kind:     hidden_block_count_y
      - .offset:         88
        .size:           4
        .value_kind:     hidden_block_count_z
      - .offset:         92
        .size:           2
        .value_kind:     hidden_group_size_x
      - .offset:         94
        .size:           2
        .value_kind:     hidden_group_size_y
      - .offset:         96
        .size:           2
        .value_kind:     hidden_group_size_z
      - .offset:         98
        .size:           2
        .value_kind:     hidden_remainder_x
      - .offset:         100
        .size:           2
        .value_kind:     hidden_remainder_y
      - .offset:         102
        .size:           2
        .value_kind:     hidden_remainder_z
      - .offset:         120
        .size:           8
        .value_kind:     hidden_global_offset_x
      - .offset:         128
        .size:           8
        .value_kind:     hidden_global_offset_y
      - .offset:         136
        .size:           8
        .value_kind:     hidden_global_offset_z
      - .offset:         144
        .size:           2
        .value_kind:     hidden_grid_dims
      - .offset:         200
        .size:           4
        .value_kind:     hidden_dynamic_lds_size
    .group_segment_fixed_size: 0
    .kernarg_segment_align: 8
    .kernarg_segment_size: 336
    .language:       OpenCL C
    .language_version:
      - 2
      - 0
    .max_flat_workgroup_size: 1024
    .name:           _ZN9rocsolver6v33100L17syevj_offd_rotateILb0EffPfEEvbiiT2_iilPT0_PiS6_S6_i
    .private_segment_fixed_size: 0
    .sgpr_count:     72
    .sgpr_spill_count: 0
    .symbol:         _ZN9rocsolver6v33100L17syevj_offd_rotateILb0EffPfEEvbiiT2_iilPT0_PiS6_S6_i.kd
    .uniform_work_group_size: 1
    .uses_dynamic_stack: false
    .vgpr_count:     18
    .vgpr_spill_count: 0
    .wavefront_size: 32
  - .args:
      - .offset:         0
        .size:           1
        .value_kind:     by_value
      - .offset:         4
        .size:           4
        .value_kind:     by_value
      - .offset:         8
        .size:           4
        .value_kind:     by_value
      - .address_space:  global
        .offset:         16
        .size:           8
        .value_kind:     global_buffer
      - .offset:         24
        .size:           4
        .value_kind:     by_value
      - .offset:         28
        .size:           4
        .value_kind:     by_value
      - .offset:         32
        .size:           8
        .value_kind:     by_value
      - .address_space:  global
        .offset:         40
        .size:           8
        .value_kind:     global_buffer
      - .address_space:  global
        .offset:         48
        .size:           8
        .value_kind:     global_buffer
      - .address_space:  global
        .offset:         56
        .size:           8
        .value_kind:     global_buffer
      - .address_space:  global
        .offset:         64
        .size:           8
        .value_kind:     global_buffer
      - .offset:         72
        .size:           4
        .value_kind:     hidden_block_count_x
      - .offset:         76
        .size:           4
        .value_kind:     hidden_block_count_y
      - .offset:         80
        .size:           4
        .value_kind:     hidden_block_count_z
      - .offset:         84
        .size:           2
        .value_kind:     hidden_group_size_x
      - .offset:         86
        .size:           2
        .value_kind:     hidden_group_size_y
      - .offset:         88
        .size:           2
        .value_kind:     hidden_group_size_z
      - .offset:         90
        .size:           2
        .value_kind:     hidden_remainder_x
      - .offset:         92
        .size:           2
        .value_kind:     hidden_remainder_y
      - .offset:         94
        .size:           2
        .value_kind:     hidden_remainder_z
      - .offset:         112
        .size:           8
        .value_kind:     hidden_global_offset_x
      - .offset:         120
        .size:           8
        .value_kind:     hidden_global_offset_y
      - .offset:         128
        .size:           8
        .value_kind:     hidden_global_offset_z
      - .offset:         136
        .size:           2
        .value_kind:     hidden_grid_dims
    .group_segment_fixed_size: 0
    .kernarg_segment_align: 8
    .kernarg_segment_size: 328
    .language:       OpenCL C
    .language_version:
      - 2
      - 0
    .max_flat_workgroup_size: 1024
    .name:           _ZN9rocsolver6v33100L21syevj_offd_rotate_orgILb1EffPfEEvbiiT2_iilPT0_PiS6_S6_
    .private_segment_fixed_size: 0
    .sgpr_count:     22
    .sgpr_spill_count: 0
    .symbol:         _ZN9rocsolver6v33100L21syevj_offd_rotate_orgILb1EffPfEEvbiiT2_iilPT0_PiS6_S6_.kd
    .uniform_work_group_size: 1
    .uses_dynamic_stack: false
    .vgpr_count:     9
    .vgpr_spill_count: 0
    .wavefront_size: 32
  - .args:
      - .offset:         0
        .size:           1
        .value_kind:     by_value
      - .offset:         4
        .size:           4
        .value_kind:     by_value
      - .offset:         8
        .size:           4
        .value_kind:     by_value
      - .address_space:  global
        .offset:         16
        .size:           8
        .value_kind:     global_buffer
      - .offset:         24
        .size:           4
        .value_kind:     by_value
      - .offset:         28
        .size:           4
        .value_kind:     by_value
      - .offset:         32
        .size:           8
        .value_kind:     by_value
      - .address_space:  global
        .offset:         40
        .size:           8
        .value_kind:     global_buffer
      - .address_space:  global
        .offset:         48
        .size:           8
        .value_kind:     global_buffer
      - .address_space:  global
        .offset:         56
        .size:           8
        .value_kind:     global_buffer
      - .address_space:  global
        .offset:         64
        .size:           8
        .value_kind:     global_buffer
      - .offset:         72
        .size:           4
        .value_kind:     by_value
      - .offset:         80
        .size:           4
        .value_kind:     hidden_block_count_x
      - .offset:         84
        .size:           4
        .value_kind:     hidden_block_count_y
      - .offset:         88
        .size:           4
        .value_kind:     hidden_block_count_z
      - .offset:         92
        .size:           2
        .value_kind:     hidden_group_size_x
      - .offset:         94
        .size:           2
        .value_kind:     hidden_group_size_y
      - .offset:         96
        .size:           2
        .value_kind:     hidden_group_size_z
      - .offset:         98
        .size:           2
        .value_kind:     hidden_remainder_x
      - .offset:         100
        .size:           2
        .value_kind:     hidden_remainder_y
      - .offset:         102
        .size:           2
        .value_kind:     hidden_remainder_z
      - .offset:         120
        .size:           8
        .value_kind:     hidden_global_offset_x
      - .offset:         128
        .size:           8
        .value_kind:     hidden_global_offset_y
      - .offset:         136
        .size:           8
        .value_kind:     hidden_global_offset_z
      - .offset:         144
        .size:           2
        .value_kind:     hidden_grid_dims
      - .offset:         200
        .size:           4
        .value_kind:     hidden_dynamic_lds_size
    .group_segment_fixed_size: 0
    .kernarg_segment_align: 8
    .kernarg_segment_size: 336
    .language:       OpenCL C
    .language_version:
      - 2
      - 0
    .max_flat_workgroup_size: 1024
    .name:           _ZN9rocsolver6v33100L17syevj_offd_rotateILb1EffPfEEvbiiT2_iilPT0_PiS6_S6_i
    .private_segment_fixed_size: 0
    .sgpr_count:     68
    .sgpr_spill_count: 0
    .symbol:         _ZN9rocsolver6v33100L17syevj_offd_rotateILb1EffPfEEvbiiT2_iilPT0_PiS6_S6_i.kd
    .uniform_work_group_size: 1
    .uses_dynamic_stack: false
    .vgpr_count:     20
    .vgpr_spill_count: 0
    .wavefront_size: 32
  - .args:
      - .offset:         0
        .size:           4
        .value_kind:     by_value
      - .address_space:  global
        .offset:         8
        .size:           8
        .value_kind:     global_buffer
      - .address_space:  global
        .offset:         16
        .size:           8
        .value_kind:     global_buffer
      - .offset:         24
        .size:           4
        .value_kind:     hidden_block_count_x
      - .offset:         28
        .size:           4
        .value_kind:     hidden_block_count_y
      - .offset:         32
        .size:           4
        .value_kind:     hidden_block_count_z
      - .offset:         36
        .size:           2
        .value_kind:     hidden_group_size_x
      - .offset:         38
        .size:           2
        .value_kind:     hidden_group_size_y
      - .offset:         40
        .size:           2
        .value_kind:     hidden_group_size_z
      - .offset:         42
        .size:           2
        .value_kind:     hidden_remainder_x
      - .offset:         44
        .size:           2
        .value_kind:     hidden_remainder_y
      - .offset:         46
        .size:           2
        .value_kind:     hidden_remainder_z
      - .offset:         64
        .size:           8
        .value_kind:     hidden_global_offset_x
      - .offset:         72
        .size:           8
        .value_kind:     hidden_global_offset_y
      - .offset:         80
        .size:           8
        .value_kind:     hidden_global_offset_z
      - .offset:         88
        .size:           2
        .value_kind:     hidden_grid_dims
    .group_segment_fixed_size: 0
    .kernarg_segment_align: 8
    .kernarg_segment_size: 280
    .language:       OpenCL C
    .language_version:
      - 2
      - 0
    .max_flat_workgroup_size: 1024
    .name:           _ZN9rocsolver6v33100L17syevj_cycle_pairsIfEEviPiS2_
    .private_segment_fixed_size: 0
    .sgpr_count:     18
    .sgpr_spill_count: 0
    .symbol:         _ZN9rocsolver6v33100L17syevj_cycle_pairsIfEEviPiS2_.kd
    .uniform_work_group_size: 1
    .uses_dynamic_stack: false
    .vgpr_count:     10
    .vgpr_spill_count: 0
    .wavefront_size: 32
  - .args:
      - .offset:         0
        .size:           4
        .value_kind:     by_value
      - .offset:         4
        .size:           4
        .value_kind:     by_value
      - .address_space:  global
        .offset:         8
        .size:           8
        .value_kind:     global_buffer
      - .address_space:  global
        .offset:         16
        .size:           8
        .value_kind:     global_buffer
      - .address_space:  global
        .offset:         24
        .size:           8
        .value_kind:     global_buffer
      - .address_space:  global
        .offset:         32
        .size:           8
        .value_kind:     global_buffer
      - .offset:         40
        .size:           4
        .value_kind:     hidden_block_count_x
      - .offset:         44
        .size:           4
        .value_kind:     hidden_block_count_y
      - .offset:         48
        .size:           4
        .value_kind:     hidden_block_count_z
      - .offset:         52
        .size:           2
        .value_kind:     hidden_group_size_x
      - .offset:         54
        .size:           2
        .value_kind:     hidden_group_size_y
      - .offset:         56
        .size:           2
        .value_kind:     hidden_group_size_z
      - .offset:         58
        .size:           2
        .value_kind:     hidden_remainder_x
      - .offset:         60
        .size:           2
        .value_kind:     hidden_remainder_y
      - .offset:         62
        .size:           2
        .value_kind:     hidden_remainder_z
      - .offset:         80
        .size:           8
        .value_kind:     hidden_global_offset_x
      - .offset:         88
        .size:           8
        .value_kind:     hidden_global_offset_y
      - .offset:         96
        .size:           8
        .value_kind:     hidden_global_offset_z
      - .offset:         104
        .size:           2
        .value_kind:     hidden_grid_dims
      - .offset:         160
        .size:           4
        .value_kind:     hidden_dynamic_lds_size
    .group_segment_fixed_size: 0
    .kernarg_segment_align: 8
    .kernarg_segment_size: 296
    .language:       OpenCL C
    .language_version:
      - 2
      - 0
    .max_flat_workgroup_size: 1024
    .name:           _ZN9rocsolver6v33100L15syevj_calc_normIffEEviiPT0_PT_S3_Pi
    .private_segment_fixed_size: 0
    .sgpr_count:     23
    .sgpr_spill_count: 0
    .symbol:         _ZN9rocsolver6v33100L15syevj_calc_normIffEEviiPT0_PT_S3_Pi.kd
    .uniform_work_group_size: 1
    .uses_dynamic_stack: false
    .vgpr_count:     10
    .vgpr_spill_count: 0
    .wavefront_size: 32
  - .args:
      - .offset:         0
        .size:           4
        .value_kind:     by_value
      - .offset:         4
        .size:           4
        .value_kind:     by_value
      - .offset:         8
        .size:           4
        .value_kind:     by_value
      - .address_space:  global
        .offset:         16
        .size:           8
        .value_kind:     global_buffer
      - .offset:         24
        .size:           4
        .value_kind:     by_value
      - .offset:         28
        .size:           4
        .value_kind:     by_value
      - .offset:         32
        .size:           8
        .value_kind:     by_value
      - .address_space:  global
        .offset:         40
        .size:           8
        .value_kind:     global_buffer
      - .offset:         48
        .size:           4
        .value_kind:     by_value
      - .address_space:  global
        .offset:         56
        .size:           8
        .value_kind:     global_buffer
      - .address_space:  global
        .offset:         64
        .size:           8
        .value_kind:     global_buffer
      - .offset:         72
        .size:           8
        .value_kind:     by_value
      - .address_space:  global
        .offset:         80
        .size:           8
        .value_kind:     global_buffer
      - .address_space:  global
        .offset:         88
        .size:           8
        .value_kind:     global_buffer
      - .address_space:  global
        .offset:         96
        .size:           8
        .value_kind:     global_buffer
      - .offset:         104
        .size:           4
        .value_kind:     hidden_block_count_x
      - .offset:         108
        .size:           4
        .value_kind:     hidden_block_count_y
      - .offset:         112
        .size:           4
        .value_kind:     hidden_block_count_z
      - .offset:         116
        .size:           2
        .value_kind:     hidden_group_size_x
      - .offset:         118
        .size:           2
        .value_kind:     hidden_group_size_y
      - .offset:         120
        .size:           2
        .value_kind:     hidden_group_size_z
      - .offset:         122
        .size:           2
        .value_kind:     hidden_remainder_x
      - .offset:         124
        .size:           2
        .value_kind:     hidden_remainder_y
      - .offset:         126
        .size:           2
        .value_kind:     hidden_remainder_z
      - .offset:         144
        .size:           8
        .value_kind:     hidden_global_offset_x
      - .offset:         152
        .size:           8
        .value_kind:     hidden_global_offset_y
      - .offset:         160
        .size:           8
        .value_kind:     hidden_global_offset_z
      - .offset:         168
        .size:           2
        .value_kind:     hidden_grid_dims
    .group_segment_fixed_size: 0
    .kernarg_segment_align: 8
    .kernarg_segment_size: 360
    .language:       OpenCL C
    .language_version:
      - 2
      - 0
    .max_flat_workgroup_size: 1024
    .name:           _ZN9rocsolver6v33100L14syevj_finalizeIffPfEEv14rocblas_esort_14rocblas_evect_iT1_iilPT0_iPiS7_lS8_PT_S8_
    .private_segment_fixed_size: 0
    .sgpr_count:     32
    .sgpr_spill_count: 0
    .symbol:         _ZN9rocsolver6v33100L14syevj_finalizeIffPfEEv14rocblas_esort_14rocblas_evect_iT1_iilPT0_iPiS7_lS8_PT_S8_.kd
    .uniform_work_group_size: 1
    .uses_dynamic_stack: false
    .vgpr_count:     8
    .vgpr_spill_count: 0
    .wavefront_size: 32
  - .args:
      - .offset:         0
        .size:           4
        .value_kind:     by_value
      - .offset:         4
        .size:           4
        .value_kind:     by_value
      - .address_space:  global
        .offset:         8
        .size:           8
        .value_kind:     global_buffer
      - .offset:         16
        .size:           8
        .value_kind:     by_value
      - .offset:         24
        .size:           4
        .value_kind:     by_value
      - .offset:         32
        .size:           8
        .value_kind:     by_value
      - .address_space:  global
        .offset:         40
        .size:           8
        .value_kind:     global_buffer
      - .offset:         48
        .size:           8
        .value_kind:     by_value
      - .address_space:  global
        .offset:         56
        .size:           8
        .value_kind:     global_buffer
      - .offset:         64
        .size:           8
        .value_kind:     by_value
    .group_segment_fixed_size: 0
    .kernarg_segment_align: 8
    .kernarg_segment_size: 72
    .language:       OpenCL C
    .language_version:
      - 2
      - 0
    .max_flat_workgroup_size: 256
    .name:           _ZN9rocsolver6v33100L18geqr2_kernel_smallILi256EfifPfEEvT1_S3_T3_lS3_lPT2_lPT0_l
    .private_segment_fixed_size: 0
    .sgpr_count:     38
    .sgpr_spill_count: 0
    .symbol:         _ZN9rocsolver6v33100L18geqr2_kernel_smallILi256EfifPfEEvT1_S3_T3_lS3_lPT2_lPT0_l.kd
    .uniform_work_group_size: 1
    .uses_dynamic_stack: false
    .vgpr_count:     27
    .vgpr_spill_count: 0
    .wavefront_size: 32
  - .args:
      - .address_space:  global
        .offset:         0
        .size:           8
        .value_kind:     global_buffer
      - .offset:         8
        .size:           8
        .value_kind:     by_value
      - .offset:         16
        .size:           4
        .value_kind:     by_value
      - .offset:         20
        .size:           4
        .value_kind:     by_value
      - .offset:         24
        .size:           4
        .value_kind:     hidden_block_count_x
      - .offset:         28
        .size:           4
        .value_kind:     hidden_block_count_y
      - .offset:         32
        .size:           4
        .value_kind:     hidden_block_count_z
      - .offset:         36
        .size:           2
        .value_kind:     hidden_group_size_x
      - .offset:         38
        .size:           2
        .value_kind:     hidden_group_size_y
      - .offset:         40
        .size:           2
        .value_kind:     hidden_group_size_z
      - .offset:         42
        .size:           2
        .value_kind:     hidden_remainder_x
      - .offset:         44
        .size:           2
        .value_kind:     hidden_remainder_y
      - .offset:         46
        .size:           2
        .value_kind:     hidden_remainder_z
      - .offset:         64
        .size:           8
        .value_kind:     hidden_global_offset_x
      - .offset:         72
        .size:           8
        .value_kind:     hidden_global_offset_y
      - .offset:         80
        .size:           8
        .value_kind:     hidden_global_offset_z
      - .offset:         88
        .size:           2
        .value_kind:     hidden_grid_dims
    .group_segment_fixed_size: 0
    .kernarg_segment_align: 8
    .kernarg_segment_size: 280
    .language:       OpenCL C
    .language_version:
      - 2
      - 0
    .max_flat_workgroup_size: 1024
    .name:           _ZN9rocsolver6v33100L16reset_batch_infoIfiiPfEEvT2_lT0_T1_
    .private_segment_fixed_size: 0
    .sgpr_count:     14
    .sgpr_spill_count: 0
    .symbol:         _ZN9rocsolver6v33100L16reset_batch_infoIfiiPfEEvT2_lT0_T1_.kd
    .uniform_work_group_size: 1
    .uses_dynamic_stack: false
    .vgpr_count:     2
    .vgpr_spill_count: 0
    .wavefront_size: 32
  - .args:
      - .address_space:  global
        .offset:         0
        .size:           8
        .value_kind:     global_buffer
      - .offset:         8
        .size:           8
        .value_kind:     by_value
      - .offset:         16
        .size:           8
        .value_kind:     by_value
      - .address_space:  global
        .offset:         24
        .size:           8
        .value_kind:     global_buffer
      - .offset:         32
        .size:           8
        .value_kind:     by_value
      - .offset:         40
        .size:           4
        .value_kind:     by_value
      - .offset:         48
        .size:           8
        .value_kind:     by_value
      - .offset:         56
        .size:           4
        .value_kind:     by_value
      - .offset:         60
        .size:           1
        .value_kind:     by_value
      - .offset:         64
        .size:           4
        .value_kind:     hidden_block_count_x
      - .offset:         68
        .size:           4
        .value_kind:     hidden_block_count_y
      - .offset:         72
        .size:           4
        .value_kind:     hidden_block_count_z
      - .offset:         76
        .size:           2
        .value_kind:     hidden_group_size_x
      - .offset:         78
        .size:           2
        .value_kind:     hidden_group_size_y
      - .offset:         80
        .size:           2
        .value_kind:     hidden_group_size_z
      - .offset:         82
        .size:           2
        .value_kind:     hidden_remainder_x
      - .offset:         84
        .size:           2
        .value_kind:     hidden_remainder_y
      - .offset:         86
        .size:           2
        .value_kind:     hidden_remainder_z
      - .offset:         104
        .size:           8
        .value_kind:     hidden_global_offset_x
      - .offset:         112
        .size:           8
        .value_kind:     hidden_global_offset_y
      - .offset:         120
        .size:           8
        .value_kind:     hidden_global_offset_z
      - .offset:         128
        .size:           2
        .value_kind:     hidden_grid_dims
    .group_segment_fixed_size: 0
    .kernarg_segment_align: 8
    .kernarg_segment_size: 320
    .language:       OpenCL C
    .language_version:
      - 2
      - 0
    .max_flat_workgroup_size: 1024
    .name:           _ZN9rocsolver6v33100L8set_diagIfifPfTnNSt9enable_ifIXoont18rocblas_is_complexIT_E18rocblas_is_complexIT1_EEiE4typeELi0EEEvPS5_llT2_lT0_lSA_b
    .private_segment_fixed_size: 0
    .sgpr_count:     22
    .sgpr_spill_count: 0
    .symbol:         _ZN9rocsolver6v33100L8set_diagIfifPfTnNSt9enable_ifIXoont18rocblas_is_complexIT_E18rocblas_is_complexIT1_EEiE4typeELi0EEEvPS5_llT2_lT0_lSA_b.kd
    .uniform_work_group_size: 1
    .uses_dynamic_stack: false
    .vgpr_count:     4
    .vgpr_spill_count: 0
    .wavefront_size: 32
  - .args:
      - .address_space:  global
        .offset:         0
        .size:           8
        .value_kind:     global_buffer
      - .offset:         8
        .size:           8
        .value_kind:     by_value
      - .address_space:  global
        .offset:         16
        .size:           8
        .value_kind:     global_buffer
      - .address_space:  global
        .offset:         24
        .size:           8
        .value_kind:     global_buffer
      - .offset:         32
        .size:           8
        .value_kind:     by_value
      - .offset:         40
        .size:           8
        .value_kind:     by_value
      - .address_space:  global
        .offset:         48
        .size:           8
        .value_kind:     global_buffer
      - .offset:         56
        .size:           8
        .value_kind:     by_value
      - .offset:         64
        .size:           8
        .value_kind:     by_value
    .group_segment_fixed_size: 0
    .kernarg_segment_align: 8
    .kernarg_segment_size: 72
    .language:       OpenCL C
    .language_version:
      - 2
      - 0
    .max_flat_workgroup_size: 1024
    .name:           _ZN9rocsolver6v33100L11set_taubetaIfifPfEEvPT_lS4_T2_llPT1_ll
    .private_segment_fixed_size: 0
    .sgpr_count:     25
    .sgpr_spill_count: 0
    .symbol:         _ZN9rocsolver6v33100L11set_taubetaIfifPfEEvPT_lS4_T2_llPT1_ll.kd
    .uniform_work_group_size: 1
    .uses_dynamic_stack: false
    .vgpr_count:     8
    .vgpr_spill_count: 0
    .wavefront_size: 32
  - .args:
      - .offset:         0
        .size:           4
        .value_kind:     by_value
      - .offset:         4
        .size:           4
        .value_kind:     by_value
      - .address_space:  global
        .offset:         8
        .size:           8
        .value_kind:     global_buffer
      - .offset:         16
        .size:           8
        .value_kind:     by_value
      - .offset:         24
        .size:           4
        .value_kind:     by_value
      - .offset:         32
        .size:           8
        .value_kind:     by_value
    .group_segment_fixed_size: 0
    .kernarg_segment_align: 8
    .kernarg_segment_size: 40
    .language:       OpenCL C
    .language_version:
      - 2
      - 0
    .max_flat_workgroup_size: 1024
    .name:           _ZN9rocsolver6v33100L13conj_in_placeIfiPfTnNSt9enable_ifIXnt18rocblas_is_complexIT_EEiE4typeELi0EEEvT0_S7_T1_lS7_l
    .private_segment_fixed_size: 0
    .sgpr_count:     0
    .sgpr_spill_count: 0
    .symbol:         _ZN9rocsolver6v33100L13conj_in_placeIfiPfTnNSt9enable_ifIXnt18rocblas_is_complexIT_EEiE4typeELi0EEEvT0_S7_T1_lS7_l.kd
    .uniform_work_group_size: 1
    .uses_dynamic_stack: false
    .vgpr_count:     0
    .vgpr_spill_count: 0
    .wavefront_size: 32
  - .args:
      - .offset:         0
        .size:           4
        .value_kind:     by_value
      - .offset:         4
        .size:           4
        .value_kind:     by_value
      - .address_space:  global
        .offset:         8
        .size:           8
        .value_kind:     global_buffer
      - .offset:         16
        .size:           8
        .value_kind:     by_value
      - .offset:         24
        .size:           4
        .value_kind:     by_value
      - .offset:         32
        .size:           8
        .value_kind:     by_value
      - .address_space:  global
        .offset:         40
        .size:           8
        .value_kind:     global_buffer
      - .offset:         48
        .size:           8
        .value_kind:     by_value
      - .address_space:  global
        .offset:         56
        .size:           8
        .value_kind:     global_buffer
      - .offset:         64
        .size:           8
        .value_kind:     by_value
      - .offset:         72
        .size:           4
        .value_kind:     by_value
      - .offset:         80
        .size:           8
        .value_kind:     by_value
    .group_segment_fixed_size: 0
    .kernarg_segment_align: 8
    .kernarg_segment_size: 88
    .language:       OpenCL C
    .language_version:
      - 2
      - 0
    .max_flat_workgroup_size: 1024
    .name:           _ZN9rocsolver6v33100L16larf_left_kernelILi1024EfiPfEEvT1_S3_T2_lS3_lPKT0_lS4_lS3_l
    .private_segment_fixed_size: 0
    .sgpr_count:     38
    .sgpr_spill_count: 0
    .symbol:         _ZN9rocsolver6v33100L16larf_left_kernelILi1024EfiPfEEvT1_S3_T2_lS3_lPKT0_lS4_lS3_l.kd
    .uniform_work_group_size: 1
    .uses_dynamic_stack: false
    .vgpr_count:     20
    .vgpr_spill_count: 0
    .wavefront_size: 32
  - .args:
      - .offset:         0
        .size:           4
        .value_kind:     by_value
      - .offset:         4
        .size:           4
        .value_kind:     by_value
      - .address_space:  global
        .offset:         8
        .size:           8
        .value_kind:     global_buffer
      - .offset:         16
        .size:           8
        .value_kind:     by_value
      - .offset:         24
        .size:           4
        .value_kind:     by_value
      - .offset:         32
        .size:           8
        .value_kind:     by_value
      - .address_space:  global
        .offset:         40
        .size:           8
        .value_kind:     global_buffer
      - .offset:         48
        .size:           8
        .value_kind:     by_value
      - .address_space:  global
        .offset:         56
        .size:           8
        .value_kind:     global_buffer
      - .offset:         64
        .size:           8
        .value_kind:     by_value
      - .offset:         72
        .size:           4
        .value_kind:     by_value
      - .offset:         80
        .size:           8
        .value_kind:     by_value
    .group_segment_fixed_size: 0
    .kernarg_segment_align: 8
    .kernarg_segment_size: 88
    .language:       OpenCL C
    .language_version:
      - 2
      - 0
    .max_flat_workgroup_size: 1024
    .name:           _ZN9rocsolver6v33100L17larf_right_kernelILi1024EfiPfEEvT1_S3_T2_lS3_lPKT0_lS4_lS3_l
    .private_segment_fixed_size: 0
    .sgpr_count:     38
    .sgpr_spill_count: 0
    .symbol:         _ZN9rocsolver6v33100L17larf_right_kernelILi1024EfiPfEEvT1_S3_T2_lS3_lPKT0_lS4_lS3_l.kd
    .uniform_work_group_size: 1
    .uses_dynamic_stack: false
    .vgpr_count:     16
    .vgpr_spill_count: 0
    .wavefront_size: 32
  - .args:
      - .address_space:  global
        .offset:         0
        .size:           8
        .value_kind:     global_buffer
      - .offset:         8
        .size:           8
        .value_kind:     by_value
      - .offset:         16
        .size:           8
        .value_kind:     by_value
      - .address_space:  global
        .offset:         24
        .size:           8
        .value_kind:     global_buffer
      - .offset:         32
        .size:           8
        .value_kind:     by_value
      - .offset:         40
        .size:           4
        .value_kind:     by_value
      - .offset:         48
        .size:           8
        .value_kind:     by_value
      - .offset:         56
        .size:           4
        .value_kind:     by_value
      - .offset:         64
        .size:           4
        .value_kind:     hidden_block_count_x
      - .offset:         68
        .size:           4
        .value_kind:     hidden_block_count_y
      - .offset:         72
        .size:           4
        .value_kind:     hidden_block_count_z
      - .offset:         76
        .size:           2
        .value_kind:     hidden_group_size_x
      - .offset:         78
        .size:           2
        .value_kind:     hidden_group_size_y
      - .offset:         80
        .size:           2
        .value_kind:     hidden_group_size_z
      - .offset:         82
        .size:           2
        .value_kind:     hidden_remainder_x
      - .offset:         84
        .size:           2
        .value_kind:     hidden_remainder_y
      - .offset:         86
        .size:           2
        .value_kind:     hidden_remainder_z
      - .offset:         104
        .size:           8
        .value_kind:     hidden_global_offset_x
      - .offset:         112
        .size:           8
        .value_kind:     hidden_global_offset_y
      - .offset:         120
        .size:           8
        .value_kind:     hidden_global_offset_z
      - .offset:         128
        .size:           2
        .value_kind:     hidden_grid_dims
    .group_segment_fixed_size: 0
    .kernarg_segment_align: 8
    .kernarg_segment_size: 320
    .language:       OpenCL C
    .language_version:
      - 2
      - 0
    .max_flat_workgroup_size: 1024
    .name:           _ZN9rocsolver6v33100L12restore_diagIfifPfEEvPT1_llT2_lT0_lS6_
    .private_segment_fixed_size: 0
    .sgpr_count:     13
    .sgpr_spill_count: 0
    .symbol:         _ZN9rocsolver6v33100L12restore_diagIfifPfEEvPT1_llT2_lT0_lS6_.kd
    .uniform_work_group_size: 1
    .uses_dynamic_stack: false
    .vgpr_count:     2
    .vgpr_spill_count: 0
    .wavefront_size: 32
  - .args:
      - .offset:         0
        .size:           4
        .value_kind:     by_value
      - .offset:         4
        .size:           4
        .value_kind:     by_value
      - .address_space:  global
        .offset:         8
        .size:           8
        .value_kind:     global_buffer
      - .offset:         16
        .size:           4
        .value_kind:     by_value
      - .offset:         20
        .size:           4
        .value_kind:     by_value
      - .offset:         24
        .size:           8
        .value_kind:     by_value
      - .address_space:  global
        .offset:         32
        .size:           8
        .value_kind:     global_buffer
      - .offset:         40
        .size:           8
        .value_kind:     by_value
      - .address_space:  global
        .offset:         48
        .size:           8
        .value_kind:     global_buffer
      - .offset:         56
        .size:           4
        .value_kind:     by_value
      - .offset:         64
        .size:           8
        .value_kind:     by_value
      - .offset:         72
        .size:           4
        .value_kind:     by_value
      - .offset:         76
        .size:           4
        .value_kind:     by_value
      - .offset:         80
        .size:           1
        .value_kind:     by_value
      - .offset:         88
        .size:           4
        .value_kind:     hidden_block_count_x
      - .offset:         92
        .size:           4
        .value_kind:     hidden_block_count_y
      - .offset:         96
        .size:           4
        .value_kind:     hidden_block_count_z
      - .offset:         100
        .size:           2
        .value_kind:     hidden_group_size_x
      - .offset:         102
        .size:           2
        .value_kind:     hidden_group_size_y
      - .offset:         104
        .size:           2
        .value_kind:     hidden_group_size_z
      - .offset:         106
        .size:           2
        .value_kind:     hidden_remainder_x
      - .offset:         108
        .size:           2
        .value_kind:     hidden_remainder_y
      - .offset:         110
        .size:           2
        .value_kind:     hidden_remainder_z
      - .offset:         128
        .size:           8
        .value_kind:     hidden_global_offset_x
      - .offset:         136
        .size:           8
        .value_kind:     hidden_global_offset_y
      - .offset:         144
        .size:           8
        .value_kind:     hidden_global_offset_z
      - .offset:         152
        .size:           2
        .value_kind:     hidden_grid_dims
    .group_segment_fixed_size: 0
    .kernarg_segment_align: 8
    .kernarg_segment_size: 344
    .language:       OpenCL C
    .language_version:
      - 2
      - 0
    .max_flat_workgroup_size: 1024
    .name:           _ZN9rocsolver6v33100L14set_triangularIfPfTnNSt9enable_ifIXnt18rocblas_is_complexIT_EEiE4typeELi0EEEviiT0_iilPS4_lS8_il15rocblas_direct_15rocblas_storev_b
    .private_segment_fixed_size: 0
    .sgpr_count:     24
    .sgpr_spill_count: 0
    .symbol:         _ZN9rocsolver6v33100L14set_triangularIfPfTnNSt9enable_ifIXnt18rocblas_is_complexIT_EEiE4typeELi0EEEviiT0_iilPS4_lS8_il15rocblas_direct_15rocblas_storev_b.kd
    .uniform_work_group_size: 1
    .uses_dynamic_stack: false
    .vgpr_count:     12
    .vgpr_spill_count: 0
    .wavefront_size: 32
  - .args:
      - .offset:         0
        .size:           4
        .value_kind:     by_value
      - .address_space:  global
        .offset:         8
        .size:           8
        .value_kind:     global_buffer
      - .offset:         16
        .size:           8
        .value_kind:     by_value
      - .offset:         24
        .size:           4
        .value_kind:     hidden_block_count_x
      - .offset:         28
        .size:           4
        .value_kind:     hidden_block_count_y
      - .offset:         32
        .size:           4
        .value_kind:     hidden_block_count_z
      - .offset:         36
        .size:           2
        .value_kind:     hidden_group_size_x
      - .offset:         38
        .size:           2
        .value_kind:     hidden_group_size_y
      - .offset:         40
        .size:           2
        .value_kind:     hidden_group_size_z
      - .offset:         42
        .size:           2
        .value_kind:     hidden_remainder_x
      - .offset:         44
        .size:           2
        .value_kind:     hidden_remainder_y
      - .offset:         46
        .size:           2
        .value_kind:     hidden_remainder_z
      - .offset:         64
        .size:           8
        .value_kind:     hidden_global_offset_x
      - .offset:         72
        .size:           8
        .value_kind:     hidden_global_offset_y
      - .offset:         80
        .size:           8
        .value_kind:     hidden_global_offset_z
      - .offset:         88
        .size:           2
        .value_kind:     hidden_grid_dims
    .group_segment_fixed_size: 0
    .kernarg_segment_align: 8
    .kernarg_segment_size: 280
    .language:       OpenCL C
    .language_version:
      - 2
      - 0
    .max_flat_workgroup_size: 1024
    .name:           _ZN9rocsolver6v33100L7set_tauIfEEviPT_l
    .private_segment_fixed_size: 0
    .sgpr_count:     10
    .sgpr_spill_count: 0
    .symbol:         _ZN9rocsolver6v33100L7set_tauIfEEviPT_l.kd
    .uniform_work_group_size: 1
    .uses_dynamic_stack: false
    .vgpr_count:     2
    .vgpr_spill_count: 0
    .wavefront_size: 32
  - .args:
      - .offset:         0
        .size:           4
        .value_kind:     by_value
      - .offset:         4
        .size:           4
        .value_kind:     by_value
      - .offset:         8
        .size:           4
        .value_kind:     by_value
      - .address_space:  global
        .offset:         16
        .size:           8
        .value_kind:     global_buffer
      - .offset:         24
        .size:           4
        .value_kind:     by_value
      - .offset:         28
        .size:           4
        .value_kind:     by_value
      - .offset:         32
        .size:           8
        .value_kind:     by_value
      - .address_space:  global
        .offset:         40
        .size:           8
        .value_kind:     global_buffer
      - .offset:         48
        .size:           8
        .value_kind:     by_value
      - .address_space:  global
        .offset:         56
        .size:           8
        .value_kind:     global_buffer
      - .offset:         64
        .size:           4
        .value_kind:     by_value
      - .offset:         72
        .size:           8
        .value_kind:     by_value
      - .offset:         80
        .size:           4
        .value_kind:     hidden_block_count_x
      - .offset:         84
        .size:           4
        .value_kind:     hidden_block_count_y
      - .offset:         88
        .size:           4
        .value_kind:     hidden_block_count_z
      - .offset:         92
        .size:           2
        .value_kind:     hidden_group_size_x
      - .offset:         94
        .size:           2
        .value_kind:     hidden_group_size_y
      - .offset:         96
        .size:           2
        .value_kind:     hidden_group_size_z
      - .offset:         98
        .size:           2
        .value_kind:     hidden_remainder_x
      - .offset:         100
        .size:           2
        .value_kind:     hidden_remainder_y
      - .offset:         102
        .size:           2
        .value_kind:     hidden_remainder_z
      - .offset:         120
        .size:           8
        .value_kind:     hidden_global_offset_x
      - .offset:         128
        .size:           8
        .value_kind:     hidden_global_offset_y
      - .offset:         136
        .size:           8
        .value_kind:     hidden_global_offset_z
      - .offset:         144
        .size:           2
        .value_kind:     hidden_grid_dims
      - .offset:         200
        .size:           4
        .value_kind:     hidden_dynamic_lds_size
    .group_segment_fixed_size: 0
    .kernarg_segment_align: 8
    .kernarg_segment_size: 336
    .language:       OpenCL C
    .language_version:
      - 2
      - 0
    .max_flat_workgroup_size: 1024
    .name:           _ZN9rocsolver6v33100L20larft_kernel_forwardIfPfEEv15rocblas_storev_iiT0_iilPT_lS6_il
    .private_segment_fixed_size: 0
    .sgpr_count:     46
    .sgpr_spill_count: 0
    .symbol:         _ZN9rocsolver6v33100L20larft_kernel_forwardIfPfEEv15rocblas_storev_iiT0_iilPT_lS6_il.kd
    .uniform_work_group_size: 1
    .uses_dynamic_stack: false
    .vgpr_count:     20
    .vgpr_spill_count: 0
    .wavefront_size: 32
  - .args:
      - .offset:         0
        .size:           4
        .value_kind:     by_value
      - .offset:         4
        .size:           4
        .value_kind:     by_value
      - .offset:         8
        .size:           4
        .value_kind:     by_value
      - .address_space:  global
        .offset:         16
        .size:           8
        .value_kind:     global_buffer
      - .offset:         24
        .size:           4
        .value_kind:     by_value
      - .offset:         28
        .size:           4
        .value_kind:     by_value
      - .offset:         32
        .size:           8
        .value_kind:     by_value
      - .address_space:  global
        .offset:         40
        .size:           8
        .value_kind:     global_buffer
      - .offset:         48
        .size:           8
        .value_kind:     by_value
      - .address_space:  global
        .offset:         56
        .size:           8
        .value_kind:     global_buffer
      - .offset:         64
        .size:           4
        .value_kind:     by_value
      - .offset:         72
        .size:           8
        .value_kind:     by_value
      - .offset:         80
        .size:           4
        .value_kind:     hidden_block_count_x
      - .offset:         84
        .size:           4
        .value_kind:     hidden_block_count_y
      - .offset:         88
        .size:           4
        .value_kind:     hidden_block_count_z
      - .offset:         92
        .size:           2
        .value_kind:     hidden_group_size_x
      - .offset:         94
        .size:           2
        .value_kind:     hidden_group_size_y
      - .offset:         96
        .size:           2
        .value_kind:     hidden_group_size_z
      - .offset:         98
        .size:           2
        .value_kind:     hidden_remainder_x
      - .offset:         100
        .size:           2
        .value_kind:     hidden_remainder_y
      - .offset:         102
        .size:           2
        .value_kind:     hidden_remainder_z
      - .offset:         120
        .size:           8
        .value_kind:     hidden_global_offset_x
      - .offset:         128
        .size:           8
        .value_kind:     hidden_global_offset_y
      - .offset:         136
        .size:           8
        .value_kind:     hidden_global_offset_z
      - .offset:         144
        .size:           2
        .value_kind:     hidden_grid_dims
      - .offset:         200
        .size:           4
        .value_kind:     hidden_dynamic_lds_size
    .group_segment_fixed_size: 0
    .kernarg_segment_align: 8
    .kernarg_segment_size: 336
    .language:       OpenCL C
    .language_version:
      - 2
      - 0
    .max_flat_workgroup_size: 1024
    .name:           _ZN9rocsolver6v33100L21larft_kernel_backwardIfPfEEv15rocblas_storev_iiT0_iilPT_lS6_il
    .private_segment_fixed_size: 0
    .sgpr_count:     44
    .sgpr_spill_count: 0
    .symbol:         _ZN9rocsolver6v33100L21larft_kernel_backwardIfPfEEv15rocblas_storev_iiT0_iilPT_lS6_il.kd
    .uniform_work_group_size: 1
    .uses_dynamic_stack: false
    .vgpr_count:     14
    .vgpr_spill_count: 0
    .wavefront_size: 32
  - .args:
      - .offset:         0
        .size:           4
        .value_kind:     by_value
      - .offset:         4
        .size:           4
        .value_kind:     by_value
      - .address_space:  global
        .offset:         8
        .size:           8
        .value_kind:     global_buffer
      - .offset:         16
        .size:           4
        .value_kind:     by_value
      - .offset:         20
        .size:           4
        .value_kind:     by_value
      - .offset:         24
        .size:           8
        .value_kind:     by_value
      - .address_space:  global
        .offset:         32
        .size:           8
        .value_kind:     global_buffer
      - .offset:         40
        .size:           4
        .value_kind:     hidden_block_count_x
      - .offset:         44
        .size:           4
        .value_kind:     hidden_block_count_y
      - .offset:         48
        .size:           4
        .value_kind:     hidden_block_count_z
      - .offset:         52
        .size:           2
        .value_kind:     hidden_group_size_x
      - .offset:         54
        .size:           2
        .value_kind:     hidden_group_size_y
      - .offset:         56
        .size:           2
        .value_kind:     hidden_group_size_z
      - .offset:         58
        .size:           2
        .value_kind:     hidden_remainder_x
      - .offset:         60
        .size:           2
        .value_kind:     hidden_remainder_y
      - .offset:         62
        .size:           2
        .value_kind:     hidden_remainder_z
      - .offset:         80
        .size:           8
        .value_kind:     hidden_global_offset_x
      - .offset:         88
        .size:           8
        .value_kind:     hidden_global_offset_y
      - .offset:         96
        .size:           8
        .value_kind:     hidden_global_offset_z
      - .offset:         104
        .size:           2
        .value_kind:     hidden_grid_dims
    .group_segment_fixed_size: 0
    .kernarg_segment_align: 8
    .kernarg_segment_size: 296
    .language:       OpenCL C
    .language_version:
      - 2
      - 0
    .max_flat_workgroup_size: 1024
    .name:           _ZN9rocsolver6v33100L9copymatA1IfPfEEviiT0_iilPT_
    .private_segment_fixed_size: 0
    .sgpr_count:     19
    .sgpr_spill_count: 0
    .symbol:         _ZN9rocsolver6v33100L9copymatA1IfPfEEviiT0_iilPT_.kd
    .uniform_work_group_size: 1
    .uses_dynamic_stack: false
    .vgpr_count:     3
    .vgpr_spill_count: 0
    .wavefront_size: 32
  - .args:
      - .offset:         0
        .size:           4
        .value_kind:     by_value
      - .offset:         4
        .size:           4
        .value_kind:     by_value
      - .address_space:  global
        .offset:         8
        .size:           8
        .value_kind:     global_buffer
      - .offset:         16
        .size:           4
        .value_kind:     by_value
      - .offset:         20
        .size:           4
        .value_kind:     by_value
      - .offset:         24
        .size:           8
        .value_kind:     by_value
      - .address_space:  global
        .offset:         32
        .size:           8
        .value_kind:     global_buffer
      - .offset:         40
        .size:           4
        .value_kind:     hidden_block_count_x
      - .offset:         44
        .size:           4
        .value_kind:     hidden_block_count_y
      - .offset:         48
        .size:           4
        .value_kind:     hidden_block_count_z
      - .offset:         52
        .size:           2
        .value_kind:     hidden_group_size_x
      - .offset:         54
        .size:           2
        .value_kind:     hidden_group_size_y
      - .offset:         56
        .size:           2
        .value_kind:     hidden_group_size_z
      - .offset:         58
        .size:           2
        .value_kind:     hidden_remainder_x
      - .offset:         60
        .size:           2
        .value_kind:     hidden_remainder_y
      - .offset:         62
        .size:           2
        .value_kind:     hidden_remainder_z
      - .offset:         80
        .size:           8
        .value_kind:     hidden_global_offset_x
      - .offset:         88
        .size:           8
        .value_kind:     hidden_global_offset_y
      - .offset:         96
        .size:           8
        .value_kind:     hidden_global_offset_z
      - .offset:         104
        .size:           2
        .value_kind:     hidden_grid_dims
    .group_segment_fixed_size: 0
    .kernarg_segment_align: 8
    .kernarg_segment_size: 296
    .language:       OpenCL C
    .language_version:
      - 2
      - 0
    .max_flat_workgroup_size: 1024
    .name:           _ZN9rocsolver6v33100L8addmatA1IfPfEEviiT0_iilPT_
    .private_segment_fixed_size: 0
    .sgpr_count:     19
    .sgpr_spill_count: 0
    .symbol:         _ZN9rocsolver6v33100L8addmatA1IfPfEEviiT0_iilPT_.kd
    .uniform_work_group_size: 1
    .uses_dynamic_stack: false
    .vgpr_count:     4
    .vgpr_spill_count: 0
    .wavefront_size: 32
  - .args:
      - .offset:         0
        .size:           4
        .value_kind:     by_value
      - .address_space:  global
        .offset:         8
        .size:           8
        .value_kind:     global_buffer
      - .offset:         16
        .size:           8
        .value_kind:     by_value
      - .address_space:  global
        .offset:         24
        .size:           8
        .value_kind:     global_buffer
      - .offset:         32
        .size:           4
        .value_kind:     by_value
      - .offset:         40
        .size:           8
        .value_kind:     by_value
      - .address_space:  global
        .offset:         48
        .size:           8
        .value_kind:     global_buffer
      - .offset:         56
        .size:           4
        .value_kind:     by_value
      - .offset:         64
        .size:           8
        .value_kind:     by_value
      - .offset:         72
        .size:           4
        .value_kind:     hidden_block_count_x
      - .offset:         76
        .size:           4
        .value_kind:     hidden_block_count_y
      - .offset:         80
        .size:           4
        .value_kind:     hidden_block_count_z
      - .offset:         84
        .size:           2
        .value_kind:     hidden_group_size_x
      - .offset:         86
        .size:           2
        .value_kind:     hidden_group_size_y
      - .offset:         88
        .size:           2
        .value_kind:     hidden_group_size_z
      - .offset:         90
        .size:           2
        .value_kind:     hidden_remainder_x
      - .offset:         92
        .size:           2
        .value_kind:     hidden_remainder_y
      - .offset:         94
        .size:           2
        .value_kind:     hidden_remainder_z
      - .offset:         112
        .size:           8
        .value_kind:     hidden_global_offset_x
      - .offset:         120
        .size:           8
        .value_kind:     hidden_global_offset_y
      - .offset:         128
        .size:           8
        .value_kind:     hidden_global_offset_z
      - .offset:         136
        .size:           2
        .value_kind:     hidden_grid_dims
    .group_segment_fixed_size: 0
    .kernarg_segment_align: 8
    .kernarg_segment_size: 328
    .language:       OpenCL C
    .language_version:
      - 2
      - 0
    .max_flat_workgroup_size: 1024
    .name:           _ZN9rocsolver6v33100L15gesvdj_finalizeIffEEviPT0_lPT_ilS5_il
    .private_segment_fixed_size: 0
    .sgpr_count:     21
    .sgpr_spill_count: 0
    .symbol:         _ZN9rocsolver6v33100L15gesvdj_finalizeIffEEviPT0_lPT_ilS5_il.kd
    .uniform_work_group_size: 1
    .uses_dynamic_stack: false
    .vgpr_count:     4
    .vgpr_spill_count: 0
    .wavefront_size: 32
  - .args:
      - .offset:         0
        .size:           4
        .value_kind:     by_value
      - .offset:         4
        .size:           4
        .value_kind:     by_value
      - .offset:         8
        .size:           4
        .value_kind:     by_value
      - .address_space:  global
        .offset:         16
        .size:           8
        .value_kind:     global_buffer
      - .offset:         24
        .size:           4
        .value_kind:     by_value
      - .offset:         28
        .size:           4
        .value_kind:     by_value
      - .offset:         32
        .size:           8
        .value_kind:     by_value
      - .offset:         40
        .size:           4
        .value_kind:     hidden_block_count_x
      - .offset:         44
        .size:           4
        .value_kind:     hidden_block_count_y
      - .offset:         48
        .size:           4
        .value_kind:     hidden_block_count_z
      - .offset:         52
        .size:           2
        .value_kind:     hidden_group_size_x
      - .offset:         54
        .size:           2
        .value_kind:     hidden_group_size_y
      - .offset:         56
        .size:           2
        .value_kind:     hidden_group_size_z
      - .offset:         58
        .size:           2
        .value_kind:     hidden_remainder_x
      - .offset:         60
        .size:           2
        .value_kind:     hidden_remainder_y
      - .offset:         62
        .size:           2
        .value_kind:     hidden_remainder_z
      - .offset:         80
        .size:           8
        .value_kind:     hidden_global_offset_x
      - .offset:         88
        .size:           8
        .value_kind:     hidden_global_offset_y
      - .offset:         96
        .size:           8
        .value_kind:     hidden_global_offset_z
      - .offset:         104
        .size:           2
        .value_kind:     hidden_grid_dims
    .group_segment_fixed_size: 0
    .kernarg_segment_align: 8
    .kernarg_segment_size: 296
    .language:       OpenCL C
    .language_version:
      - 2
      - 0
    .max_flat_workgroup_size: 1024
    .name:           _ZN9rocsolver6v33100L16org2r_init_identIfPfEEviiiT0_iil
    .private_segment_fixed_size: 0
    .sgpr_count:     14
    .sgpr_spill_count: 0
    .symbol:         _ZN9rocsolver6v33100L16org2r_init_identIfPfEEviiiT0_iil.kd
    .uniform_work_group_size: 1
    .uses_dynamic_stack: false
    .vgpr_count:     3
    .vgpr_spill_count: 0
    .wavefront_size: 32
  - .args:
      - .offset:         0
        .size:           4
        .value_kind:     by_value
      - .offset:         4
        .size:           4
        .value_kind:     by_value
      - .address_space:  global
        .offset:         8
        .size:           8
        .value_kind:     global_buffer
      - .offset:         16
        .size:           4
        .value_kind:     by_value
      - .offset:         20
        .size:           4
        .value_kind:     by_value
      - .offset:         24
        .size:           8
        .value_kind:     by_value
      - .address_space:  global
        .offset:         32
        .size:           8
        .value_kind:     global_buffer
      - .offset:         40
        .size:           8
        .value_kind:     by_value
    .group_segment_fixed_size: 0
    .kernarg_segment_align: 8
    .kernarg_segment_size: 48
    .language:       OpenCL C
    .language_version:
      - 2
      - 0
    .max_flat_workgroup_size: 1024
    .name:           _ZN9rocsolver6v33100L12subtract_tauIfPfEEviiT0_iilPT_l
    .private_segment_fixed_size: 0
    .sgpr_count:     16
    .sgpr_spill_count: 0
    .symbol:         _ZN9rocsolver6v33100L12subtract_tauIfPfEEviiT0_iilPT_l.kd
    .uniform_work_group_size: 1
    .uses_dynamic_stack: false
    .vgpr_count:     4
    .vgpr_spill_count: 0
    .wavefront_size: 32
  - .args:
      - .offset:         0
        .size:           4
        .value_kind:     by_value
      - .address_space:  global
        .offset:         8
        .size:           8
        .value_kind:     global_buffer
      - .offset:         16
        .size:           8
        .value_kind:     by_value
      - .offset:         24
        .size:           4
        .value_kind:     hidden_block_count_x
      - .offset:         28
        .size:           4
        .value_kind:     hidden_block_count_y
      - .offset:         32
        .size:           4
        .value_kind:     hidden_block_count_z
      - .offset:         36
        .size:           2
        .value_kind:     hidden_group_size_x
      - .offset:         38
        .size:           2
        .value_kind:     hidden_group_size_y
      - .offset:         40
        .size:           2
        .value_kind:     hidden_group_size_z
      - .offset:         42
        .size:           2
        .value_kind:     hidden_remainder_x
      - .offset:         44
        .size:           2
        .value_kind:     hidden_remainder_y
      - .offset:         46
        .size:           2
        .value_kind:     hidden_remainder_z
      - .offset:         64
        .size:           8
        .value_kind:     hidden_global_offset_x
      - .offset:         72
        .size:           8
        .value_kind:     hidden_global_offset_y
      - .offset:         80
        .size:           8
        .value_kind:     hidden_global_offset_z
      - .offset:         88
        .size:           2
        .value_kind:     hidden_grid_dims
    .group_segment_fixed_size: 0
    .kernarg_segment_align: 8
    .kernarg_segment_size: 280
    .language:       OpenCL C
    .language_version:
      - 2
      - 0
    .max_flat_workgroup_size: 1024
    .name:           _ZN9rocsolver6v33100L6restauIfEEviPT_l
    .private_segment_fixed_size: 0
    .sgpr_count:     10
    .sgpr_spill_count: 0
    .symbol:         _ZN9rocsolver6v33100L6restauIfEEviPT_l.kd
    .uniform_work_group_size: 1
    .uses_dynamic_stack: false
    .vgpr_count:     2
    .vgpr_spill_count: 0
    .wavefront_size: 32
  - .args:
      - .offset:         0
        .size:           4
        .value_kind:     by_value
      - .offset:         4
        .size:           4
        .value_kind:     by_value
      - .address_space:  global
        .offset:         8
        .size:           8
        .value_kind:     global_buffer
      - .offset:         16
        .size:           4
        .value_kind:     by_value
      - .offset:         20
        .size:           4
        .value_kind:     by_value
      - .offset:         24
        .size:           8
        .value_kind:     by_value
      - .offset:         32
        .size:           4
        .value_kind:     by_value
      - .offset:         40
        .size:           4
        .value_kind:     hidden_block_count_x
      - .offset:         44
        .size:           4
        .value_kind:     hidden_block_count_y
      - .offset:         48
        .size:           4
        .value_kind:     hidden_block_count_z
      - .offset:         52
        .size:           2
        .value_kind:     hidden_group_size_x
      - .offset:         54
        .size:           2
        .value_kind:     hidden_group_size_y
      - .offset:         56
        .size:           2
        .value_kind:     hidden_group_size_z
      - .offset:         58
        .size:           2
        .value_kind:     hidden_remainder_x
      - .offset:         60
        .size:           2
        .value_kind:     hidden_remainder_y
      - .offset:         62
        .size:           2
        .value_kind:     hidden_remainder_z
      - .offset:         80
        .size:           8
        .value_kind:     hidden_global_offset_x
      - .offset:         88
        .size:           8
        .value_kind:     hidden_global_offset_y
      - .offset:         96
        .size:           8
        .value_kind:     hidden_global_offset_z
      - .offset:         104
        .size:           2
        .value_kind:     hidden_grid_dims
    .group_segment_fixed_size: 0
    .kernarg_segment_align: 8
    .kernarg_segment_size: 296
    .language:       OpenCL C
    .language_version:
      - 2
      - 0
    .max_flat_workgroup_size: 1024
    .name:           _ZN9rocsolver6v33100L8set_zeroIfPfEEviiT0_iil13rocblas_fill_
    .private_segment_fixed_size: 0
    .sgpr_count:     14
    .sgpr_spill_count: 0
    .symbol:         _ZN9rocsolver6v33100L8set_zeroIfPfEEviiT0_iil13rocblas_fill_.kd
    .uniform_work_group_size: 1
    .uses_dynamic_stack: false
    .vgpr_count:     3
    .vgpr_spill_count: 0
    .wavefront_size: 32
  - .args:
      - .offset:         0
        .size:           4
        .value_kind:     by_value
      - .offset:         4
        .size:           4
        .value_kind:     by_value
      - .offset:         8
        .size:           4
        .value_kind:     by_value
      - .address_space:  global
        .offset:         16
        .size:           8
        .value_kind:     global_buffer
      - .offset:         24
        .size:           4
        .value_kind:     by_value
      - .offset:         28
        .size:           4
        .value_kind:     by_value
      - .offset:         32
        .size:           8
        .value_kind:     by_value
      - .address_space:  global
        .offset:         40
        .size:           8
        .value_kind:     global_buffer
      - .offset:         48
        .size:           4
        .value_kind:     by_value
      - .offset:         52
        .size:           4
        .value_kind:     by_value
      - .offset:         56
        .size:           8
        .value_kind:     by_value
      - .offset:         64
        .size:           1
        .value_kind:     by_value
      - .offset:         68
        .size:           4
        .value_kind:     by_value
      - .offset:         72
        .size:           4
        .value_kind:     by_value
      - .offset:         80
        .size:           4
        .value_kind:     hidden_block_count_x
      - .offset:         84
        .size:           4
        .value_kind:     hidden_block_count_y
      - .offset:         88
        .size:           4
        .value_kind:     hidden_block_count_z
      - .offset:         92
        .size:           2
        .value_kind:     hidden_group_size_x
      - .offset:         94
        .size:           2
        .value_kind:     hidden_group_size_y
      - .offset:         96
        .size:           2
        .value_kind:     hidden_group_size_z
      - .offset:         98
        .size:           2
        .value_kind:     hidden_remainder_x
      - .offset:         100
        .size:           2
        .value_kind:     hidden_remainder_y
      - .offset:         102
        .size:           2
        .value_kind:     hidden_remainder_z
      - .offset:         120
        .size:           8
        .value_kind:     hidden_global_offset_x
      - .offset:         128
        .size:           8
        .value_kind:     hidden_global_offset_y
      - .offset:         136
        .size:           8
        .value_kind:     hidden_global_offset_z
      - .offset:         144
        .size:           2
        .value_kind:     hidden_grid_dims
    .group_segment_fixed_size: 0
    .kernarg_segment_align: 8
    .kernarg_segment_size: 336
    .language:       OpenCL C
    .language_version:
      - 2
      - 0
    .max_flat_workgroup_size: 1024
    .name:           _ZN9rocsolver6v33100L14copy_trans_matIffPfS2_NS0_7no_maskEEEv18rocblas_operation_iiT1_iilT2_iilT3_13rocblas_fill_17rocblas_diagonal_
    .private_segment_fixed_size: 0
    .sgpr_count:     20
    .sgpr_spill_count: 0
    .symbol:         _ZN9rocsolver6v33100L14copy_trans_matIffPfS2_NS0_7no_maskEEEv18rocblas_operation_iiT1_iilT2_iilT3_13rocblas_fill_17rocblas_diagonal_.kd
    .uniform_work_group_size: 1
    .uses_dynamic_stack: false
    .vgpr_count:     4
    .vgpr_spill_count: 0
    .wavefront_size: 32
  - .args:
      - .offset:         0
        .size:           4
        .value_kind:     by_value
      - .offset:         4
        .size:           4
        .value_kind:     by_value
      - .offset:         8
        .size:           4
        .value_kind:     by_value
      - .address_space:  global
        .offset:         16
        .size:           8
        .value_kind:     global_buffer
      - .offset:         24
        .size:           4
        .value_kind:     by_value
      - .offset:         28
        .size:           4
        .value_kind:     by_value
      - .offset:         32
        .size:           8
        .value_kind:     by_value
      - .offset:         40
        .size:           4
        .value_kind:     hidden_block_count_x
      - .offset:         44
        .size:           4
        .value_kind:     hidden_block_count_y
      - .offset:         48
        .size:           4
        .value_kind:     hidden_block_count_z
      - .offset:         52
        .size:           2
        .value_kind:     hidden_group_size_x
      - .offset:         54
        .size:           2
        .value_kind:     hidden_group_size_y
      - .offset:         56
        .size:           2
        .value_kind:     hidden_group_size_z
      - .offset:         58
        .size:           2
        .value_kind:     hidden_remainder_x
      - .offset:         60
        .size:           2
        .value_kind:     hidden_remainder_y
      - .offset:         62
        .size:           2
        .value_kind:     hidden_remainder_z
      - .offset:         80
        .size:           8
        .value_kind:     hidden_global_offset_x
      - .offset:         88
        .size:           8
        .value_kind:     hidden_global_offset_y
      - .offset:         96
        .size:           8
        .value_kind:     hidden_global_offset_z
      - .offset:         104
        .size:           2
        .value_kind:     hidden_grid_dims
    .group_segment_fixed_size: 0
    .kernarg_segment_align: 8
    .kernarg_segment_size: 296
    .language:       OpenCL C
    .language_version:
      - 2
      - 0
    .max_flat_workgroup_size: 1024
    .name:           _ZN9rocsolver6v33100L16orgl2_init_identIfPfEEviiiT0_iil
    .private_segment_fixed_size: 0
    .sgpr_count:     14
    .sgpr_spill_count: 0
    .symbol:         _ZN9rocsolver6v33100L16orgl2_init_identIfPfEEviiiT0_iil.kd
    .uniform_work_group_size: 1
    .uses_dynamic_stack: false
    .vgpr_count:     3
    .vgpr_spill_count: 0
    .wavefront_size: 32
  - .args:
      - .address_space:  global
        .offset:         0
        .size:           8
        .value_kind:     global_buffer
      - .offset:         8
        .size:           4
        .value_kind:     by_value
      - .offset:         16
        .size:           8
        .value_kind:     by_value
    .group_segment_fixed_size: 0
    .kernarg_segment_align: 8
    .kernarg_segment_size: 24
    .language:       OpenCL C
    .language_version:
      - 2
      - 0
    .max_flat_workgroup_size: 32
    .name:           _ZN9rocsolver6v33100L6iota_nIdEEvPT_jS2_
    .private_segment_fixed_size: 0
    .sgpr_count:     6
    .sgpr_spill_count: 0
    .symbol:         _ZN9rocsolver6v33100L6iota_nIdEEvPT_jS2_.kd
    .uniform_work_group_size: 1
    .uses_dynamic_stack: false
    .vgpr_count:     4
    .vgpr_spill_count: 0
    .wavefront_size: 32
  - .args:
      - .address_space:  global
        .offset:         0
        .size:           8
        .value_kind:     global_buffer
      - .offset:         8
        .size:           4
        .value_kind:     by_value
      - .offset:         12
        .size:           4
        .value_kind:     by_value
      - .offset:         16
        .size:           4
        .value_kind:     by_value
      - .offset:         24
        .size:           4
        .value_kind:     hidden_block_count_x
      - .offset:         28
        .size:           4
        .value_kind:     hidden_block_count_y
      - .offset:         32
        .size:           4
        .value_kind:     hidden_block_count_z
      - .offset:         36
        .size:           2
        .value_kind:     hidden_group_size_x
      - .offset:         38
        .size:           2
        .value_kind:     hidden_group_size_y
      - .offset:         40
        .size:           2
        .value_kind:     hidden_group_size_z
      - .offset:         42
        .size:           2
        .value_kind:     hidden_remainder_x
      - .offset:         44
        .size:           2
        .value_kind:     hidden_remainder_y
      - .offset:         46
        .size:           2
        .value_kind:     hidden_remainder_z
      - .offset:         64
        .size:           8
        .value_kind:     hidden_global_offset_x
      - .offset:         72
        .size:           8
        .value_kind:     hidden_global_offset_y
      - .offset:         80
        .size:           8
        .value_kind:     hidden_global_offset_z
      - .offset:         88
        .size:           2
        .value_kind:     hidden_grid_dims
    .group_segment_fixed_size: 0
    .kernarg_segment_align: 8
    .kernarg_segment_size: 280
    .language:       OpenCL C
    .language_version:
      - 2
      - 0
    .max_flat_workgroup_size: 1024
    .name:           _ZN9rocsolver6v33100L10reset_infoIdiiEEvPT_T0_T1_S4_
    .private_segment_fixed_size: 0
    .sgpr_count:     9
    .sgpr_spill_count: 0
    .symbol:         _ZN9rocsolver6v33100L10reset_infoIdiiEEvPT_T0_T1_S4_.kd
    .uniform_work_group_size: 1
    .uses_dynamic_stack: false
    .vgpr_count:     6
    .vgpr_spill_count: 0
    .wavefront_size: 32
  - .args:
      - .offset:         0
        .size:           4
        .value_kind:     by_value
      - .address_space:  global
        .offset:         8
        .size:           8
        .value_kind:     global_buffer
      - .offset:         16
        .size:           8
        .value_kind:     by_value
      - .address_space:  global
        .offset:         24
        .size:           8
        .value_kind:     global_buffer
      - .offset:         32
        .size:           8
        .value_kind:     by_value
      - .offset:         40
        .size:           4
        .value_kind:     by_value
      - .offset:         48
        .size:           4
        .value_kind:     hidden_block_count_x
      - .offset:         52
        .size:           4
        .value_kind:     hidden_block_count_y
      - .offset:         56
        .size:           4
        .value_kind:     hidden_block_count_z
      - .offset:         60
        .size:           2
        .value_kind:     hidden_group_size_x
      - .offset:         62
        .size:           2
        .value_kind:     hidden_group_size_y
      - .offset:         64
        .size:           2
        .value_kind:     hidden_group_size_z
      - .offset:         66
        .size:           2
        .value_kind:     hidden_remainder_x
      - .offset:         68
        .size:           2
        .value_kind:     hidden_remainder_y
      - .offset:         70
        .size:           2
        .value_kind:     hidden_remainder_z
      - .offset:         88
        .size:           8
        .value_kind:     hidden_global_offset_x
      - .offset:         96
        .size:           8
        .value_kind:     hidden_global_offset_y
      - .offset:         104
        .size:           8
        .value_kind:     hidden_global_offset_z
      - .offset:         112
        .size:           2
        .value_kind:     hidden_grid_dims
    .group_segment_fixed_size: 0
    .kernarg_segment_align: 8
    .kernarg_segment_size: 304
    .language:       OpenCL C
    .language_version:
      - 2
      - 0
    .max_flat_workgroup_size: 1024
    .name:           _ZN9rocsolver6v33100L16syev_scalar_caseIdPdTnNSt9enable_ifIXnt18rocblas_is_complexIT_EEiE4typeELi0EEEv14rocblas_evect_T0_lPS4_li
    .private_segment_fixed_size: 0
    .sgpr_count:     12
    .sgpr_spill_count: 0
    .symbol:         _ZN9rocsolver6v33100L16syev_scalar_caseIdPdTnNSt9enable_ifIXnt18rocblas_is_complexIT_EEiE4typeELi0EEEv14rocblas_evect_T0_lPS4_li.kd
    .uniform_work_group_size: 1
    .uses_dynamic_stack: false
    .vgpr_count:     6
    .vgpr_spill_count: 0
    .wavefront_size: 32
  - .args:
      - .offset:         0
        .size:           4
        .value_kind:     by_value
      - .offset:         4
        .size:           4
        .value_kind:     by_value
      - .offset:         8
        .size:           4
        .value_kind:     by_value
      - .offset:         12
        .size:           4
        .value_kind:     by_value
      - .address_space:  global
        .offset:         16
        .size:           8
        .value_kind:     global_buffer
      - .offset:         24
        .size:           4
        .value_kind:     by_value
      - .offset:         28
        .size:           4
        .value_kind:     by_value
      - .offset:         32
        .size:           8
        .value_kind:     by_value
      - .offset:         40
        .size:           8
        .value_kind:     by_value
      - .offset:         48
        .size:           8
        .value_kind:     by_value
      - .address_space:  global
        .offset:         56
        .size:           8
        .value_kind:     global_buffer
      - .offset:         64
        .size:           4
        .value_kind:     by_value
      - .address_space:  global
        .offset:         72
        .size:           8
        .value_kind:     global_buffer
      - .address_space:  global
        .offset:         80
        .size:           8
        .value_kind:     global_buffer
      - .offset:         88
        .size:           8
        .value_kind:     by_value
      - .address_space:  global
        .offset:         96
        .size:           8
        .value_kind:     global_buffer
      - .address_space:  global
        .offset:         104
        .size:           8
        .value_kind:     global_buffer
    .group_segment_fixed_size: 0
    .kernarg_segment_align: 8
    .kernarg_segment_size: 112
    .language:       OpenCL C
    .language_version:
      - 2
      - 0
    .max_flat_workgroup_size: 1024
    .name:           _ZN9rocsolver6v33100L18syevj_small_kernelIddPdEEv14rocblas_esort_14rocblas_evect_13rocblas_fill_iT1_iilT0_S7_PS7_iPiS8_lS9_PT_
    .private_segment_fixed_size: 0
    .sgpr_count:     63
    .sgpr_spill_count: 0
    .symbol:         _ZN9rocsolver6v33100L18syevj_small_kernelIddPdEEv14rocblas_esort_14rocblas_evect_13rocblas_fill_iT1_iilT0_S7_PS7_iPiS8_lS9_PT_.kd
    .uniform_work_group_size: 1
    .uses_dynamic_stack: false
    .vgpr_count:     46
    .vgpr_spill_count: 0
    .wavefront_size: 32
  - .args:
      - .offset:         0
        .size:           4
        .value_kind:     by_value
      - .offset:         4
        .size:           4
        .value_kind:     by_value
      - .offset:         8
        .size:           4
        .value_kind:     by_value
      - .offset:         12
        .size:           4
        .value_kind:     by_value
      - .address_space:  global
        .offset:         16
        .size:           8
        .value_kind:     global_buffer
      - .offset:         24
        .size:           4
        .value_kind:     by_value
      - .offset:         28
        .size:           4
        .value_kind:     by_value
      - .offset:         32
        .size:           8
        .value_kind:     by_value
      - .offset:         40
        .size:           8
        .value_kind:     by_value
      - .address_space:  global
        .offset:         48
        .size:           8
        .value_kind:     global_buffer
      - .address_space:  global
        .offset:         56
        .size:           8
        .value_kind:     global_buffer
      - .address_space:  global
        .offset:         64
        .size:           8
        .value_kind:     global_buffer
      - .address_space:  global
        .offset:         72
        .size:           8
        .value_kind:     global_buffer
      - .address_space:  global
        .offset:         80
        .size:           8
        .value_kind:     global_buffer
      - .address_space:  global
        .offset:         88
        .size:           8
        .value_kind:     global_buffer
      - .offset:         96
        .size:           4
        .value_kind:     hidden_block_count_x
      - .offset:         100
        .size:           4
        .value_kind:     hidden_block_count_y
      - .offset:         104
        .size:           4
        .value_kind:     hidden_block_count_z
      - .offset:         108
        .size:           2
        .value_kind:     hidden_group_size_x
      - .offset:         110
        .size:           2
        .value_kind:     hidden_group_size_y
      - .offset:         112
        .size:           2
        .value_kind:     hidden_group_size_z
      - .offset:         114
        .size:           2
        .value_kind:     hidden_remainder_x
      - .offset:         116
        .size:           2
        .value_kind:     hidden_remainder_y
      - .offset:         118
        .size:           2
        .value_kind:     hidden_remainder_z
      - .offset:         136
        .size:           8
        .value_kind:     hidden_global_offset_x
      - .offset:         144
        .size:           8
        .value_kind:     hidden_global_offset_y
      - .offset:         152
        .size:           8
        .value_kind:     hidden_global_offset_z
      - .offset:         160
        .size:           2
        .value_kind:     hidden_grid_dims
      - .offset:         216
        .size:           4
        .value_kind:     hidden_dynamic_lds_size
    .group_segment_fixed_size: 0
    .kernarg_segment_align: 8
    .kernarg_segment_size: 352
    .language:       OpenCL C
    .language_version:
      - 2
      - 0
    .max_flat_workgroup_size: 1024
    .name:           _ZN9rocsolver6v33100L10syevj_initIddPdEEv14rocblas_evect_13rocblas_fill_iiT1_iilT0_PS6_PT_S7_PiSA_SA_
    .private_segment_fixed_size: 0
    .sgpr_count:     42
    .sgpr_spill_count: 0
    .symbol:         _ZN9rocsolver6v33100L10syevj_initIddPdEEv14rocblas_evect_13rocblas_fill_iiT1_iilT0_PS6_PT_S7_PiSA_SA_.kd
    .uniform_work_group_size: 1
    .uses_dynamic_stack: false
    .vgpr_count:     27
    .vgpr_spill_count: 0
    .wavefront_size: 32
  - .args:
      - .offset:         0
        .size:           4
        .value_kind:     by_value
      - .address_space:  global
        .offset:         8
        .size:           8
        .value_kind:     global_buffer
      - .offset:         16
        .size:           4
        .value_kind:     by_value
      - .offset:         20
        .size:           4
        .value_kind:     by_value
      - .offset:         24
        .size:           8
        .value_kind:     by_value
      - .offset:         32
        .size:           8
        .value_kind:     by_value
      - .address_space:  global
        .offset:         40
        .size:           8
        .value_kind:     global_buffer
      - .address_space:  global
        .offset:         48
        .size:           8
        .value_kind:     global_buffer
      - .offset:         56
        .size:           4
        .value_kind:     hidden_block_count_x
      - .offset:         60
        .size:           4
        .value_kind:     hidden_block_count_y
      - .offset:         64
        .size:           4
        .value_kind:     hidden_block_count_z
      - .offset:         68
        .size:           2
        .value_kind:     hidden_group_size_x
      - .offset:         70
        .size:           2
        .value_kind:     hidden_group_size_y
      - .offset:         72
        .size:           2
        .value_kind:     hidden_group_size_z
      - .offset:         74
        .size:           2
        .value_kind:     hidden_remainder_x
      - .offset:         76
        .size:           2
        .value_kind:     hidden_remainder_y
      - .offset:         78
        .size:           2
        .value_kind:     hidden_remainder_z
      - .offset:         96
        .size:           8
        .value_kind:     hidden_global_offset_x
      - .offset:         104
        .size:           8
        .value_kind:     hidden_global_offset_y
      - .offset:         112
        .size:           8
        .value_kind:     hidden_global_offset_z
      - .offset:         120
        .size:           2
        .value_kind:     hidden_grid_dims
      - .offset:         176
        .size:           4
        .value_kind:     hidden_dynamic_lds_size
    .group_segment_fixed_size: 0
    .kernarg_segment_align: 8
    .kernarg_segment_size: 312
    .language:       OpenCL C
    .language_version:
      - 2
      - 0
    .max_flat_workgroup_size: 1024
    .name:           _ZN9rocsolver6v33100L17syevj_diag_kernelIddPdEEviT1_iilT0_PT_Pi
    .private_segment_fixed_size: 0
    .sgpr_count:     26
    .sgpr_spill_count: 0
    .symbol:         _ZN9rocsolver6v33100L17syevj_diag_kernelIddPdEEviT1_iilT0_PT_Pi.kd
    .uniform_work_group_size: 1
    .uses_dynamic_stack: false
    .vgpr_count:     36
    .vgpr_spill_count: 0
    .wavefront_size: 32
  - .args:
      - .offset:         0
        .size:           1
        .value_kind:     by_value
      - .offset:         4
        .size:           4
        .value_kind:     by_value
      - .address_space:  global
        .offset:         8
        .size:           8
        .value_kind:     global_buffer
      - .offset:         16
        .size:           4
        .value_kind:     by_value
      - .offset:         20
        .size:           4
        .value_kind:     by_value
      - .offset:         24
        .size:           8
        .value_kind:     by_value
      - .address_space:  global
        .offset:         32
        .size:           8
        .value_kind:     global_buffer
      - .address_space:  global
        .offset:         40
        .size:           8
        .value_kind:     global_buffer
      - .offset:         48
        .size:           4
        .value_kind:     hidden_block_count_x
      - .offset:         52
        .size:           4
        .value_kind:     hidden_block_count_y
      - .offset:         56
        .size:           4
        .value_kind:     hidden_block_count_z
      - .offset:         60
        .size:           2
        .value_kind:     hidden_group_size_x
      - .offset:         62
        .size:           2
        .value_kind:     hidden_group_size_y
      - .offset:         64
        .size:           2
        .value_kind:     hidden_group_size_z
      - .offset:         66
        .size:           2
        .value_kind:     hidden_remainder_x
      - .offset:         68
        .size:           2
        .value_kind:     hidden_remainder_y
      - .offset:         70
        .size:           2
        .value_kind:     hidden_remainder_z
      - .offset:         88
        .size:           8
        .value_kind:     hidden_global_offset_x
      - .offset:         96
        .size:           8
        .value_kind:     hidden_global_offset_y
      - .offset:         104
        .size:           8
        .value_kind:     hidden_global_offset_z
      - .offset:         112
        .size:           2
        .value_kind:     hidden_grid_dims
    .group_segment_fixed_size: 0
    .kernarg_segment_align: 8
    .kernarg_segment_size: 304
    .language:       OpenCL C
    .language_version:
      - 2
      - 0
    .max_flat_workgroup_size: 1024
    .name:           _ZN9rocsolver6v33100L21syevj_diag_rotate_orgILb0EddPdEEvbiT2_iilPT0_Pi
    .private_segment_fixed_size: 0
    .sgpr_count:     20
    .sgpr_spill_count: 0
    .symbol:         _ZN9rocsolver6v33100L21syevj_diag_rotate_orgILb0EddPdEEvbiT2_iilPT0_Pi.kd
    .uniform_work_group_size: 1
    .uses_dynamic_stack: false
    .vgpr_count:     12
    .vgpr_spill_count: 0
    .wavefront_size: 32
  - .args:
      - .offset:         0
        .size:           1
        .value_kind:     by_value
      - .offset:         4
        .size:           4
        .value_kind:     by_value
      - .address_space:  global
        .offset:         8
        .size:           8
        .value_kind:     global_buffer
      - .offset:         16
        .size:           4
        .value_kind:     by_value
      - .offset:         20
        .size:           4
        .value_kind:     by_value
      - .offset:         24
        .size:           8
        .value_kind:     by_value
      - .address_space:  global
        .offset:         32
        .size:           8
        .value_kind:     global_buffer
      - .address_space:  global
        .offset:         40
        .size:           8
        .value_kind:     global_buffer
      - .offset:         48
        .size:           4
        .value_kind:     hidden_block_count_x
      - .offset:         52
        .size:           4
        .value_kind:     hidden_block_count_y
      - .offset:         56
        .size:           4
        .value_kind:     hidden_block_count_z
      - .offset:         60
        .size:           2
        .value_kind:     hidden_group_size_x
      - .offset:         62
        .size:           2
        .value_kind:     hidden_group_size_y
      - .offset:         64
        .size:           2
        .value_kind:     hidden_group_size_z
      - .offset:         66
        .size:           2
        .value_kind:     hidden_remainder_x
      - .offset:         68
        .size:           2
        .value_kind:     hidden_remainder_y
      - .offset:         70
        .size:           2
        .value_kind:     hidden_remainder_z
      - .offset:         88
        .size:           8
        .value_kind:     hidden_global_offset_x
      - .offset:         96
        .size:           8
        .value_kind:     hidden_global_offset_y
      - .offset:         104
        .size:           8
        .value_kind:     hidden_global_offset_z
      - .offset:         112
        .size:           2
        .value_kind:     hidden_grid_dims
    .group_segment_fixed_size: 0
    .kernarg_segment_align: 8
    .kernarg_segment_size: 304
    .language:       OpenCL C
    .language_version:
      - 2
      - 0
    .max_flat_workgroup_size: 1024
    .name:           _ZN9rocsolver6v33100L21syevj_diag_rotate_orgILb1EddPdEEvbiT2_iilPT0_Pi
    .private_segment_fixed_size: 0
    .sgpr_count:     19
    .sgpr_spill_count: 0
    .symbol:         _ZN9rocsolver6v33100L21syevj_diag_rotate_orgILb1EddPdEEvbiT2_iilPT0_Pi.kd
    .uniform_work_group_size: 1
    .uses_dynamic_stack: false
    .vgpr_count:     12
    .vgpr_spill_count: 0
    .wavefront_size: 32
  - .args:
      - .offset:         0
        .size:           1
        .value_kind:     by_value
      - .offset:         4
        .size:           4
        .value_kind:     by_value
      - .offset:         8
        .size:           4
        .value_kind:     by_value
      - .address_space:  global
        .offset:         16
        .size:           8
        .value_kind:     global_buffer
      - .offset:         24
        .size:           4
        .value_kind:     by_value
      - .offset:         28
        .size:           4
        .value_kind:     by_value
      - .offset:         32
        .size:           8
        .value_kind:     by_value
      - .address_space:  global
        .offset:         40
        .size:           8
        .value_kind:     global_buffer
      - .address_space:  global
        .offset:         48
        .size:           8
        .value_kind:     global_buffer
      - .offset:         56
        .size:           4
        .value_kind:     by_value
      - .offset:         64
        .size:           4
        .value_kind:     hidden_block_count_x
      - .offset:         68
        .size:           4
        .value_kind:     hidden_block_count_y
      - .offset:         72
        .size:           4
        .value_kind:     hidden_block_count_z
      - .offset:         76
        .size:           2
        .value_kind:     hidden_group_size_x
      - .offset:         78
        .size:           2
        .value_kind:     hidden_group_size_y
      - .offset:         80
        .size:           2
        .value_kind:     hidden_group_size_z
      - .offset:         82
        .size:           2
        .value_kind:     hidden_remainder_x
      - .offset:         84
        .size:           2
        .value_kind:     hidden_remainder_y
      - .offset:         86
        .size:           2
        .value_kind:     hidden_remainder_z
      - .offset:         104
        .size:           8
        .value_kind:     hidden_global_offset_x
      - .offset:         112
        .size:           8
        .value_kind:     hidden_global_offset_y
      - .offset:         120
        .size:           8
        .value_kind:     hidden_global_offset_z
      - .offset:         128
        .size:           2
        .value_kind:     hidden_grid_dims
      - .offset:         144
        .size:           8
        .value_kind:     hidden_hostcall_buffer
      - .offset:         184
        .size:           4
        .value_kind:     hidden_dynamic_lds_size
    .group_segment_fixed_size: 0
    .kernarg_segment_align: 8
    .kernarg_segment_size: 320
    .language:       OpenCL C
    .language_version:
      - 2
      - 0
    .max_flat_workgroup_size: 1024
    .name:           _ZN9rocsolver6v33100L17syevj_diag_rotateILb0EddPdEEvbiiT2_iilPT0_Pii
    .private_segment_fixed_size: 64
    .sgpr_count:     62
    .sgpr_spill_count: 0
    .symbol:         _ZN9rocsolver6v33100L17syevj_diag_rotateILb0EddPdEEvbiiT2_iilPT0_Pii.kd
    .uniform_work_group_size: 1
    .uses_dynamic_stack: false
    .vgpr_count:     49
    .vgpr_spill_count: 0
    .wavefront_size: 32
  - .args:
      - .offset:         0
        .size:           1
        .value_kind:     by_value
      - .offset:         4
        .size:           4
        .value_kind:     by_value
      - .offset:         8
        .size:           4
        .value_kind:     by_value
      - .address_space:  global
        .offset:         16
        .size:           8
        .value_kind:     global_buffer
      - .offset:         24
        .size:           4
        .value_kind:     by_value
      - .offset:         28
        .size:           4
        .value_kind:     by_value
      - .offset:         32
        .size:           8
        .value_kind:     by_value
      - .address_space:  global
        .offset:         40
        .size:           8
        .value_kind:     global_buffer
      - .address_space:  global
        .offset:         48
        .size:           8
        .value_kind:     global_buffer
      - .offset:         56
        .size:           4
        .value_kind:     by_value
      - .offset:         64
        .size:           4
        .value_kind:     hidden_block_count_x
      - .offset:         68
        .size:           4
        .value_kind:     hidden_block_count_y
      - .offset:         72
        .size:           4
        .value_kind:     hidden_block_count_z
      - .offset:         76
        .size:           2
        .value_kind:     hidden_group_size_x
      - .offset:         78
        .size:           2
        .value_kind:     hidden_group_size_y
      - .offset:         80
        .size:           2
        .value_kind:     hidden_group_size_z
      - .offset:         82
        .size:           2
        .value_kind:     hidden_remainder_x
      - .offset:         84
        .size:           2
        .value_kind:     hidden_remainder_y
      - .offset:         86
        .size:           2
        .value_kind:     hidden_remainder_z
      - .offset:         104
        .size:           8
        .value_kind:     hidden_global_offset_x
      - .offset:         112
        .size:           8
        .value_kind:     hidden_global_offset_y
      - .offset:         120
        .size:           8
        .value_kind:     hidden_global_offset_z
      - .offset:         128
        .size:           2
        .value_kind:     hidden_grid_dims
      - .offset:         144
        .size:           8
        .value_kind:     hidden_hostcall_buffer
      - .offset:         184
        .size:           4
        .value_kind:     hidden_dynamic_lds_size
    .group_segment_fixed_size: 0
    .kernarg_segment_align: 8
    .kernarg_segment_size: 320
    .language:       OpenCL C
    .language_version:
      - 2
      - 0
    .max_flat_workgroup_size: 1024
    .name:           _ZN9rocsolver6v33100L17syevj_diag_rotateILb1EddPdEEvbiiT2_iilPT0_Pii
    .private_segment_fixed_size: 64
    .sgpr_count:     60
    .sgpr_spill_count: 0
    .symbol:         _ZN9rocsolver6v33100L17syevj_diag_rotateILb1EddPdEEvbiiT2_iilPT0_Pii.kd
    .uniform_work_group_size: 1
    .uses_dynamic_stack: false
    .vgpr_count:     49
    .vgpr_spill_count: 0
    .wavefront_size: 32
  - .args:
      - .offset:         0
        .size:           4
        .value_kind:     by_value
      - .offset:         4
        .size:           4
        .value_kind:     by_value
      - .address_space:  global
        .offset:         8
        .size:           8
        .value_kind:     global_buffer
      - .offset:         16
        .size:           4
        .value_kind:     by_value
      - .offset:         20
        .size:           4
        .value_kind:     by_value
      - .offset:         24
        .size:           8
        .value_kind:     by_value
      - .offset:         32
        .size:           8
        .value_kind:     by_value
      - .address_space:  global
        .offset:         40
        .size:           8
        .value_kind:     global_buffer
      - .address_space:  global
        .offset:         48
        .size:           8
        .value_kind:     global_buffer
      - .address_space:  global
        .offset:         56
        .size:           8
        .value_kind:     global_buffer
      - .address_space:  global
        .offset:         64
        .size:           8
        .value_kind:     global_buffer
      - .offset:         72
        .size:           4
        .value_kind:     hidden_block_count_x
      - .offset:         76
        .size:           4
        .value_kind:     hidden_block_count_y
      - .offset:         80
        .size:           4
        .value_kind:     hidden_block_count_z
      - .offset:         84
        .size:           2
        .value_kind:     hidden_group_size_x
      - .offset:         86
        .size:           2
        .value_kind:     hidden_group_size_y
      - .offset:         88
        .size:           2
        .value_kind:     hidden_group_size_z
      - .offset:         90
        .size:           2
        .value_kind:     hidden_remainder_x
      - .offset:         92
        .size:           2
        .value_kind:     hidden_remainder_y
      - .offset:         94
        .size:           2
        .value_kind:     hidden_remainder_z
      - .offset:         112
        .size:           8
        .value_kind:     hidden_global_offset_x
      - .offset:         120
        .size:           8
        .value_kind:     hidden_global_offset_y
      - .offset:         128
        .size:           8
        .value_kind:     hidden_global_offset_z
      - .offset:         136
        .size:           2
        .value_kind:     hidden_grid_dims
      - .offset:         192
        .size:           4
        .value_kind:     hidden_dynamic_lds_size
    .group_segment_fixed_size: 0
    .kernarg_segment_align: 8
    .kernarg_segment_size: 328
    .language:       OpenCL C
    .language_version:
      - 2
      - 0
    .max_flat_workgroup_size: 1024
    .name:           _ZN9rocsolver6v33100L21syevj_offd_kernel_orgIddPdEEviiT1_iilT0_PT_PiS7_S7_
    .private_segment_fixed_size: 0
    .sgpr_count:     25
    .sgpr_spill_count: 0
    .symbol:         _ZN9rocsolver6v33100L21syevj_offd_kernel_orgIddPdEEviiT1_iilT0_PT_PiS7_S7_.kd
    .uniform_work_group_size: 1
    .uses_dynamic_stack: false
    .vgpr_count:     52
    .vgpr_spill_count: 0
    .wavefront_size: 32
  - .args:
      - .offset:         0
        .size:           4
        .value_kind:     by_value
      - .offset:         4
        .size:           4
        .value_kind:     by_value
      - .address_space:  global
        .offset:         8
        .size:           8
        .value_kind:     global_buffer
      - .offset:         16
        .size:           4
        .value_kind:     by_value
      - .offset:         20
        .size:           4
        .value_kind:     by_value
      - .offset:         24
        .size:           8
        .value_kind:     by_value
      - .offset:         32
        .size:           8
        .value_kind:     by_value
      - .address_space:  global
        .offset:         40
        .size:           8
        .value_kind:     global_buffer
      - .address_space:  global
        .offset:         48
        .size:           8
        .value_kind:     global_buffer
      - .address_space:  global
        .offset:         56
        .size:           8
        .value_kind:     global_buffer
      - .address_space:  global
        .offset:         64
        .size:           8
        .value_kind:     global_buffer
      - .offset:         72
        .size:           4
        .value_kind:     by_value
      - .offset:         80
        .size:           4
        .value_kind:     hidden_block_count_x
      - .offset:         84
        .size:           4
        .value_kind:     hidden_block_count_y
      - .offset:         88
        .size:           4
        .value_kind:     hidden_block_count_z
      - .offset:         92
        .size:           2
        .value_kind:     hidden_group_size_x
      - .offset:         94
        .size:           2
        .value_kind:     hidden_group_size_y
      - .offset:         96
        .size:           2
        .value_kind:     hidden_group_size_z
      - .offset:         98
        .size:           2
        .value_kind:     hidden_remainder_x
      - .offset:         100
        .size:           2
        .value_kind:     hidden_remainder_y
      - .offset:         102
        .size:           2
        .value_kind:     hidden_remainder_z
      - .offset:         120
        .size:           8
        .value_kind:     hidden_global_offset_x
      - .offset:         128
        .size:           8
        .value_kind:     hidden_global_offset_y
      - .offset:         136
        .size:           8
        .value_kind:     hidden_global_offset_z
      - .offset:         144
        .size:           2
        .value_kind:     hidden_grid_dims
      - .offset:         200
        .size:           4
        .value_kind:     hidden_dynamic_lds_size
    .group_segment_fixed_size: 0
    .kernarg_segment_align: 8
    .kernarg_segment_size: 336
    .language:       OpenCL C
    .language_version:
      - 2
      - 0
    .max_flat_workgroup_size: 1024
    .name:           _ZN9rocsolver6v33100L17syevj_offd_kernelIddPdEEviiT1_iilT0_PT_PiS7_S7_i
    .private_segment_fixed_size: 0
    .sgpr_count:     69
    .sgpr_spill_count: 0
    .symbol:         _ZN9rocsolver6v33100L17syevj_offd_kernelIddPdEEviiT1_iilT0_PT_PiS7_S7_i.kd
    .uniform_work_group_size: 1
    .uses_dynamic_stack: false
    .vgpr_count:     46
    .vgpr_spill_count: 0
    .wavefront_size: 32
  - .args:
      - .offset:         0
        .size:           1
        .value_kind:     by_value
      - .offset:         4
        .size:           4
        .value_kind:     by_value
      - .offset:         8
        .size:           4
        .value_kind:     by_value
      - .address_space:  global
        .offset:         16
        .size:           8
        .value_kind:     global_buffer
      - .offset:         24
        .size:           4
        .value_kind:     by_value
      - .offset:         28
        .size:           4
        .value_kind:     by_value
      - .offset:         32
        .size:           8
        .value_kind:     by_value
      - .address_space:  global
        .offset:         40
        .size:           8
        .value_kind:     global_buffer
      - .address_space:  global
        .offset:         48
        .size:           8
        .value_kind:     global_buffer
      - .address_space:  global
        .offset:         56
        .size:           8
        .value_kind:     global_buffer
      - .address_space:  global
        .offset:         64
        .size:           8
        .value_kind:     global_buffer
      - .offset:         72
        .size:           4
        .value_kind:     hidden_block_count_x
      - .offset:         76
        .size:           4
        .value_kind:     hidden_block_count_y
      - .offset:         80
        .size:           4
        .value_kind:     hidden_block_count_z
      - .offset:         84
        .size:           2
        .value_kind:     hidden_group_size_x
      - .offset:         86
        .size:           2
        .value_kind:     hidden_group_size_y
      - .offset:         88
        .size:           2
        .value_kind:     hidden_group_size_z
      - .offset:         90
        .size:           2
        .value_kind:     hidden_remainder_x
      - .offset:         92
        .size:           2
        .value_kind:     hidden_remainder_y
      - .offset:         94
        .size:           2
        .value_kind:     hidden_remainder_z
      - .offset:         112
        .size:           8
        .value_kind:     hidden_global_offset_x
      - .offset:         120
        .size:           8
        .value_kind:     hidden_global_offset_y
      - .offset:         128
        .size:           8
        .value_kind:     hidden_global_offset_z
      - .offset:         136
        .size:           2
        .value_kind:     hidden_grid_dims
    .group_segment_fixed_size: 0
    .kernarg_segment_align: 8
    .kernarg_segment_size: 328
    .language:       OpenCL C
    .language_version:
      - 2
      - 0
    .max_flat_workgroup_size: 1024
    .name:           _ZN9rocsolver6v33100L21syevj_offd_rotate_orgILb0EddPdEEvbiiT2_iilPT0_PiS6_S6_
    .private_segment_fixed_size: 0
    .sgpr_count:     24
    .sgpr_spill_count: 0
    .symbol:         _ZN9rocsolver6v33100L21syevj_offd_rotate_orgILb0EddPdEEvbiiT2_iilPT0_PiS6_S6_.kd
    .uniform_work_group_size: 1
    .uses_dynamic_stack: false
    .vgpr_count:     12
    .vgpr_spill_count: 0
    .wavefront_size: 32
  - .args:
      - .offset:         0
        .size:           1
        .value_kind:     by_value
      - .offset:         4
        .size:           4
        .value_kind:     by_value
      - .offset:         8
        .size:           4
        .value_kind:     by_value
      - .address_space:  global
        .offset:         16
        .size:           8
        .value_kind:     global_buffer
      - .offset:         24
        .size:           4
        .value_kind:     by_value
      - .offset:         28
        .size:           4
        .value_kind:     by_value
      - .offset:         32
        .size:           8
        .value_kind:     by_value
      - .address_space:  global
        .offset:         40
        .size:           8
        .value_kind:     global_buffer
      - .address_space:  global
        .offset:         48
        .size:           8
        .value_kind:     global_buffer
      - .address_space:  global
        .offset:         56
        .size:           8
        .value_kind:     global_buffer
      - .address_space:  global
        .offset:         64
        .size:           8
        .value_kind:     global_buffer
      - .offset:         72
        .size:           4
        .value_kind:     by_value
      - .offset:         80
        .size:           4
        .value_kind:     hidden_block_count_x
      - .offset:         84
        .size:           4
        .value_kind:     hidden_block_count_y
      - .offset:         88
        .size:           4
        .value_kind:     hidden_block_count_z
      - .offset:         92
        .size:           2
        .value_kind:     hidden_group_size_x
      - .offset:         94
        .size:           2
        .value_kind:     hidden_group_size_y
      - .offset:         96
        .size:           2
        .value_kind:     hidden_group_size_z
      - .offset:         98
        .size:           2
        .value_kind:     hidden_remainder_x
      - .offset:         100
        .size:           2
        .value_kind:     hidden_remainder_y
      - .offset:         102
        .size:           2
        .value_kind:     hidden_remainder_z
      - .offset:         120
        .size:           8
        .value_kind:     hidden_global_offset_x
      - .offset:         128
        .size:           8
        .value_kind:     hidden_global_offset_y
      - .offset:         136
        .size:           8
        .value_kind:     hidden_global_offset_z
      - .offset:         144
        .size:           2
        .value_kind:     hidden_grid_dims
      - .offset:         200
        .size:           4
        .value_kind:     hidden_dynamic_lds_size
    .group_segment_fixed_size: 0
    .kernarg_segment_align: 8
    .kernarg_segment_size: 336
    .language:       OpenCL C
    .language_version:
      - 2
      - 0
    .max_flat_workgroup_size: 1024
    .name:           _ZN9rocsolver6v33100L17syevj_offd_rotateILb0EddPdEEvbiiT2_iilPT0_PiS6_S6_i
    .private_segment_fixed_size: 0
    .sgpr_count:     72
    .sgpr_spill_count: 0
    .symbol:         _ZN9rocsolver6v33100L17syevj_offd_rotateILb0EddPdEEvbiiT2_iilPT0_PiS6_S6_i.kd
    .uniform_work_group_size: 1
    .uses_dynamic_stack: false
    .vgpr_count:     22
    .vgpr_spill_count: 0
    .wavefront_size: 32
  - .args:
      - .offset:         0
        .size:           1
        .value_kind:     by_value
      - .offset:         4
        .size:           4
        .value_kind:     by_value
      - .offset:         8
        .size:           4
        .value_kind:     by_value
      - .address_space:  global
        .offset:         16
        .size:           8
        .value_kind:     global_buffer
      - .offset:         24
        .size:           4
        .value_kind:     by_value
      - .offset:         28
        .size:           4
        .value_kind:     by_value
      - .offset:         32
        .size:           8
        .value_kind:     by_value
      - .address_space:  global
        .offset:         40
        .size:           8
        .value_kind:     global_buffer
      - .address_space:  global
        .offset:         48
        .size:           8
        .value_kind:     global_buffer
      - .address_space:  global
        .offset:         56
        .size:           8
        .value_kind:     global_buffer
      - .address_space:  global
        .offset:         64
        .size:           8
        .value_kind:     global_buffer
      - .offset:         72
        .size:           4
        .value_kind:     hidden_block_count_x
      - .offset:         76
        .size:           4
        .value_kind:     hidden_block_count_y
      - .offset:         80
        .size:           4
        .value_kind:     hidden_block_count_z
      - .offset:         84
        .size:           2
        .value_kind:     hidden_group_size_x
      - .offset:         86
        .size:           2
        .value_kind:     hidden_group_size_y
      - .offset:         88
        .size:           2
        .value_kind:     hidden_group_size_z
      - .offset:         90
        .size:           2
        .value_kind:     hidden_remainder_x
      - .offset:         92
        .size:           2
        .value_kind:     hidden_remainder_y
      - .offset:         94
        .size:           2
        .value_kind:     hidden_remainder_z
      - .offset:         112
        .size:           8
        .value_kind:     hidden_global_offset_x
      - .offset:         120
        .size:           8
        .value_kind:     hidden_global_offset_y
      - .offset:         128
        .size:           8
        .value_kind:     hidden_global_offset_z
      - .offset:         136
        .size:           2
        .value_kind:     hidden_grid_dims
    .group_segment_fixed_size: 0
    .kernarg_segment_align: 8
    .kernarg_segment_size: 328
    .language:       OpenCL C
    .language_version:
      - 2
      - 0
    .max_flat_workgroup_size: 1024
    .name:           _ZN9rocsolver6v33100L21syevj_offd_rotate_orgILb1EddPdEEvbiiT2_iilPT0_PiS6_S6_
    .private_segment_fixed_size: 0
    .sgpr_count:     22
    .sgpr_spill_count: 0
    .symbol:         _ZN9rocsolver6v33100L21syevj_offd_rotate_orgILb1EddPdEEvbiiT2_iilPT0_PiS6_S6_.kd
    .uniform_work_group_size: 1
    .uses_dynamic_stack: false
    .vgpr_count:     12
    .vgpr_spill_count: 0
    .wavefront_size: 32
  - .args:
      - .offset:         0
        .size:           1
        .value_kind:     by_value
      - .offset:         4
        .size:           4
        .value_kind:     by_value
      - .offset:         8
        .size:           4
        .value_kind:     by_value
      - .address_space:  global
        .offset:         16
        .size:           8
        .value_kind:     global_buffer
      - .offset:         24
        .size:           4
        .value_kind:     by_value
      - .offset:         28
        .size:           4
        .value_kind:     by_value
      - .offset:         32
        .size:           8
        .value_kind:     by_value
      - .address_space:  global
        .offset:         40
        .size:           8
        .value_kind:     global_buffer
      - .address_space:  global
        .offset:         48
        .size:           8
        .value_kind:     global_buffer
      - .address_space:  global
        .offset:         56
        .size:           8
        .value_kind:     global_buffer
      - .address_space:  global
        .offset:         64
        .size:           8
        .value_kind:     global_buffer
      - .offset:         72
        .size:           4
        .value_kind:     by_value
      - .offset:         80
        .size:           4
        .value_kind:     hidden_block_count_x
      - .offset:         84
        .size:           4
        .value_kind:     hidden_block_count_y
      - .offset:         88
        .size:           4
        .value_kind:     hidden_block_count_z
      - .offset:         92
        .size:           2
        .value_kind:     hidden_group_size_x
      - .offset:         94
        .size:           2
        .value_kind:     hidden_group_size_y
      - .offset:         96
        .size:           2
        .value_kind:     hidden_group_size_z
      - .offset:         98
        .size:           2
        .value_kind:     hidden_remainder_x
      - .offset:         100
        .size:           2
        .value_kind:     hidden_remainder_y
      - .offset:         102
        .size:           2
        .value_kind:     hidden_remainder_z
      - .offset:         120
        .size:           8
        .value_kind:     hidden_global_offset_x
      - .offset:         128
        .size:           8
        .value_kind:     hidden_global_offset_y
      - .offset:         136
        .size:           8
        .value_kind:     hidden_global_offset_z
      - .offset:         144
        .size:           2
        .value_kind:     hidden_grid_dims
      - .offset:         200
        .size:           4
        .value_kind:     hidden_dynamic_lds_size
    .group_segment_fixed_size: 0
    .kernarg_segment_align: 8
    .kernarg_segment_size: 336
    .language:       OpenCL C
    .language_version:
      - 2
      - 0
    .max_flat_workgroup_size: 1024
    .name:           _ZN9rocsolver6v33100L17syevj_offd_rotateILb1EddPdEEvbiiT2_iilPT0_PiS6_S6_i
    .private_segment_fixed_size: 0
    .sgpr_count:     68
    .sgpr_spill_count: 0
    .symbol:         _ZN9rocsolver6v33100L17syevj_offd_rotateILb1EddPdEEvbiiT2_iilPT0_PiS6_S6_i.kd
    .uniform_work_group_size: 1
    .uses_dynamic_stack: false
    .vgpr_count:     24
    .vgpr_spill_count: 0
    .wavefront_size: 32
  - .args:
      - .offset:         0
        .size:           4
        .value_kind:     by_value
      - .address_space:  global
        .offset:         8
        .size:           8
        .value_kind:     global_buffer
      - .address_space:  global
        .offset:         16
        .size:           8
        .value_kind:     global_buffer
      - .offset:         24
        .size:           4
        .value_kind:     hidden_block_count_x
      - .offset:         28
        .size:           4
        .value_kind:     hidden_block_count_y
      - .offset:         32
        .size:           4
        .value_kind:     hidden_block_count_z
      - .offset:         36
        .size:           2
        .value_kind:     hidden_group_size_x
      - .offset:         38
        .size:           2
        .value_kind:     hidden_group_size_y
      - .offset:         40
        .size:           2
        .value_kind:     hidden_group_size_z
      - .offset:         42
        .size:           2
        .value_kind:     hidden_remainder_x
      - .offset:         44
        .size:           2
        .value_kind:     hidden_remainder_y
      - .offset:         46
        .size:           2
        .value_kind:     hidden_remainder_z
      - .offset:         64
        .size:           8
        .value_kind:     hidden_global_offset_x
      - .offset:         72
        .size:           8
        .value_kind:     hidden_global_offset_y
      - .offset:         80
        .size:           8
        .value_kind:     hidden_global_offset_z
      - .offset:         88
        .size:           2
        .value_kind:     hidden_grid_dims
    .group_segment_fixed_size: 0
    .kernarg_segment_align: 8
    .kernarg_segment_size: 280
    .language:       OpenCL C
    .language_version:
      - 2
      - 0
    .max_flat_workgroup_size: 1024
    .name:           _ZN9rocsolver6v33100L17syevj_cycle_pairsIdEEviPiS2_
    .private_segment_fixed_size: 0
    .sgpr_count:     18
    .sgpr_spill_count: 0
    .symbol:         _ZN9rocsolver6v33100L17syevj_cycle_pairsIdEEviPiS2_.kd
    .uniform_work_group_size: 1
    .uses_dynamic_stack: false
    .vgpr_count:     10
    .vgpr_spill_count: 0
    .wavefront_size: 32
  - .args:
      - .offset:         0
        .size:           4
        .value_kind:     by_value
      - .offset:         4
        .size:           4
        .value_kind:     by_value
      - .address_space:  global
        .offset:         8
        .size:           8
        .value_kind:     global_buffer
      - .address_space:  global
        .offset:         16
        .size:           8
        .value_kind:     global_buffer
      - .address_space:  global
        .offset:         24
        .size:           8
        .value_kind:     global_buffer
      - .address_space:  global
        .offset:         32
        .size:           8
        .value_kind:     global_buffer
      - .offset:         40
        .size:           4
        .value_kind:     hidden_block_count_x
      - .offset:         44
        .size:           4
        .value_kind:     hidden_block_count_y
      - .offset:         48
        .size:           4
        .value_kind:     hidden_block_count_z
      - .offset:         52
        .size:           2
        .value_kind:     hidden_group_size_x
      - .offset:         54
        .size:           2
        .value_kind:     hidden_group_size_y
      - .offset:         56
        .size:           2
        .value_kind:     hidden_group_size_z
      - .offset:         58
        .size:           2
        .value_kind:     hidden_remainder_x
      - .offset:         60
        .size:           2
        .value_kind:     hidden_remainder_y
      - .offset:         62
        .size:           2
        .value_kind:     hidden_remainder_z
      - .offset:         80
        .size:           8
        .value_kind:     hidden_global_offset_x
      - .offset:         88
        .size:           8
        .value_kind:     hidden_global_offset_y
      - .offset:         96
        .size:           8
        .value_kind:     hidden_global_offset_z
      - .offset:         104
        .size:           2
        .value_kind:     hidden_grid_dims
      - .offset:         160
        .size:           4
        .value_kind:     hidden_dynamic_lds_size
    .group_segment_fixed_size: 0
    .kernarg_segment_align: 8
    .kernarg_segment_size: 296
    .language:       OpenCL C
    .language_version:
      - 2
      - 0
    .max_flat_workgroup_size: 1024
    .name:           _ZN9rocsolver6v33100L15syevj_calc_normIddEEviiPT0_PT_S3_Pi
    .private_segment_fixed_size: 0
    .sgpr_count:     23
    .sgpr_spill_count: 0
    .symbol:         _ZN9rocsolver6v33100L15syevj_calc_normIddEEviiPT0_PT_S3_Pi.kd
    .uniform_work_group_size: 1
    .uses_dynamic_stack: false
    .vgpr_count:     13
    .vgpr_spill_count: 0
    .wavefront_size: 32
  - .args:
      - .offset:         0
        .size:           4
        .value_kind:     by_value
      - .offset:         4
        .size:           4
        .value_kind:     by_value
      - .offset:         8
        .size:           4
        .value_kind:     by_value
      - .address_space:  global
        .offset:         16
        .size:           8
        .value_kind:     global_buffer
      - .offset:         24
        .size:           4
        .value_kind:     by_value
      - .offset:         28
        .size:           4
        .value_kind:     by_value
      - .offset:         32
        .size:           8
        .value_kind:     by_value
      - .address_space:  global
        .offset:         40
        .size:           8
        .value_kind:     global_buffer
      - .offset:         48
        .size:           4
        .value_kind:     by_value
      - .address_space:  global
        .offset:         56
        .size:           8
        .value_kind:     global_buffer
      - .address_space:  global
        .offset:         64
        .size:           8
        .value_kind:     global_buffer
      - .offset:         72
        .size:           8
        .value_kind:     by_value
      - .address_space:  global
        .offset:         80
        .size:           8
        .value_kind:     global_buffer
      - .address_space:  global
        .offset:         88
        .size:           8
        .value_kind:     global_buffer
      - .address_space:  global
        .offset:         96
        .size:           8
        .value_kind:     global_buffer
      - .offset:         104
        .size:           4
        .value_kind:     hidden_block_count_x
      - .offset:         108
        .size:           4
        .value_kind:     hidden_block_count_y
      - .offset:         112
        .size:           4
        .value_kind:     hidden_block_count_z
      - .offset:         116
        .size:           2
        .value_kind:     hidden_group_size_x
      - .offset:         118
        .size:           2
        .value_kind:     hidden_group_size_y
      - .offset:         120
        .size:           2
        .value_kind:     hidden_group_size_z
      - .offset:         122
        .size:           2
        .value_kind:     hidden_remainder_x
      - .offset:         124
        .size:           2
        .value_kind:     hidden_remainder_y
      - .offset:         126
        .size:           2
        .value_kind:     hidden_remainder_z
      - .offset:         144
        .size:           8
        .value_kind:     hidden_global_offset_x
      - .offset:         152
        .size:           8
        .value_kind:     hidden_global_offset_y
      - .offset:         160
        .size:           8
        .value_kind:     hidden_global_offset_z
      - .offset:         168
        .size:           2
        .value_kind:     hidden_grid_dims
    .group_segment_fixed_size: 0
    .kernarg_segment_align: 8
    .kernarg_segment_size: 360
    .language:       OpenCL C
    .language_version:
      - 2
      - 0
    .max_flat_workgroup_size: 1024
    .name:           _ZN9rocsolver6v33100L14syevj_finalizeIddPdEEv14rocblas_esort_14rocblas_evect_iT1_iilPT0_iPiS7_lS8_PT_S8_
    .private_segment_fixed_size: 0
    .sgpr_count:     29
    .sgpr_spill_count: 0
    .symbol:         _ZN9rocsolver6v33100L14syevj_finalizeIddPdEEv14rocblas_esort_14rocblas_evect_iT1_iilPT0_iPiS7_lS8_PT_S8_.kd
    .uniform_work_group_size: 1
    .uses_dynamic_stack: false
    .vgpr_count:     10
    .vgpr_spill_count: 0
    .wavefront_size: 32
  - .args:
      - .offset:         0
        .size:           4
        .value_kind:     by_value
      - .offset:         4
        .size:           4
        .value_kind:     by_value
      - .address_space:  global
        .offset:         8
        .size:           8
        .value_kind:     global_buffer
      - .offset:         16
        .size:           8
        .value_kind:     by_value
      - .offset:         24
        .size:           4
        .value_kind:     by_value
      - .offset:         32
        .size:           8
        .value_kind:     by_value
      - .address_space:  global
        .offset:         40
        .size:           8
        .value_kind:     global_buffer
      - .offset:         48
        .size:           8
        .value_kind:     by_value
      - .address_space:  global
        .offset:         56
        .size:           8
        .value_kind:     global_buffer
      - .offset:         64
        .size:           8
        .value_kind:     by_value
    .group_segment_fixed_size: 0
    .kernarg_segment_align: 8
    .kernarg_segment_size: 72
    .language:       OpenCL C
    .language_version:
      - 2
      - 0
    .max_flat_workgroup_size: 256
    .name:           _ZN9rocsolver6v33100L18geqr2_kernel_smallILi256EdidPdEEvT1_S3_T3_lS3_lPT2_lPT0_l
    .private_segment_fixed_size: 0
    .sgpr_count:     38
    .sgpr_spill_count: 0
    .symbol:         _ZN9rocsolver6v33100L18geqr2_kernel_smallILi256EdidPdEEvT1_S3_T3_lS3_lPT2_lPT0_l.kd
    .uniform_work_group_size: 1
    .uses_dynamic_stack: false
    .vgpr_count:     38
    .vgpr_spill_count: 0
    .wavefront_size: 32
  - .args:
      - .address_space:  global
        .offset:         0
        .size:           8
        .value_kind:     global_buffer
      - .offset:         8
        .size:           8
        .value_kind:     by_value
      - .offset:         16
        .size:           4
        .value_kind:     by_value
      - .offset:         20
        .size:           4
        .value_kind:     by_value
      - .offset:         24
        .size:           4
        .value_kind:     hidden_block_count_x
      - .offset:         28
        .size:           4
        .value_kind:     hidden_block_count_y
      - .offset:         32
        .size:           4
        .value_kind:     hidden_block_count_z
      - .offset:         36
        .size:           2
        .value_kind:     hidden_group_size_x
      - .offset:         38
        .size:           2
        .value_kind:     hidden_group_size_y
      - .offset:         40
        .size:           2
        .value_kind:     hidden_group_size_z
      - .offset:         42
        .size:           2
        .value_kind:     hidden_remainder_x
      - .offset:         44
        .size:           2
        .value_kind:     hidden_remainder_y
      - .offset:         46
        .size:           2
        .value_kind:     hidden_remainder_z
      - .offset:         64
        .size:           8
        .value_kind:     hidden_global_offset_x
      - .offset:         72
        .size:           8
        .value_kind:     hidden_global_offset_y
      - .offset:         80
        .size:           8
        .value_kind:     hidden_global_offset_z
      - .offset:         88
        .size:           2
        .value_kind:     hidden_grid_dims
    .group_segment_fixed_size: 0
    .kernarg_segment_align: 8
    .kernarg_segment_size: 280
    .language:       OpenCL C
    .language_version:
      - 2
      - 0
    .max_flat_workgroup_size: 1024
    .name:           _ZN9rocsolver6v33100L16reset_batch_infoIdiiPdEEvT2_lT0_T1_
    .private_segment_fixed_size: 0
    .sgpr_count:     10
    .sgpr_spill_count: 0
    .symbol:         _ZN9rocsolver6v33100L16reset_batch_infoIdiiPdEEvT2_lT0_T1_.kd
    .uniform_work_group_size: 1
    .uses_dynamic_stack: false
    .vgpr_count:     4
    .vgpr_spill_count: 0
    .wavefront_size: 32
  - .args:
      - .address_space:  global
        .offset:         0
        .size:           8
        .value_kind:     global_buffer
      - .offset:         8
        .size:           8
        .value_kind:     by_value
      - .offset:         16
        .size:           8
        .value_kind:     by_value
      - .address_space:  global
        .offset:         24
        .size:           8
        .value_kind:     global_buffer
      - .offset:         32
        .size:           8
        .value_kind:     by_value
      - .offset:         40
        .size:           4
        .value_kind:     by_value
      - .offset:         48
        .size:           8
        .value_kind:     by_value
      - .offset:         56
        .size:           4
        .value_kind:     by_value
      - .offset:         60
        .size:           1
        .value_kind:     by_value
      - .offset:         64
        .size:           4
        .value_kind:     hidden_block_count_x
      - .offset:         68
        .size:           4
        .value_kind:     hidden_block_count_y
      - .offset:         72
        .size:           4
        .value_kind:     hidden_block_count_z
      - .offset:         76
        .size:           2
        .value_kind:     hidden_group_size_x
      - .offset:         78
        .size:           2
        .value_kind:     hidden_group_size_y
      - .offset:         80
        .size:           2
        .value_kind:     hidden_group_size_z
      - .offset:         82
        .size:           2
        .value_kind:     hidden_remainder_x
      - .offset:         84
        .size:           2
        .value_kind:     hidden_remainder_y
      - .offset:         86
        .size:           2
        .value_kind:     hidden_remainder_z
      - .offset:         104
        .size:           8
        .value_kind:     hidden_global_offset_x
      - .offset:         112
        .size:           8
        .value_kind:     hidden_global_offset_y
      - .offset:         120
        .size:           8
        .value_kind:     hidden_global_offset_z
      - .offset:         128
        .size:           2
        .value_kind:     hidden_grid_dims
    .group_segment_fixed_size: 0
    .kernarg_segment_align: 8
    .kernarg_segment_size: 320
    .language:       OpenCL C
    .language_version:
      - 2
      - 0
    .max_flat_workgroup_size: 1024
    .name:           _ZN9rocsolver6v33100L8set_diagIdidPdTnNSt9enable_ifIXoont18rocblas_is_complexIT_E18rocblas_is_complexIT1_EEiE4typeELi0EEEvPS5_llT2_lT0_lSA_b
    .private_segment_fixed_size: 0
    .sgpr_count:     22
    .sgpr_spill_count: 0
    .symbol:         _ZN9rocsolver6v33100L8set_diagIdidPdTnNSt9enable_ifIXoont18rocblas_is_complexIT_E18rocblas_is_complexIT1_EEiE4typeELi0EEEvPS5_llT2_lT0_lSA_b.kd
    .uniform_work_group_size: 1
    .uses_dynamic_stack: false
    .vgpr_count:     6
    .vgpr_spill_count: 0
    .wavefront_size: 32
  - .args:
      - .address_space:  global
        .offset:         0
        .size:           8
        .value_kind:     global_buffer
      - .offset:         8
        .size:           8
        .value_kind:     by_value
      - .address_space:  global
        .offset:         16
        .size:           8
        .value_kind:     global_buffer
      - .address_space:  global
        .offset:         24
        .size:           8
        .value_kind:     global_buffer
      - .offset:         32
        .size:           8
        .value_kind:     by_value
      - .offset:         40
        .size:           8
        .value_kind:     by_value
      - .address_space:  global
        .offset:         48
        .size:           8
        .value_kind:     global_buffer
      - .offset:         56
        .size:           8
        .value_kind:     by_value
      - .offset:         64
        .size:           8
        .value_kind:     by_value
    .group_segment_fixed_size: 0
    .kernarg_segment_align: 8
    .kernarg_segment_size: 72
    .language:       OpenCL C
    .language_version:
      - 2
      - 0
    .max_flat_workgroup_size: 1024
    .name:           _ZN9rocsolver6v33100L11set_taubetaIdidPdEEvPT_lS4_T2_llPT1_ll
    .private_segment_fixed_size: 0
    .sgpr_count:     25
    .sgpr_spill_count: 0
    .symbol:         _ZN9rocsolver6v33100L11set_taubetaIdidPdEEvPT_lS4_T2_llPT1_ll.kd
    .uniform_work_group_size: 1
    .uses_dynamic_stack: false
    .vgpr_count:     13
    .vgpr_spill_count: 0
    .wavefront_size: 32
  - .args:
      - .offset:         0
        .size:           4
        .value_kind:     by_value
      - .offset:         4
        .size:           4
        .value_kind:     by_value
      - .address_space:  global
        .offset:         8
        .size:           8
        .value_kind:     global_buffer
      - .offset:         16
        .size:           8
        .value_kind:     by_value
      - .offset:         24
        .size:           4
        .value_kind:     by_value
      - .offset:         32
        .size:           8
        .value_kind:     by_value
    .group_segment_fixed_size: 0
    .kernarg_segment_align: 8
    .kernarg_segment_size: 40
    .language:       OpenCL C
    .language_version:
      - 2
      - 0
    .max_flat_workgroup_size: 1024
    .name:           _ZN9rocsolver6v33100L13conj_in_placeIdiPdTnNSt9enable_ifIXnt18rocblas_is_complexIT_EEiE4typeELi0EEEvT0_S7_T1_lS7_l
    .private_segment_fixed_size: 0
    .sgpr_count:     0
    .sgpr_spill_count: 0
    .symbol:         _ZN9rocsolver6v33100L13conj_in_placeIdiPdTnNSt9enable_ifIXnt18rocblas_is_complexIT_EEiE4typeELi0EEEvT0_S7_T1_lS7_l.kd
    .uniform_work_group_size: 1
    .uses_dynamic_stack: false
    .vgpr_count:     0
    .vgpr_spill_count: 0
    .wavefront_size: 32
  - .args:
      - .offset:         0
        .size:           4
        .value_kind:     by_value
      - .offset:         4
        .size:           4
        .value_kind:     by_value
      - .address_space:  global
        .offset:         8
        .size:           8
        .value_kind:     global_buffer
      - .offset:         16
        .size:           8
        .value_kind:     by_value
      - .offset:         24
        .size:           4
        .value_kind:     by_value
      - .offset:         32
        .size:           8
        .value_kind:     by_value
      - .address_space:  global
        .offset:         40
        .size:           8
        .value_kind:     global_buffer
      - .offset:         48
        .size:           8
        .value_kind:     by_value
      - .address_space:  global
        .offset:         56
        .size:           8
        .value_kind:     global_buffer
      - .offset:         64
        .size:           8
        .value_kind:     by_value
      - .offset:         72
        .size:           4
        .value_kind:     by_value
      - .offset:         80
        .size:           8
        .value_kind:     by_value
    .group_segment_fixed_size: 0
    .kernarg_segment_align: 8
    .kernarg_segment_size: 88
    .language:       OpenCL C
    .language_version:
      - 2
      - 0
    .max_flat_workgroup_size: 1024
    .name:           _ZN9rocsolver6v33100L16larf_left_kernelILi1024EdiPdEEvT1_S3_T2_lS3_lPKT0_lS4_lS3_l
    .private_segment_fixed_size: 0
    .sgpr_count:     28
    .sgpr_spill_count: 0
    .symbol:         _ZN9rocsolver6v33100L16larf_left_kernelILi1024EdiPdEEvT1_S3_T2_lS3_lPKT0_lS4_lS3_l.kd
    .uniform_work_group_size: 1
    .uses_dynamic_stack: false
    .vgpr_count:     14
    .vgpr_spill_count: 0
    .wavefront_size: 32
  - .args:
      - .offset:         0
        .size:           4
        .value_kind:     by_value
      - .offset:         4
        .size:           4
        .value_kind:     by_value
      - .address_space:  global
        .offset:         8
        .size:           8
        .value_kind:     global_buffer
      - .offset:         16
        .size:           8
        .value_kind:     by_value
      - .offset:         24
        .size:           4
        .value_kind:     by_value
      - .offset:         32
        .size:           8
        .value_kind:     by_value
      - .address_space:  global
        .offset:         40
        .size:           8
        .value_kind:     global_buffer
      - .offset:         48
        .size:           8
        .value_kind:     by_value
      - .address_space:  global
        .offset:         56
        .size:           8
        .value_kind:     global_buffer
      - .offset:         64
        .size:           8
        .value_kind:     by_value
      - .offset:         72
        .size:           4
        .value_kind:     by_value
      - .offset:         80
        .size:           8
        .value_kind:     by_value
    .group_segment_fixed_size: 0
    .kernarg_segment_align: 8
    .kernarg_segment_size: 88
    .language:       OpenCL C
    .language_version:
      - 2
      - 0
    .max_flat_workgroup_size: 1024
    .name:           _ZN9rocsolver6v33100L17larf_right_kernelILi1024EdiPdEEvT1_S3_T2_lS3_lPKT0_lS4_lS3_l
    .private_segment_fixed_size: 0
    .sgpr_count:     28
    .sgpr_spill_count: 0
    .symbol:         _ZN9rocsolver6v33100L17larf_right_kernelILi1024EdiPdEEvT1_S3_T2_lS3_lPKT0_lS4_lS3_l.kd
    .uniform_work_group_size: 1
    .uses_dynamic_stack: false
    .vgpr_count:     16
    .vgpr_spill_count: 0
    .wavefront_size: 32
  - .args:
      - .address_space:  global
        .offset:         0
        .size:           8
        .value_kind:     global_buffer
      - .offset:         8
        .size:           8
        .value_kind:     by_value
      - .offset:         16
        .size:           8
        .value_kind:     by_value
      - .address_space:  global
        .offset:         24
        .size:           8
        .value_kind:     global_buffer
      - .offset:         32
        .size:           8
        .value_kind:     by_value
      - .offset:         40
        .size:           4
        .value_kind:     by_value
      - .offset:         48
        .size:           8
        .value_kind:     by_value
      - .offset:         56
        .size:           4
        .value_kind:     by_value
      - .offset:         64
        .size:           4
        .value_kind:     hidden_block_count_x
      - .offset:         68
        .size:           4
        .value_kind:     hidden_block_count_y
      - .offset:         72
        .size:           4
        .value_kind:     hidden_block_count_z
      - .offset:         76
        .size:           2
        .value_kind:     hidden_group_size_x
      - .offset:         78
        .size:           2
        .value_kind:     hidden_group_size_y
      - .offset:         80
        .size:           2
        .value_kind:     hidden_group_size_z
      - .offset:         82
        .size:           2
        .value_kind:     hidden_remainder_x
      - .offset:         84
        .size:           2
        .value_kind:     hidden_remainder_y
      - .offset:         86
        .size:           2
        .value_kind:     hidden_remainder_z
      - .offset:         104
        .size:           8
        .value_kind:     hidden_global_offset_x
      - .offset:         112
        .size:           8
        .value_kind:     hidden_global_offset_y
      - .offset:         120
        .size:           8
        .value_kind:     hidden_global_offset_z
      - .offset:         128
        .size:           2
        .value_kind:     hidden_grid_dims
    .group_segment_fixed_size: 0
    .kernarg_segment_align: 8
    .kernarg_segment_size: 320
    .language:       OpenCL C
    .language_version:
      - 2
      - 0
    .max_flat_workgroup_size: 1024
    .name:           _ZN9rocsolver6v33100L12restore_diagIdidPdEEvPT1_llT2_lT0_lS6_
    .private_segment_fixed_size: 0
    .sgpr_count:     13
    .sgpr_spill_count: 0
    .symbol:         _ZN9rocsolver6v33100L12restore_diagIdidPdEEvPT1_llT2_lT0_lS6_.kd
    .uniform_work_group_size: 1
    .uses_dynamic_stack: false
    .vgpr_count:     4
    .vgpr_spill_count: 0
    .wavefront_size: 32
  - .args:
      - .offset:         0
        .size:           4
        .value_kind:     by_value
      - .offset:         4
        .size:           4
        .value_kind:     by_value
      - .address_space:  global
        .offset:         8
        .size:           8
        .value_kind:     global_buffer
      - .offset:         16
        .size:           4
        .value_kind:     by_value
      - .offset:         20
        .size:           4
        .value_kind:     by_value
      - .offset:         24
        .size:           8
        .value_kind:     by_value
      - .address_space:  global
        .offset:         32
        .size:           8
        .value_kind:     global_buffer
      - .offset:         40
        .size:           8
        .value_kind:     by_value
      - .address_space:  global
        .offset:         48
        .size:           8
        .value_kind:     global_buffer
      - .offset:         56
        .size:           4
        .value_kind:     by_value
      - .offset:         64
        .size:           8
        .value_kind:     by_value
      - .offset:         72
        .size:           4
        .value_kind:     by_value
      - .offset:         76
        .size:           4
        .value_kind:     by_value
      - .offset:         80
        .size:           1
        .value_kind:     by_value
      - .offset:         88
        .size:           4
        .value_kind:     hidden_block_count_x
      - .offset:         92
        .size:           4
        .value_kind:     hidden_block_count_y
      - .offset:         96
        .size:           4
        .value_kind:     hidden_block_count_z
      - .offset:         100
        .size:           2
        .value_kind:     hidden_group_size_x
      - .offset:         102
        .size:           2
        .value_kind:     hidden_group_size_y
      - .offset:         104
        .size:           2
        .value_kind:     hidden_group_size_z
      - .offset:         106
        .size:           2
        .value_kind:     hidden_remainder_x
      - .offset:         108
        .size:           2
        .value_kind:     hidden_remainder_y
      - .offset:         110
        .size:           2
        .value_kind:     hidden_remainder_z
      - .offset:         128
        .size:           8
        .value_kind:     hidden_global_offset_x
      - .offset:         136
        .size:           8
        .value_kind:     hidden_global_offset_y
      - .offset:         144
        .size:           8
        .value_kind:     hidden_global_offset_z
      - .offset:         152
        .size:           2
        .value_kind:     hidden_grid_dims
    .group_segment_fixed_size: 0
    .kernarg_segment_align: 8
    .kernarg_segment_size: 344
    .language:       OpenCL C
    .language_version:
      - 2
      - 0
    .max_flat_workgroup_size: 1024
    .name:           _ZN9rocsolver6v33100L14set_triangularIdPdTnNSt9enable_ifIXnt18rocblas_is_complexIT_EEiE4typeELi0EEEviiT0_iilPS4_lS8_il15rocblas_direct_15rocblas_storev_b
    .private_segment_fixed_size: 0
    .sgpr_count:     24
    .sgpr_spill_count: 0
    .symbol:         _ZN9rocsolver6v33100L14set_triangularIdPdTnNSt9enable_ifIXnt18rocblas_is_complexIT_EEiE4typeELi0EEEviiT0_iilPS4_lS8_il15rocblas_direct_15rocblas_storev_b.kd
    .uniform_work_group_size: 1
    .uses_dynamic_stack: false
    .vgpr_count:     14
    .vgpr_spill_count: 0
    .wavefront_size: 32
  - .args:
      - .offset:         0
        .size:           4
        .value_kind:     by_value
      - .address_space:  global
        .offset:         8
        .size:           8
        .value_kind:     global_buffer
      - .offset:         16
        .size:           8
        .value_kind:     by_value
      - .offset:         24
        .size:           4
        .value_kind:     hidden_block_count_x
      - .offset:         28
        .size:           4
        .value_kind:     hidden_block_count_y
      - .offset:         32
        .size:           4
        .value_kind:     hidden_block_count_z
      - .offset:         36
        .size:           2
        .value_kind:     hidden_group_size_x
      - .offset:         38
        .size:           2
        .value_kind:     hidden_group_size_y
      - .offset:         40
        .size:           2
        .value_kind:     hidden_group_size_z
      - .offset:         42
        .size:           2
        .value_kind:     hidden_remainder_x
      - .offset:         44
        .size:           2
        .value_kind:     hidden_remainder_y
      - .offset:         46
        .size:           2
        .value_kind:     hidden_remainder_z
      - .offset:         64
        .size:           8
        .value_kind:     hidden_global_offset_x
      - .offset:         72
        .size:           8
        .value_kind:     hidden_global_offset_y
      - .offset:         80
        .size:           8
        .value_kind:     hidden_global_offset_z
      - .offset:         88
        .size:           2
        .value_kind:     hidden_grid_dims
    .group_segment_fixed_size: 0
    .kernarg_segment_align: 8
    .kernarg_segment_size: 280
    .language:       OpenCL C
    .language_version:
      - 2
      - 0
    .max_flat_workgroup_size: 1024
    .name:           _ZN9rocsolver6v33100L7set_tauIdEEviPT_l
    .private_segment_fixed_size: 0
    .sgpr_count:     10
    .sgpr_spill_count: 0
    .symbol:         _ZN9rocsolver6v33100L7set_tauIdEEviPT_l.kd
    .uniform_work_group_size: 1
    .uses_dynamic_stack: false
    .vgpr_count:     4
    .vgpr_spill_count: 0
    .wavefront_size: 32
  - .args:
      - .offset:         0
        .size:           4
        .value_kind:     by_value
      - .offset:         4
        .size:           4
        .value_kind:     by_value
      - .offset:         8
        .size:           4
        .value_kind:     by_value
      - .address_space:  global
        .offset:         16
        .size:           8
        .value_kind:     global_buffer
      - .offset:         24
        .size:           4
        .value_kind:     by_value
      - .offset:         28
        .size:           4
        .value_kind:     by_value
      - .offset:         32
        .size:           8
        .value_kind:     by_value
      - .address_space:  global
        .offset:         40
        .size:           8
        .value_kind:     global_buffer
      - .offset:         48
        .size:           8
        .value_kind:     by_value
      - .address_space:  global
        .offset:         56
        .size:           8
        .value_kind:     global_buffer
      - .offset:         64
        .size:           4
        .value_kind:     by_value
      - .offset:         72
        .size:           8
        .value_kind:     by_value
      - .offset:         80
        .size:           4
        .value_kind:     hidden_block_count_x
      - .offset:         84
        .size:           4
        .value_kind:     hidden_block_count_y
      - .offset:         88
        .size:           4
        .value_kind:     hidden_block_count_z
      - .offset:         92
        .size:           2
        .value_kind:     hidden_group_size_x
      - .offset:         94
        .size:           2
        .value_kind:     hidden_group_size_y
      - .offset:         96
        .size:           2
        .value_kind:     hidden_group_size_z
      - .offset:         98
        .size:           2
        .value_kind:     hidden_remainder_x
      - .offset:         100
        .size:           2
        .value_kind:     hidden_remainder_y
      - .offset:         102
        .size:           2
        .value_kind:     hidden_remainder_z
      - .offset:         120
        .size:           8
        .value_kind:     hidden_global_offset_x
      - .offset:         128
        .size:           8
        .value_kind:     hidden_global_offset_y
      - .offset:         136
        .size:           8
        .value_kind:     hidden_global_offset_z
      - .offset:         144
        .size:           2
        .value_kind:     hidden_grid_dims
      - .offset:         200
        .size:           4
        .value_kind:     hidden_dynamic_lds_size
    .group_segment_fixed_size: 0
    .kernarg_segment_align: 8
    .kernarg_segment_size: 336
    .language:       OpenCL C
    .language_version:
      - 2
      - 0
    .max_flat_workgroup_size: 1024
    .name:           _ZN9rocsolver6v33100L20larft_kernel_forwardIdPdEEv15rocblas_storev_iiT0_iilPT_lS6_il
    .private_segment_fixed_size: 0
    .sgpr_count:     46
    .sgpr_spill_count: 0
    .symbol:         _ZN9rocsolver6v33100L20larft_kernel_forwardIdPdEEv15rocblas_storev_iiT0_iilPT_lS6_il.kd
    .uniform_work_group_size: 1
    .uses_dynamic_stack: false
    .vgpr_count:     20
    .vgpr_spill_count: 0
    .wavefront_size: 32
  - .args:
      - .offset:         0
        .size:           4
        .value_kind:     by_value
      - .offset:         4
        .size:           4
        .value_kind:     by_value
      - .offset:         8
        .size:           4
        .value_kind:     by_value
      - .address_space:  global
        .offset:         16
        .size:           8
        .value_kind:     global_buffer
      - .offset:         24
        .size:           4
        .value_kind:     by_value
      - .offset:         28
        .size:           4
        .value_kind:     by_value
      - .offset:         32
        .size:           8
        .value_kind:     by_value
      - .address_space:  global
        .offset:         40
        .size:           8
        .value_kind:     global_buffer
      - .offset:         48
        .size:           8
        .value_kind:     by_value
      - .address_space:  global
        .offset:         56
        .size:           8
        .value_kind:     global_buffer
      - .offset:         64
        .size:           4
        .value_kind:     by_value
      - .offset:         72
        .size:           8
        .value_kind:     by_value
      - .offset:         80
        .size:           4
        .value_kind:     hidden_block_count_x
      - .offset:         84
        .size:           4
        .value_kind:     hidden_block_count_y
      - .offset:         88
        .size:           4
        .value_kind:     hidden_block_count_z
      - .offset:         92
        .size:           2
        .value_kind:     hidden_group_size_x
      - .offset:         94
        .size:           2
        .value_kind:     hidden_group_size_y
      - .offset:         96
        .size:           2
        .value_kind:     hidden_group_size_z
      - .offset:         98
        .size:           2
        .value_kind:     hidden_remainder_x
      - .offset:         100
        .size:           2
        .value_kind:     hidden_remainder_y
      - .offset:         102
        .size:           2
        .value_kind:     hidden_remainder_z
      - .offset:         120
        .size:           8
        .value_kind:     hidden_global_offset_x
      - .offset:         128
        .size:           8
        .value_kind:     hidden_global_offset_y
      - .offset:         136
        .size:           8
        .value_kind:     hidden_global_offset_z
      - .offset:         144
        .size:           2
        .value_kind:     hidden_grid_dims
      - .offset:         200
        .size:           4
        .value_kind:     hidden_dynamic_lds_size
    .group_segment_fixed_size: 0
    .kernarg_segment_align: 8
    .kernarg_segment_size: 336
    .language:       OpenCL C
    .language_version:
      - 2
      - 0
    .max_flat_workgroup_size: 1024
    .name:           _ZN9rocsolver6v33100L21larft_kernel_backwardIdPdEEv15rocblas_storev_iiT0_iilPT_lS6_il
    .private_segment_fixed_size: 0
    .sgpr_count:     46
    .sgpr_spill_count: 0
    .symbol:         _ZN9rocsolver6v33100L21larft_kernel_backwardIdPdEEv15rocblas_storev_iiT0_iilPT_lS6_il.kd
    .uniform_work_group_size: 1
    .uses_dynamic_stack: false
    .vgpr_count:     18
    .vgpr_spill_count: 0
    .wavefront_size: 32
  - .args:
      - .offset:         0
        .size:           4
        .value_kind:     by_value
      - .offset:         4
        .size:           4
        .value_kind:     by_value
      - .address_space:  global
        .offset:         8
        .size:           8
        .value_kind:     global_buffer
      - .offset:         16
        .size:           4
        .value_kind:     by_value
      - .offset:         20
        .size:           4
        .value_kind:     by_value
      - .offset:         24
        .size:           8
        .value_kind:     by_value
      - .address_space:  global
        .offset:         32
        .size:           8
        .value_kind:     global_buffer
      - .offset:         40
        .size:           4
        .value_kind:     hidden_block_count_x
      - .offset:         44
        .size:           4
        .value_kind:     hidden_block_count_y
      - .offset:         48
        .size:           4
        .value_kind:     hidden_block_count_z
      - .offset:         52
        .size:           2
        .value_kind:     hidden_group_size_x
      - .offset:         54
        .size:           2
        .value_kind:     hidden_group_size_y
      - .offset:         56
        .size:           2
        .value_kind:     hidden_group_size_z
      - .offset:         58
        .size:           2
        .value_kind:     hidden_remainder_x
      - .offset:         60
        .size:           2
        .value_kind:     hidden_remainder_y
      - .offset:         62
        .size:           2
        .value_kind:     hidden_remainder_z
      - .offset:         80
        .size:           8
        .value_kind:     hidden_global_offset_x
      - .offset:         88
        .size:           8
        .value_kind:     hidden_global_offset_y
      - .offset:         96
        .size:           8
        .value_kind:     hidden_global_offset_z
      - .offset:         104
        .size:           2
        .value_kind:     hidden_grid_dims
    .group_segment_fixed_size: 0
    .kernarg_segment_align: 8
    .kernarg_segment_size: 296
    .language:       OpenCL C
    .language_version:
      - 2
      - 0
    .max_flat_workgroup_size: 1024
    .name:           _ZN9rocsolver6v33100L9copymatA1IdPdEEviiT0_iilPT_
    .private_segment_fixed_size: 0
    .sgpr_count:     19
    .sgpr_spill_count: 0
    .symbol:         _ZN9rocsolver6v33100L9copymatA1IdPdEEviiT0_iilPT_.kd
    .uniform_work_group_size: 1
    .uses_dynamic_stack: false
    .vgpr_count:     4
    .vgpr_spill_count: 0
    .wavefront_size: 32
  - .args:
      - .offset:         0
        .size:           4
        .value_kind:     by_value
      - .offset:         4
        .size:           4
        .value_kind:     by_value
      - .address_space:  global
        .offset:         8
        .size:           8
        .value_kind:     global_buffer
      - .offset:         16
        .size:           4
        .value_kind:     by_value
      - .offset:         20
        .size:           4
        .value_kind:     by_value
      - .offset:         24
        .size:           8
        .value_kind:     by_value
      - .address_space:  global
        .offset:         32
        .size:           8
        .value_kind:     global_buffer
      - .offset:         40
        .size:           4
        .value_kind:     hidden_block_count_x
      - .offset:         44
        .size:           4
        .value_kind:     hidden_block_count_y
      - .offset:         48
        .size:           4
        .value_kind:     hidden_block_count_z
      - .offset:         52
        .size:           2
        .value_kind:     hidden_group_size_x
      - .offset:         54
        .size:           2
        .value_kind:     hidden_group_size_y
      - .offset:         56
        .size:           2
        .value_kind:     hidden_group_size_z
      - .offset:         58
        .size:           2
        .value_kind:     hidden_remainder_x
      - .offset:         60
        .size:           2
        .value_kind:     hidden_remainder_y
      - .offset:         62
        .size:           2
        .value_kind:     hidden_remainder_z
      - .offset:         80
        .size:           8
        .value_kind:     hidden_global_offset_x
      - .offset:         88
        .size:           8
        .value_kind:     hidden_global_offset_y
      - .offset:         96
        .size:           8
        .value_kind:     hidden_global_offset_z
      - .offset:         104
        .size:           2
        .value_kind:     hidden_grid_dims
    .group_segment_fixed_size: 0
    .kernarg_segment_align: 8
    .kernarg_segment_size: 296
    .language:       OpenCL C
    .language_version:
      - 2
      - 0
    .max_flat_workgroup_size: 1024
    .name:           _ZN9rocsolver6v33100L8addmatA1IdPdEEviiT0_iilPT_
    .private_segment_fixed_size: 0
    .sgpr_count:     19
    .sgpr_spill_count: 0
    .symbol:         _ZN9rocsolver6v33100L8addmatA1IdPdEEviiT0_iilPT_.kd
    .uniform_work_group_size: 1
    .uses_dynamic_stack: false
    .vgpr_count:     6
    .vgpr_spill_count: 0
    .wavefront_size: 32
  - .args:
      - .offset:         0
        .size:           4
        .value_kind:     by_value
      - .address_space:  global
        .offset:         8
        .size:           8
        .value_kind:     global_buffer
      - .offset:         16
        .size:           8
        .value_kind:     by_value
      - .address_space:  global
        .offset:         24
        .size:           8
        .value_kind:     global_buffer
      - .offset:         32
        .size:           4
        .value_kind:     by_value
      - .offset:         40
        .size:           8
        .value_kind:     by_value
      - .address_space:  global
        .offset:         48
        .size:           8
        .value_kind:     global_buffer
      - .offset:         56
        .size:           4
        .value_kind:     by_value
      - .offset:         64
        .size:           8
        .value_kind:     by_value
      - .offset:         72
        .size:           4
        .value_kind:     hidden_block_count_x
      - .offset:         76
        .size:           4
        .value_kind:     hidden_block_count_y
      - .offset:         80
        .size:           4
        .value_kind:     hidden_block_count_z
      - .offset:         84
        .size:           2
        .value_kind:     hidden_group_size_x
      - .offset:         86
        .size:           2
        .value_kind:     hidden_group_size_y
      - .offset:         88
        .size:           2
        .value_kind:     hidden_group_size_z
      - .offset:         90
        .size:           2
        .value_kind:     hidden_remainder_x
      - .offset:         92
        .size:           2
        .value_kind:     hidden_remainder_y
      - .offset:         94
        .size:           2
        .value_kind:     hidden_remainder_z
      - .offset:         112
        .size:           8
        .value_kind:     hidden_global_offset_x
      - .offset:         120
        .size:           8
        .value_kind:     hidden_global_offset_y
      - .offset:         128
        .size:           8
        .value_kind:     hidden_global_offset_z
      - .offset:         136
        .size:           2
        .value_kind:     hidden_grid_dims
    .group_segment_fixed_size: 0
    .kernarg_segment_align: 8
    .kernarg_segment_size: 328
    .language:       OpenCL C
    .language_version:
      - 2
      - 0
    .max_flat_workgroup_size: 1024
    .name:           _ZN9rocsolver6v33100L15gesvdj_finalizeIddEEviPT0_lPT_ilS5_il
    .private_segment_fixed_size: 0
    .sgpr_count:     21
    .sgpr_spill_count: 0
    .symbol:         _ZN9rocsolver6v33100L15gesvdj_finalizeIddEEviPT0_lPT_ilS5_il.kd
    .uniform_work_group_size: 1
    .uses_dynamic_stack: false
    .vgpr_count:     6
    .vgpr_spill_count: 0
    .wavefront_size: 32
  - .args:
      - .offset:         0
        .size:           4
        .value_kind:     by_value
      - .offset:         4
        .size:           4
        .value_kind:     by_value
      - .offset:         8
        .size:           4
        .value_kind:     by_value
      - .address_space:  global
        .offset:         16
        .size:           8
        .value_kind:     global_buffer
      - .offset:         24
        .size:           4
        .value_kind:     by_value
      - .offset:         28
        .size:           4
        .value_kind:     by_value
      - .offset:         32
        .size:           8
        .value_kind:     by_value
      - .offset:         40
        .size:           4
        .value_kind:     hidden_block_count_x
      - .offset:         44
        .size:           4
        .value_kind:     hidden_block_count_y
      - .offset:         48
        .size:           4
        .value_kind:     hidden_block_count_z
      - .offset:         52
        .size:           2
        .value_kind:     hidden_group_size_x
      - .offset:         54
        .size:           2
        .value_kind:     hidden_group_size_y
      - .offset:         56
        .size:           2
        .value_kind:     hidden_group_size_z
      - .offset:         58
        .size:           2
        .value_kind:     hidden_remainder_x
      - .offset:         60
        .size:           2
        .value_kind:     hidden_remainder_y
      - .offset:         62
        .size:           2
        .value_kind:     hidden_remainder_z
      - .offset:         80
        .size:           8
        .value_kind:     hidden_global_offset_x
      - .offset:         88
        .size:           8
        .value_kind:     hidden_global_offset_y
      - .offset:         96
        .size:           8
        .value_kind:     hidden_global_offset_z
      - .offset:         104
        .size:           2
        .value_kind:     hidden_grid_dims
    .group_segment_fixed_size: 0
    .kernarg_segment_align: 8
    .kernarg_segment_size: 296
    .language:       OpenCL C
    .language_version:
      - 2
      - 0
    .max_flat_workgroup_size: 1024
    .name:           _ZN9rocsolver6v33100L16org2r_init_identIdPdEEviiiT0_iil
    .private_segment_fixed_size: 0
    .sgpr_count:     14
    .sgpr_spill_count: 0
    .symbol:         _ZN9rocsolver6v33100L16org2r_init_identIdPdEEviiiT0_iil.kd
    .uniform_work_group_size: 1
    .uses_dynamic_stack: false
    .vgpr_count:     4
    .vgpr_spill_count: 0
    .wavefront_size: 32
  - .args:
      - .offset:         0
        .size:           4
        .value_kind:     by_value
      - .offset:         4
        .size:           4
        .value_kind:     by_value
      - .address_space:  global
        .offset:         8
        .size:           8
        .value_kind:     global_buffer
      - .offset:         16
        .size:           4
        .value_kind:     by_value
      - .offset:         20
        .size:           4
        .value_kind:     by_value
      - .offset:         24
        .size:           8
        .value_kind:     by_value
      - .address_space:  global
        .offset:         32
        .size:           8
        .value_kind:     global_buffer
      - .offset:         40
        .size:           8
        .value_kind:     by_value
    .group_segment_fixed_size: 0
    .kernarg_segment_align: 8
    .kernarg_segment_size: 48
    .language:       OpenCL C
    .language_version:
      - 2
      - 0
    .max_flat_workgroup_size: 1024
    .name:           _ZN9rocsolver6v33100L12subtract_tauIdPdEEviiT0_iilPT_l
    .private_segment_fixed_size: 0
    .sgpr_count:     18
    .sgpr_spill_count: 0
    .symbol:         _ZN9rocsolver6v33100L12subtract_tauIdPdEEviiT0_iilPT_l.kd
    .uniform_work_group_size: 1
    .uses_dynamic_stack: false
    .vgpr_count:     6
    .vgpr_spill_count: 0
    .wavefront_size: 32
  - .args:
      - .offset:         0
        .size:           4
        .value_kind:     by_value
      - .address_space:  global
        .offset:         8
        .size:           8
        .value_kind:     global_buffer
      - .offset:         16
        .size:           8
        .value_kind:     by_value
      - .offset:         24
        .size:           4
        .value_kind:     hidden_block_count_x
      - .offset:         28
        .size:           4
        .value_kind:     hidden_block_count_y
      - .offset:         32
        .size:           4
        .value_kind:     hidden_block_count_z
      - .offset:         36
        .size:           2
        .value_kind:     hidden_group_size_x
      - .offset:         38
        .size:           2
        .value_kind:     hidden_group_size_y
      - .offset:         40
        .size:           2
        .value_kind:     hidden_group_size_z
      - .offset:         42
        .size:           2
        .value_kind:     hidden_remainder_x
      - .offset:         44
        .size:           2
        .value_kind:     hidden_remainder_y
      - .offset:         46
        .size:           2
        .value_kind:     hidden_remainder_z
      - .offset:         64
        .size:           8
        .value_kind:     hidden_global_offset_x
      - .offset:         72
        .size:           8
        .value_kind:     hidden_global_offset_y
      - .offset:         80
        .size:           8
        .value_kind:     hidden_global_offset_z
      - .offset:         88
        .size:           2
        .value_kind:     hidden_grid_dims
    .group_segment_fixed_size: 0
    .kernarg_segment_align: 8
    .kernarg_segment_size: 280
    .language:       OpenCL C
    .language_version:
      - 2
      - 0
    .max_flat_workgroup_size: 1024
    .name:           _ZN9rocsolver6v33100L6restauIdEEviPT_l
    .private_segment_fixed_size: 0
    .sgpr_count:     10
    .sgpr_spill_count: 0
    .symbol:         _ZN9rocsolver6v33100L6restauIdEEviPT_l.kd
    .uniform_work_group_size: 1
    .uses_dynamic_stack: false
    .vgpr_count:     4
    .vgpr_spill_count: 0
    .wavefront_size: 32
  - .args:
      - .offset:         0
        .size:           4
        .value_kind:     by_value
      - .offset:         4
        .size:           4
        .value_kind:     by_value
      - .address_space:  global
        .offset:         8
        .size:           8
        .value_kind:     global_buffer
      - .offset:         16
        .size:           4
        .value_kind:     by_value
      - .offset:         20
        .size:           4
        .value_kind:     by_value
      - .offset:         24
        .size:           8
        .value_kind:     by_value
      - .offset:         32
        .size:           4
        .value_kind:     by_value
      - .offset:         40
        .size:           4
        .value_kind:     hidden_block_count_x
      - .offset:         44
        .size:           4
        .value_kind:     hidden_block_count_y
      - .offset:         48
        .size:           4
        .value_kind:     hidden_block_count_z
      - .offset:         52
        .size:           2
        .value_kind:     hidden_group_size_x
      - .offset:         54
        .size:           2
        .value_kind:     hidden_group_size_y
      - .offset:         56
        .size:           2
        .value_kind:     hidden_group_size_z
      - .offset:         58
        .size:           2
        .value_kind:     hidden_remainder_x
      - .offset:         60
        .size:           2
        .value_kind:     hidden_remainder_y
      - .offset:         62
        .size:           2
        .value_kind:     hidden_remainder_z
      - .offset:         80
        .size:           8
        .value_kind:     hidden_global_offset_x
      - .offset:         88
        .size:           8
        .value_kind:     hidden_global_offset_y
      - .offset:         96
        .size:           8
        .value_kind:     hidden_global_offset_z
      - .offset:         104
        .size:           2
        .value_kind:     hidden_grid_dims
    .group_segment_fixed_size: 0
    .kernarg_segment_align: 8
    .kernarg_segment_size: 296
    .language:       OpenCL C
    .language_version:
      - 2
      - 0
    .max_flat_workgroup_size: 1024
    .name:           _ZN9rocsolver6v33100L8set_zeroIdPdEEviiT0_iil13rocblas_fill_
    .private_segment_fixed_size: 0
    .sgpr_count:     14
    .sgpr_spill_count: 0
    .symbol:         _ZN9rocsolver6v33100L8set_zeroIdPdEEviiT0_iil13rocblas_fill_.kd
    .uniform_work_group_size: 1
    .uses_dynamic_stack: false
    .vgpr_count:     3
    .vgpr_spill_count: 0
    .wavefront_size: 32
  - .args:
      - .offset:         0
        .size:           4
        .value_kind:     by_value
      - .offset:         4
        .size:           4
        .value_kind:     by_value
      - .offset:         8
        .size:           4
        .value_kind:     by_value
      - .address_space:  global
        .offset:         16
        .size:           8
        .value_kind:     global_buffer
      - .offset:         24
        .size:           4
        .value_kind:     by_value
      - .offset:         28
        .size:           4
        .value_kind:     by_value
      - .offset:         32
        .size:           8
        .value_kind:     by_value
      - .address_space:  global
        .offset:         40
        .size:           8
        .value_kind:     global_buffer
      - .offset:         48
        .size:           4
        .value_kind:     by_value
      - .offset:         52
        .size:           4
        .value_kind:     by_value
      - .offset:         56
        .size:           8
        .value_kind:     by_value
      - .offset:         64
        .size:           1
        .value_kind:     by_value
      - .offset:         68
        .size:           4
        .value_kind:     by_value
      - .offset:         72
        .size:           4
        .value_kind:     by_value
      - .offset:         80
        .size:           4
        .value_kind:     hidden_block_count_x
      - .offset:         84
        .size:           4
        .value_kind:     hidden_block_count_y
      - .offset:         88
        .size:           4
        .value_kind:     hidden_block_count_z
      - .offset:         92
        .size:           2
        .value_kind:     hidden_group_size_x
      - .offset:         94
        .size:           2
        .value_kind:     hidden_group_size_y
      - .offset:         96
        .size:           2
        .value_kind:     hidden_group_size_z
      - .offset:         98
        .size:           2
        .value_kind:     hidden_remainder_x
      - .offset:         100
        .size:           2
        .value_kind:     hidden_remainder_y
      - .offset:         102
        .size:           2
        .value_kind:     hidden_remainder_z
      - .offset:         120
        .size:           8
        .value_kind:     hidden_global_offset_x
      - .offset:         128
        .size:           8
        .value_kind:     hidden_global_offset_y
      - .offset:         136
        .size:           8
        .value_kind:     hidden_global_offset_z
      - .offset:         144
        .size:           2
        .value_kind:     hidden_grid_dims
    .group_segment_fixed_size: 0
    .kernarg_segment_align: 8
    .kernarg_segment_size: 336
    .language:       OpenCL C
    .language_version:
      - 2
      - 0
    .max_flat_workgroup_size: 1024
    .name:           _ZN9rocsolver6v33100L14copy_trans_matIddPdS2_NS0_7no_maskEEEv18rocblas_operation_iiT1_iilT2_iilT3_13rocblas_fill_17rocblas_diagonal_
    .private_segment_fixed_size: 0
    .sgpr_count:     20
    .sgpr_spill_count: 0
    .symbol:         _ZN9rocsolver6v33100L14copy_trans_matIddPdS2_NS0_7no_maskEEEv18rocblas_operation_iiT1_iilT2_iilT3_13rocblas_fill_17rocblas_diagonal_.kd
    .uniform_work_group_size: 1
    .uses_dynamic_stack: false
    .vgpr_count:     5
    .vgpr_spill_count: 0
    .wavefront_size: 32
  - .args:
      - .offset:         0
        .size:           4
        .value_kind:     by_value
      - .offset:         4
        .size:           4
        .value_kind:     by_value
      - .offset:         8
        .size:           4
        .value_kind:     by_value
      - .address_space:  global
        .offset:         16
        .size:           8
        .value_kind:     global_buffer
      - .offset:         24
        .size:           4
        .value_kind:     by_value
      - .offset:         28
        .size:           4
        .value_kind:     by_value
      - .offset:         32
        .size:           8
        .value_kind:     by_value
      - .offset:         40
        .size:           4
        .value_kind:     hidden_block_count_x
      - .offset:         44
        .size:           4
        .value_kind:     hidden_block_count_y
      - .offset:         48
        .size:           4
        .value_kind:     hidden_block_count_z
      - .offset:         52
        .size:           2
        .value_kind:     hidden_group_size_x
      - .offset:         54
        .size:           2
        .value_kind:     hidden_group_size_y
      - .offset:         56
        .size:           2
        .value_kind:     hidden_group_size_z
      - .offset:         58
        .size:           2
        .value_kind:     hidden_remainder_x
      - .offset:         60
        .size:           2
        .value_kind:     hidden_remainder_y
      - .offset:         62
        .size:           2
        .value_kind:     hidden_remainder_z
      - .offset:         80
        .size:           8
        .value_kind:     hidden_global_offset_x
      - .offset:         88
        .size:           8
        .value_kind:     hidden_global_offset_y
      - .offset:         96
        .size:           8
        .value_kind:     hidden_global_offset_z
      - .offset:         104
        .size:           2
        .value_kind:     hidden_grid_dims
    .group_segment_fixed_size: 0
    .kernarg_segment_align: 8
    .kernarg_segment_size: 296
    .language:       OpenCL C
    .language_version:
      - 2
      - 0
    .max_flat_workgroup_size: 1024
    .name:           _ZN9rocsolver6v33100L16orgl2_init_identIdPdEEviiiT0_iil
    .private_segment_fixed_size: 0
    .sgpr_count:     14
    .sgpr_spill_count: 0
    .symbol:         _ZN9rocsolver6v33100L16orgl2_init_identIdPdEEviiiT0_iil.kd
    .uniform_work_group_size: 1
    .uses_dynamic_stack: false
    .vgpr_count:     4
    .vgpr_spill_count: 0
    .wavefront_size: 32
  - .args:
      - .address_space:  global
        .offset:         0
        .size:           8
        .value_kind:     global_buffer
      - .offset:         8
        .size:           4
        .value_kind:     by_value
      - .offset:         12
        .size:           8
        .value_kind:     by_value
    .group_segment_fixed_size: 0
    .kernarg_segment_align: 8
    .kernarg_segment_size: 20
    .language:       OpenCL C
    .language_version:
      - 2
      - 0
    .max_flat_workgroup_size: 32
    .name:           _ZN9rocsolver6v33100L6iota_nI19rocblas_complex_numIfEEEvPT_jS4_
    .private_segment_fixed_size: 0
    .sgpr_count:     8
    .sgpr_spill_count: 0
    .symbol:         _ZN9rocsolver6v33100L6iota_nI19rocblas_complex_numIfEEEvPT_jS4_.kd
    .uniform_work_group_size: 1
    .uses_dynamic_stack: false
    .vgpr_count:     6
    .vgpr_spill_count: 0
    .wavefront_size: 32
  - .args:
      - .offset:         0
        .size:           4
        .value_kind:     by_value
      - .address_space:  global
        .offset:         8
        .size:           8
        .value_kind:     global_buffer
      - .offset:         16
        .size:           8
        .value_kind:     by_value
      - .address_space:  global
        .offset:         24
        .size:           8
        .value_kind:     global_buffer
      - .offset:         32
        .size:           8
        .value_kind:     by_value
      - .offset:         40
        .size:           4
        .value_kind:     by_value
      - .offset:         48
        .size:           4
        .value_kind:     hidden_block_count_x
      - .offset:         52
        .size:           4
        .value_kind:     hidden_block_count_y
      - .offset:         56
        .size:           4
        .value_kind:     hidden_block_count_z
      - .offset:         60
        .size:           2
        .value_kind:     hidden_group_size_x
      - .offset:         62
        .size:           2
        .value_kind:     hidden_group_size_y
      - .offset:         64
        .size:           2
        .value_kind:     hidden_group_size_z
      - .offset:         66
        .size:           2
        .value_kind:     hidden_remainder_x
      - .offset:         68
        .size:           2
        .value_kind:     hidden_remainder_y
      - .offset:         70
        .size:           2
        .value_kind:     hidden_remainder_z
      - .offset:         88
        .size:           8
        .value_kind:     hidden_global_offset_x
      - .offset:         96
        .size:           8
        .value_kind:     hidden_global_offset_y
      - .offset:         104
        .size:           8
        .value_kind:     hidden_global_offset_z
      - .offset:         112
        .size:           2
        .value_kind:     hidden_grid_dims
    .group_segment_fixed_size: 0
    .kernarg_segment_align: 8
    .kernarg_segment_size: 304
    .language:       OpenCL C
    .language_version:
      - 2
      - 0
    .max_flat_workgroup_size: 1024
    .name:           _ZN9rocsolver6v33100L16syev_scalar_caseI19rocblas_complex_numIfEfPS3_TnNSt9enable_ifIX18rocblas_is_complexIT_EEiE4typeELi0EEEv14rocblas_evect_T1_lPT0_li
    .private_segment_fixed_size: 0
    .sgpr_count:     12
    .sgpr_spill_count: 0
    .symbol:         _ZN9rocsolver6v33100L16syev_scalar_caseI19rocblas_complex_numIfEfPS3_TnNSt9enable_ifIX18rocblas_is_complexIT_EEiE4typeELi0EEEv14rocblas_evect_T1_lPT0_li.kd
    .uniform_work_group_size: 1
    .uses_dynamic_stack: false
    .vgpr_count:     5
    .vgpr_spill_count: 0
    .wavefront_size: 32
  - .args:
      - .offset:         0
        .size:           4
        .value_kind:     by_value
      - .offset:         4
        .size:           4
        .value_kind:     by_value
      - .offset:         8
        .size:           4
        .value_kind:     by_value
      - .offset:         12
        .size:           4
        .value_kind:     by_value
      - .address_space:  global
        .offset:         16
        .size:           8
        .value_kind:     global_buffer
      - .offset:         24
        .size:           4
        .value_kind:     by_value
      - .offset:         28
        .size:           4
        .value_kind:     by_value
      - .offset:         32
        .size:           8
        .value_kind:     by_value
      - .offset:         40
        .size:           4
        .value_kind:     by_value
      - .offset:         44
        .size:           4
        .value_kind:     by_value
      - .address_space:  global
        .offset:         48
        .size:           8
        .value_kind:     global_buffer
      - .offset:         56
        .size:           4
        .value_kind:     by_value
      - .address_space:  global
        .offset:         64
        .size:           8
        .value_kind:     global_buffer
      - .address_space:  global
        .offset:         72
        .size:           8
        .value_kind:     global_buffer
      - .offset:         80
        .size:           8
        .value_kind:     by_value
      - .address_space:  global
        .offset:         88
        .size:           8
        .value_kind:     global_buffer
      - .address_space:  global
        .offset:         96
        .size:           8
        .value_kind:     global_buffer
    .group_segment_fixed_size: 0
    .kernarg_segment_align: 8
    .kernarg_segment_size: 104
    .language:       OpenCL C
    .language_version:
      - 2
      - 0
    .max_flat_workgroup_size: 1024
    .name:           _ZN9rocsolver6v33100L18syevj_small_kernelI19rocblas_complex_numIfEfPS3_EEv14rocblas_esort_14rocblas_evect_13rocblas_fill_iT1_iilT0_S9_PS9_iPiSA_lSB_PT_
    .private_segment_fixed_size: 0
    .sgpr_count:     63
    .sgpr_spill_count: 0
    .symbol:         _ZN9rocsolver6v33100L18syevj_small_kernelI19rocblas_complex_numIfEfPS3_EEv14rocblas_esort_14rocblas_evect_13rocblas_fill_iT1_iilT0_S9_PS9_iPiSA_lSB_PT_.kd
    .uniform_work_group_size: 1
    .uses_dynamic_stack: false
    .vgpr_count:     54
    .vgpr_spill_count: 0
    .wavefront_size: 32
  - .args:
      - .offset:         0
        .size:           4
        .value_kind:     by_value
      - .offset:         4
        .size:           4
        .value_kind:     by_value
      - .offset:         8
        .size:           4
        .value_kind:     by_value
      - .offset:         12
        .size:           4
        .value_kind:     by_value
      - .address_space:  global
        .offset:         16
        .size:           8
        .value_kind:     global_buffer
      - .offset:         24
        .size:           4
        .value_kind:     by_value
      - .offset:         28
        .size:           4
        .value_kind:     by_value
      - .offset:         32
        .size:           8
        .value_kind:     by_value
      - .offset:         40
        .size:           4
        .value_kind:     by_value
      - .address_space:  global
        .offset:         48
        .size:           8
        .value_kind:     global_buffer
      - .address_space:  global
        .offset:         56
        .size:           8
        .value_kind:     global_buffer
      - .address_space:  global
        .offset:         64
        .size:           8
        .value_kind:     global_buffer
      - .address_space:  global
        .offset:         72
        .size:           8
        .value_kind:     global_buffer
      - .address_space:  global
        .offset:         80
        .size:           8
        .value_kind:     global_buffer
      - .address_space:  global
        .offset:         88
        .size:           8
        .value_kind:     global_buffer
      - .offset:         96
        .size:           4
        .value_kind:     hidden_block_count_x
      - .offset:         100
        .size:           4
        .value_kind:     hidden_block_count_y
      - .offset:         104
        .size:           4
        .value_kind:     hidden_block_count_z
      - .offset:         108
        .size:           2
        .value_kind:     hidden_group_size_x
      - .offset:         110
        .size:           2
        .value_kind:     hidden_group_size_y
      - .offset:         112
        .size:           2
        .value_kind:     hidden_group_size_z
      - .offset:         114
        .size:           2
        .value_kind:     hidden_remainder_x
      - .offset:         116
        .size:           2
        .value_kind:     hidden_remainder_y
      - .offset:         118
        .size:           2
        .value_kind:     hidden_remainder_z
      - .offset:         136
        .size:           8
        .value_kind:     hidden_global_offset_x
      - .offset:         144
        .size:           8
        .value_kind:     hidden_global_offset_y
      - .offset:         152
        .size:           8
        .value_kind:     hidden_global_offset_z
      - .offset:         160
        .size:           2
        .value_kind:     hidden_grid_dims
      - .offset:         216
        .size:           4
        .value_kind:     hidden_dynamic_lds_size
    .group_segment_fixed_size: 0
    .kernarg_segment_align: 8
    .kernarg_segment_size: 352
    .language:       OpenCL C
    .language_version:
      - 2
      - 0
    .max_flat_workgroup_size: 1024
    .name:           _ZN9rocsolver6v33100L10syevj_initI19rocblas_complex_numIfEfPS3_EEv14rocblas_evect_13rocblas_fill_iiT1_iilT0_PS8_PT_S9_PiSC_SC_
    .private_segment_fixed_size: 0
    .sgpr_count:     44
    .sgpr_spill_count: 0
    .symbol:         _ZN9rocsolver6v33100L10syevj_initI19rocblas_complex_numIfEfPS3_EEv14rocblas_evect_13rocblas_fill_iiT1_iilT0_PS8_PT_S9_PiSC_SC_.kd
    .uniform_work_group_size: 1
    .uses_dynamic_stack: false
    .vgpr_count:     28
    .vgpr_spill_count: 0
    .wavefront_size: 32
  - .args:
      - .offset:         0
        .size:           4
        .value_kind:     by_value
      - .address_space:  global
        .offset:         8
        .size:           8
        .value_kind:     global_buffer
      - .offset:         16
        .size:           4
        .value_kind:     by_value
      - .offset:         20
        .size:           4
        .value_kind:     by_value
      - .offset:         24
        .size:           8
        .value_kind:     by_value
      - .offset:         32
        .size:           4
        .value_kind:     by_value
      - .address_space:  global
        .offset:         40
        .size:           8
        .value_kind:     global_buffer
      - .address_space:  global
        .offset:         48
        .size:           8
        .value_kind:     global_buffer
      - .offset:         56
        .size:           4
        .value_kind:     hidden_block_count_x
      - .offset:         60
        .size:           4
        .value_kind:     hidden_block_count_y
      - .offset:         64
        .size:           4
        .value_kind:     hidden_block_count_z
      - .offset:         68
        .size:           2
        .value_kind:     hidden_group_size_x
      - .offset:         70
        .size:           2
        .value_kind:     hidden_group_size_y
      - .offset:         72
        .size:           2
        .value_kind:     hidden_group_size_z
      - .offset:         74
        .size:           2
        .value_kind:     hidden_remainder_x
      - .offset:         76
        .size:           2
        .value_kind:     hidden_remainder_y
      - .offset:         78
        .size:           2
        .value_kind:     hidden_remainder_z
      - .offset:         96
        .size:           8
        .value_kind:     hidden_global_offset_x
      - .offset:         104
        .size:           8
        .value_kind:     hidden_global_offset_y
      - .offset:         112
        .size:           8
        .value_kind:     hidden_global_offset_z
      - .offset:         120
        .size:           2
        .value_kind:     hidden_grid_dims
      - .offset:         176
        .size:           4
        .value_kind:     hidden_dynamic_lds_size
    .group_segment_fixed_size: 0
    .kernarg_segment_align: 8
    .kernarg_segment_size: 312
    .language:       OpenCL C
    .language_version:
      - 2
      - 0
    .max_flat_workgroup_size: 1024
    .name:           _ZN9rocsolver6v33100L17syevj_diag_kernelI19rocblas_complex_numIfEfPS3_EEviT1_iilT0_PT_Pi
    .private_segment_fixed_size: 0
    .sgpr_count:     25
    .sgpr_spill_count: 0
    .symbol:         _ZN9rocsolver6v33100L17syevj_diag_kernelI19rocblas_complex_numIfEfPS3_EEviT1_iilT0_PT_Pi.kd
    .uniform_work_group_size: 1
    .uses_dynamic_stack: false
    .vgpr_count:     42
    .vgpr_spill_count: 0
    .wavefront_size: 32
  - .args:
      - .offset:         0
        .size:           1
        .value_kind:     by_value
      - .offset:         4
        .size:           4
        .value_kind:     by_value
      - .address_space:  global
        .offset:         8
        .size:           8
        .value_kind:     global_buffer
      - .offset:         16
        .size:           4
        .value_kind:     by_value
      - .offset:         20
        .size:           4
        .value_kind:     by_value
      - .offset:         24
        .size:           8
        .value_kind:     by_value
      - .address_space:  global
        .offset:         32
        .size:           8
        .value_kind:     global_buffer
      - .address_space:  global
        .offset:         40
        .size:           8
        .value_kind:     global_buffer
      - .offset:         48
        .size:           4
        .value_kind:     hidden_block_count_x
      - .offset:         52
        .size:           4
        .value_kind:     hidden_block_count_y
      - .offset:         56
        .size:           4
        .value_kind:     hidden_block_count_z
      - .offset:         60
        .size:           2
        .value_kind:     hidden_group_size_x
      - .offset:         62
        .size:           2
        .value_kind:     hidden_group_size_y
      - .offset:         64
        .size:           2
        .value_kind:     hidden_group_size_z
      - .offset:         66
        .size:           2
        .value_kind:     hidden_remainder_x
      - .offset:         68
        .size:           2
        .value_kind:     hidden_remainder_y
      - .offset:         70
        .size:           2
        .value_kind:     hidden_remainder_z
      - .offset:         88
        .size:           8
        .value_kind:     hidden_global_offset_x
      - .offset:         96
        .size:           8
        .value_kind:     hidden_global_offset_y
      - .offset:         104
        .size:           8
        .value_kind:     hidden_global_offset_z
      - .offset:         112
        .size:           2
        .value_kind:     hidden_grid_dims
    .group_segment_fixed_size: 0
    .kernarg_segment_align: 8
    .kernarg_segment_size: 304
    .language:       OpenCL C
    .language_version:
      - 2
      - 0
    .max_flat_workgroup_size: 1024
    .name:           _ZN9rocsolver6v33100L21syevj_diag_rotate_orgILb0E19rocblas_complex_numIfEfPS3_EEvbiT2_iilPT0_Pi
    .private_segment_fixed_size: 0
    .sgpr_count:     20
    .sgpr_spill_count: 0
    .symbol:         _ZN9rocsolver6v33100L21syevj_diag_rotate_orgILb0E19rocblas_complex_numIfEfPS3_EEvbiT2_iilPT0_Pi.kd
    .uniform_work_group_size: 1
    .uses_dynamic_stack: false
    .vgpr_count:     16
    .vgpr_spill_count: 0
    .wavefront_size: 32
  - .args:
      - .offset:         0
        .size:           1
        .value_kind:     by_value
      - .offset:         4
        .size:           4
        .value_kind:     by_value
      - .address_space:  global
        .offset:         8
        .size:           8
        .value_kind:     global_buffer
      - .offset:         16
        .size:           4
        .value_kind:     by_value
      - .offset:         20
        .size:           4
        .value_kind:     by_value
      - .offset:         24
        .size:           8
        .value_kind:     by_value
      - .address_space:  global
        .offset:         32
        .size:           8
        .value_kind:     global_buffer
      - .address_space:  global
        .offset:         40
        .size:           8
        .value_kind:     global_buffer
      - .offset:         48
        .size:           4
        .value_kind:     hidden_block_count_x
      - .offset:         52
        .size:           4
        .value_kind:     hidden_block_count_y
      - .offset:         56
        .size:           4
        .value_kind:     hidden_block_count_z
      - .offset:         60
        .size:           2
        .value_kind:     hidden_group_size_x
      - .offset:         62
        .size:           2
        .value_kind:     hidden_group_size_y
      - .offset:         64
        .size:           2
        .value_kind:     hidden_group_size_z
      - .offset:         66
        .size:           2
        .value_kind:     hidden_remainder_x
      - .offset:         68
        .size:           2
        .value_kind:     hidden_remainder_y
      - .offset:         70
        .size:           2
        .value_kind:     hidden_remainder_z
      - .offset:         88
        .size:           8
        .value_kind:     hidden_global_offset_x
      - .offset:         96
        .size:           8
        .value_kind:     hidden_global_offset_y
      - .offset:         104
        .size:           8
        .value_kind:     hidden_global_offset_z
      - .offset:         112
        .size:           2
        .value_kind:     hidden_grid_dims
    .group_segment_fixed_size: 0
    .kernarg_segment_align: 8
    .kernarg_segment_size: 304
    .language:       OpenCL C
    .language_version:
      - 2
      - 0
    .max_flat_workgroup_size: 1024
    .name:           _ZN9rocsolver6v33100L21syevj_diag_rotate_orgILb1E19rocblas_complex_numIfEfPS3_EEvbiT2_iilPT0_Pi
    .private_segment_fixed_size: 0
    .sgpr_count:     19
    .sgpr_spill_count: 0
    .symbol:         _ZN9rocsolver6v33100L21syevj_diag_rotate_orgILb1E19rocblas_complex_numIfEfPS3_EEvbiT2_iilPT0_Pi.kd
    .uniform_work_group_size: 1
    .uses_dynamic_stack: false
    .vgpr_count:     16
    .vgpr_spill_count: 0
    .wavefront_size: 32
  - .args:
      - .offset:         0
        .size:           1
        .value_kind:     by_value
      - .offset:         4
        .size:           4
        .value_kind:     by_value
      - .offset:         8
        .size:           4
        .value_kind:     by_value
      - .address_space:  global
        .offset:         16
        .size:           8
        .value_kind:     global_buffer
      - .offset:         24
        .size:           4
        .value_kind:     by_value
      - .offset:         28
        .size:           4
        .value_kind:     by_value
      - .offset:         32
        .size:           8
        .value_kind:     by_value
      - .address_space:  global
        .offset:         40
        .size:           8
        .value_kind:     global_buffer
      - .address_space:  global
        .offset:         48
        .size:           8
        .value_kind:     global_buffer
      - .offset:         56
        .size:           4
        .value_kind:     by_value
      - .offset:         64
        .size:           4
        .value_kind:     hidden_block_count_x
      - .offset:         68
        .size:           4
        .value_kind:     hidden_block_count_y
      - .offset:         72
        .size:           4
        .value_kind:     hidden_block_count_z
      - .offset:         76
        .size:           2
        .value_kind:     hidden_group_size_x
      - .offset:         78
        .size:           2
        .value_kind:     hidden_group_size_y
      - .offset:         80
        .size:           2
        .value_kind:     hidden_group_size_z
      - .offset:         82
        .size:           2
        .value_kind:     hidden_remainder_x
      - .offset:         84
        .size:           2
        .value_kind:     hidden_remainder_y
      - .offset:         86
        .size:           2
        .value_kind:     hidden_remainder_z
      - .offset:         104
        .size:           8
        .value_kind:     hidden_global_offset_x
      - .offset:         112
        .size:           8
        .value_kind:     hidden_global_offset_y
      - .offset:         120
        .size:           8
        .value_kind:     hidden_global_offset_z
      - .offset:         128
        .size:           2
        .value_kind:     hidden_grid_dims
      - .offset:         144
        .size:           8
        .value_kind:     hidden_hostcall_buffer
      - .offset:         184
        .size:           4
        .value_kind:     hidden_dynamic_lds_size
    .group_segment_fixed_size: 0
    .kernarg_segment_align: 8
    .kernarg_segment_size: 320
    .language:       OpenCL C
    .language_version:
      - 2
      - 0
    .max_flat_workgroup_size: 1024
    .name:           _ZN9rocsolver6v33100L17syevj_diag_rotateILb0E19rocblas_complex_numIfEfPS3_EEvbiiT2_iilPT0_Pii
    .private_segment_fixed_size: 64
    .sgpr_count:     62
    .sgpr_spill_count: 0
    .symbol:         _ZN9rocsolver6v33100L17syevj_diag_rotateILb0E19rocblas_complex_numIfEfPS3_EEvbiiT2_iilPT0_Pii.kd
    .uniform_work_group_size: 1
    .uses_dynamic_stack: false
    .vgpr_count:     49
    .vgpr_spill_count: 0
    .wavefront_size: 32
  - .args:
      - .offset:         0
        .size:           1
        .value_kind:     by_value
      - .offset:         4
        .size:           4
        .value_kind:     by_value
      - .offset:         8
        .size:           4
        .value_kind:     by_value
      - .address_space:  global
        .offset:         16
        .size:           8
        .value_kind:     global_buffer
      - .offset:         24
        .size:           4
        .value_kind:     by_value
      - .offset:         28
        .size:           4
        .value_kind:     by_value
      - .offset:         32
        .size:           8
        .value_kind:     by_value
      - .address_space:  global
        .offset:         40
        .size:           8
        .value_kind:     global_buffer
      - .address_space:  global
        .offset:         48
        .size:           8
        .value_kind:     global_buffer
      - .offset:         56
        .size:           4
        .value_kind:     by_value
      - .offset:         64
        .size:           4
        .value_kind:     hidden_block_count_x
      - .offset:         68
        .size:           4
        .value_kind:     hidden_block_count_y
      - .offset:         72
        .size:           4
        .value_kind:     hidden_block_count_z
      - .offset:         76
        .size:           2
        .value_kind:     hidden_group_size_x
      - .offset:         78
        .size:           2
        .value_kind:     hidden_group_size_y
      - .offset:         80
        .size:           2
        .value_kind:     hidden_group_size_z
      - .offset:         82
        .size:           2
        .value_kind:     hidden_remainder_x
      - .offset:         84
        .size:           2
        .value_kind:     hidden_remainder_y
      - .offset:         86
        .size:           2
        .value_kind:     hidden_remainder_z
      - .offset:         104
        .size:           8
        .value_kind:     hidden_global_offset_x
      - .offset:         112
        .size:           8
        .value_kind:     hidden_global_offset_y
      - .offset:         120
        .size:           8
        .value_kind:     hidden_global_offset_z
      - .offset:         128
        .size:           2
        .value_kind:     hidden_grid_dims
      - .offset:         144
        .size:           8
        .value_kind:     hidden_hostcall_buffer
      - .offset:         184
        .size:           4
        .value_kind:     hidden_dynamic_lds_size
    .group_segment_fixed_size: 0
    .kernarg_segment_align: 8
    .kernarg_segment_size: 320
    .language:       OpenCL C
    .language_version:
      - 2
      - 0
    .max_flat_workgroup_size: 1024
    .name:           _ZN9rocsolver6v33100L17syevj_diag_rotateILb1E19rocblas_complex_numIfEfPS3_EEvbiiT2_iilPT0_Pii
    .private_segment_fixed_size: 64
    .sgpr_count:     60
    .sgpr_spill_count: 0
    .symbol:         _ZN9rocsolver6v33100L17syevj_diag_rotateILb1E19rocblas_complex_numIfEfPS3_EEvbiiT2_iilPT0_Pii.kd
    .uniform_work_group_size: 1
    .uses_dynamic_stack: false
    .vgpr_count:     49
    .vgpr_spill_count: 0
    .wavefront_size: 32
  - .args:
      - .offset:         0
        .size:           4
        .value_kind:     by_value
      - .offset:         4
        .size:           4
        .value_kind:     by_value
      - .address_space:  global
        .offset:         8
        .size:           8
        .value_kind:     global_buffer
      - .offset:         16
        .size:           4
        .value_kind:     by_value
      - .offset:         20
        .size:           4
        .value_kind:     by_value
      - .offset:         24
        .size:           8
        .value_kind:     by_value
      - .offset:         32
        .size:           4
        .value_kind:     by_value
      - .address_space:  global
        .offset:         40
        .size:           8
        .value_kind:     global_buffer
      - .address_space:  global
        .offset:         48
        .size:           8
        .value_kind:     global_buffer
      - .address_space:  global
        .offset:         56
        .size:           8
        .value_kind:     global_buffer
      - .address_space:  global
        .offset:         64
        .size:           8
        .value_kind:     global_buffer
      - .offset:         72
        .size:           4
        .value_kind:     hidden_block_count_x
      - .offset:         76
        .size:           4
        .value_kind:     hidden_block_count_y
      - .offset:         80
        .size:           4
        .value_kind:     hidden_block_count_z
      - .offset:         84
        .size:           2
        .value_kind:     hidden_group_size_x
      - .offset:         86
        .size:           2
        .value_kind:     hidden_group_size_y
      - .offset:         88
        .size:           2
        .value_kind:     hidden_group_size_z
      - .offset:         90
        .size:           2
        .value_kind:     hidden_remainder_x
      - .offset:         92
        .size:           2
        .value_kind:     hidden_remainder_y
      - .offset:         94
        .size:           2
        .value_kind:     hidden_remainder_z
      - .offset:         112
        .size:           8
        .value_kind:     hidden_global_offset_x
      - .offset:         120
        .size:           8
        .value_kind:     hidden_global_offset_y
      - .offset:         128
        .size:           8
        .value_kind:     hidden_global_offset_z
      - .offset:         136
        .size:           2
        .value_kind:     hidden_grid_dims
      - .offset:         192
        .size:           4
        .value_kind:     hidden_dynamic_lds_size
    .group_segment_fixed_size: 0
    .kernarg_segment_align: 8
    .kernarg_segment_size: 328
    .language:       OpenCL C
    .language_version:
      - 2
      - 0
    .max_flat_workgroup_size: 1024
    .name:           _ZN9rocsolver6v33100L21syevj_offd_kernel_orgI19rocblas_complex_numIfEfPS3_EEviiT1_iilT0_PT_PiS9_S9_
    .private_segment_fixed_size: 0
    .sgpr_count:     26
    .sgpr_spill_count: 0
    .symbol:         _ZN9rocsolver6v33100L21syevj_offd_kernel_orgI19rocblas_complex_numIfEfPS3_EEviiT1_iilT0_PT_PiS9_S9_.kd
    .uniform_work_group_size: 1
    .uses_dynamic_stack: false
    .vgpr_count:     54
    .vgpr_spill_count: 0
    .wavefront_size: 32
  - .args:
      - .offset:         0
        .size:           4
        .value_kind:     by_value
      - .offset:         4
        .size:           4
        .value_kind:     by_value
      - .address_space:  global
        .offset:         8
        .size:           8
        .value_kind:     global_buffer
      - .offset:         16
        .size:           4
        .value_kind:     by_value
      - .offset:         20
        .size:           4
        .value_kind:     by_value
      - .offset:         24
        .size:           8
        .value_kind:     by_value
      - .offset:         32
        .size:           4
        .value_kind:     by_value
      - .address_space:  global
        .offset:         40
        .size:           8
        .value_kind:     global_buffer
      - .address_space:  global
        .offset:         48
        .size:           8
        .value_kind:     global_buffer
      - .address_space:  global
        .offset:         56
        .size:           8
        .value_kind:     global_buffer
      - .address_space:  global
        .offset:         64
        .size:           8
        .value_kind:     global_buffer
      - .offset:         72
        .size:           4
        .value_kind:     by_value
      - .offset:         80
        .size:           4
        .value_kind:     hidden_block_count_x
      - .offset:         84
        .size:           4
        .value_kind:     hidden_block_count_y
      - .offset:         88
        .size:           4
        .value_kind:     hidden_block_count_z
      - .offset:         92
        .size:           2
        .value_kind:     hidden_group_size_x
      - .offset:         94
        .size:           2
        .value_kind:     hidden_group_size_y
      - .offset:         96
        .size:           2
        .value_kind:     hidden_group_size_z
      - .offset:         98
        .size:           2
        .value_kind:     hidden_remainder_x
      - .offset:         100
        .size:           2
        .value_kind:     hidden_remainder_y
      - .offset:         102
        .size:           2
        .value_kind:     hidden_remainder_z
      - .offset:         120
        .size:           8
        .value_kind:     hidden_global_offset_x
      - .offset:         128
        .size:           8
        .value_kind:     hidden_global_offset_y
      - .offset:         136
        .size:           8
        .value_kind:     hidden_global_offset_z
      - .offset:         144
        .size:           2
        .value_kind:     hidden_grid_dims
      - .offset:         200
        .size:           4
        .value_kind:     hidden_dynamic_lds_size
    .group_segment_fixed_size: 0
    .kernarg_segment_align: 8
    .kernarg_segment_size: 336
    .language:       OpenCL C
    .language_version:
      - 2
      - 0
    .max_flat_workgroup_size: 1024
    .name:           _ZN9rocsolver6v33100L17syevj_offd_kernelI19rocblas_complex_numIfEfPS3_EEviiT1_iilT0_PT_PiS9_S9_i
    .private_segment_fixed_size: 0
    .sgpr_count:     69
    .sgpr_spill_count: 0
    .symbol:         _ZN9rocsolver6v33100L17syevj_offd_kernelI19rocblas_complex_numIfEfPS3_EEviiT1_iilT0_PT_PiS9_S9_i.kd
    .uniform_work_group_size: 1
    .uses_dynamic_stack: false
    .vgpr_count:     56
    .vgpr_spill_count: 0
    .wavefront_size: 32
  - .args:
      - .offset:         0
        .size:           1
        .value_kind:     by_value
      - .offset:         4
        .size:           4
        .value_kind:     by_value
      - .offset:         8
        .size:           4
        .value_kind:     by_value
      - .address_space:  global
        .offset:         16
        .size:           8
        .value_kind:     global_buffer
      - .offset:         24
        .size:           4
        .value_kind:     by_value
      - .offset:         28
        .size:           4
        .value_kind:     by_value
      - .offset:         32
        .size:           8
        .value_kind:     by_value
      - .address_space:  global
        .offset:         40
        .size:           8
        .value_kind:     global_buffer
      - .address_space:  global
        .offset:         48
        .size:           8
        .value_kind:     global_buffer
      - .address_space:  global
        .offset:         56
        .size:           8
        .value_kind:     global_buffer
      - .address_space:  global
        .offset:         64
        .size:           8
        .value_kind:     global_buffer
      - .offset:         72
        .size:           4
        .value_kind:     hidden_block_count_x
      - .offset:         76
        .size:           4
        .value_kind:     hidden_block_count_y
      - .offset:         80
        .size:           4
        .value_kind:     hidden_block_count_z
      - .offset:         84
        .size:           2
        .value_kind:     hidden_group_size_x
      - .offset:         86
        .size:           2
        .value_kind:     hidden_group_size_y
      - .offset:         88
        .size:           2
        .value_kind:     hidden_group_size_z
      - .offset:         90
        .size:           2
        .value_kind:     hidden_remainder_x
      - .offset:         92
        .size:           2
        .value_kind:     hidden_remainder_y
      - .offset:         94
        .size:           2
        .value_kind:     hidden_remainder_z
      - .offset:         112
        .size:           8
        .value_kind:     hidden_global_offset_x
      - .offset:         120
        .size:           8
        .value_kind:     hidden_global_offset_y
      - .offset:         128
        .size:           8
        .value_kind:     hidden_global_offset_z
      - .offset:         136
        .size:           2
        .value_kind:     hidden_grid_dims
    .group_segment_fixed_size: 0
    .kernarg_segment_align: 8
    .kernarg_segment_size: 328
    .language:       OpenCL C
    .language_version:
      - 2
      - 0
    .max_flat_workgroup_size: 1024
    .name:           _ZN9rocsolver6v33100L21syevj_offd_rotate_orgILb0E19rocblas_complex_numIfEfPS3_EEvbiiT2_iilPT0_PiS8_S8_
    .private_segment_fixed_size: 0
    .sgpr_count:     24
    .sgpr_spill_count: 0
    .symbol:         _ZN9rocsolver6v33100L21syevj_offd_rotate_orgILb0E19rocblas_complex_numIfEfPS3_EEvbiiT2_iilPT0_PiS8_S8_.kd
    .uniform_work_group_size: 1
    .uses_dynamic_stack: false
    .vgpr_count:     16
    .vgpr_spill_count: 0
    .wavefront_size: 32
  - .args:
      - .offset:         0
        .size:           1
        .value_kind:     by_value
      - .offset:         4
        .size:           4
        .value_kind:     by_value
      - .offset:         8
        .size:           4
        .value_kind:     by_value
      - .address_space:  global
        .offset:         16
        .size:           8
        .value_kind:     global_buffer
      - .offset:         24
        .size:           4
        .value_kind:     by_value
      - .offset:         28
        .size:           4
        .value_kind:     by_value
      - .offset:         32
        .size:           8
        .value_kind:     by_value
      - .address_space:  global
        .offset:         40
        .size:           8
        .value_kind:     global_buffer
      - .address_space:  global
        .offset:         48
        .size:           8
        .value_kind:     global_buffer
      - .address_space:  global
        .offset:         56
        .size:           8
        .value_kind:     global_buffer
      - .address_space:  global
        .offset:         64
        .size:           8
        .value_kind:     global_buffer
      - .offset:         72
        .size:           4
        .value_kind:     by_value
      - .offset:         80
        .size:           4
        .value_kind:     hidden_block_count_x
      - .offset:         84
        .size:           4
        .value_kind:     hidden_block_count_y
      - .offset:         88
        .size:           4
        .value_kind:     hidden_block_count_z
      - .offset:         92
        .size:           2
        .value_kind:     hidden_group_size_x
      - .offset:         94
        .size:           2
        .value_kind:     hidden_group_size_y
      - .offset:         96
        .size:           2
        .value_kind:     hidden_group_size_z
      - .offset:         98
        .size:           2
        .value_kind:     hidden_remainder_x
      - .offset:         100
        .size:           2
        .value_kind:     hidden_remainder_y
      - .offset:         102
        .size:           2
        .value_kind:     hidden_remainder_z
      - .offset:         120
        .size:           8
        .value_kind:     hidden_global_offset_x
      - .offset:         128
        .size:           8
        .value_kind:     hidden_global_offset_y
      - .offset:         136
        .size:           8
        .value_kind:     hidden_global_offset_z
      - .offset:         144
        .size:           2
        .value_kind:     hidden_grid_dims
      - .offset:         200
        .size:           4
        .value_kind:     hidden_dynamic_lds_size
    .group_segment_fixed_size: 0
    .kernarg_segment_align: 8
    .kernarg_segment_size: 336
    .language:       OpenCL C
    .language_version:
      - 2
      - 0
    .max_flat_workgroup_size: 1024
    .name:           _ZN9rocsolver6v33100L17syevj_offd_rotateILb0E19rocblas_complex_numIfEfPS3_EEvbiiT2_iilPT0_PiS8_S8_i
    .private_segment_fixed_size: 0
    .sgpr_count:     72
    .sgpr_spill_count: 0
    .symbol:         _ZN9rocsolver6v33100L17syevj_offd_rotateILb0E19rocblas_complex_numIfEfPS3_EEvbiiT2_iilPT0_PiS8_S8_i.kd
    .uniform_work_group_size: 1
    .uses_dynamic_stack: false
    .vgpr_count:     26
    .vgpr_spill_count: 0
    .wavefront_size: 32
  - .args:
      - .offset:         0
        .size:           1
        .value_kind:     by_value
      - .offset:         4
        .size:           4
        .value_kind:     by_value
      - .offset:         8
        .size:           4
        .value_kind:     by_value
      - .address_space:  global
        .offset:         16
        .size:           8
        .value_kind:     global_buffer
      - .offset:         24
        .size:           4
        .value_kind:     by_value
      - .offset:         28
        .size:           4
        .value_kind:     by_value
      - .offset:         32
        .size:           8
        .value_kind:     by_value
      - .address_space:  global
        .offset:         40
        .size:           8
        .value_kind:     global_buffer
      - .address_space:  global
        .offset:         48
        .size:           8
        .value_kind:     global_buffer
      - .address_space:  global
        .offset:         56
        .size:           8
        .value_kind:     global_buffer
      - .address_space:  global
        .offset:         64
        .size:           8
        .value_kind:     global_buffer
      - .offset:         72
        .size:           4
        .value_kind:     hidden_block_count_x
      - .offset:         76
        .size:           4
        .value_kind:     hidden_block_count_y
      - .offset:         80
        .size:           4
        .value_kind:     hidden_block_count_z
      - .offset:         84
        .size:           2
        .value_kind:     hidden_group_size_x
      - .offset:         86
        .size:           2
        .value_kind:     hidden_group_size_y
      - .offset:         88
        .size:           2
        .value_kind:     hidden_group_size_z
      - .offset:         90
        .size:           2
        .value_kind:     hidden_remainder_x
      - .offset:         92
        .size:           2
        .value_kind:     hidden_remainder_y
      - .offset:         94
        .size:           2
        .value_kind:     hidden_remainder_z
      - .offset:         112
        .size:           8
        .value_kind:     hidden_global_offset_x
      - .offset:         120
        .size:           8
        .value_kind:     hidden_global_offset_y
      - .offset:         128
        .size:           8
        .value_kind:     hidden_global_offset_z
      - .offset:         136
        .size:           2
        .value_kind:     hidden_grid_dims
    .group_segment_fixed_size: 0
    .kernarg_segment_align: 8
    .kernarg_segment_size: 328
    .language:       OpenCL C
    .language_version:
      - 2
      - 0
    .max_flat_workgroup_size: 1024
    .name:           _ZN9rocsolver6v33100L21syevj_offd_rotate_orgILb1E19rocblas_complex_numIfEfPS3_EEvbiiT2_iilPT0_PiS8_S8_
    .private_segment_fixed_size: 0
    .sgpr_count:     22
    .sgpr_spill_count: 0
    .symbol:         _ZN9rocsolver6v33100L21syevj_offd_rotate_orgILb1E19rocblas_complex_numIfEfPS3_EEvbiiT2_iilPT0_PiS8_S8_.kd
    .uniform_work_group_size: 1
    .uses_dynamic_stack: false
    .vgpr_count:     16
    .vgpr_spill_count: 0
    .wavefront_size: 32
  - .args:
      - .offset:         0
        .size:           1
        .value_kind:     by_value
      - .offset:         4
        .size:           4
        .value_kind:     by_value
      - .offset:         8
        .size:           4
        .value_kind:     by_value
      - .address_space:  global
        .offset:         16
        .size:           8
        .value_kind:     global_buffer
      - .offset:         24
        .size:           4
        .value_kind:     by_value
      - .offset:         28
        .size:           4
        .value_kind:     by_value
      - .offset:         32
        .size:           8
        .value_kind:     by_value
      - .address_space:  global
        .offset:         40
        .size:           8
        .value_kind:     global_buffer
      - .address_space:  global
        .offset:         48
        .size:           8
        .value_kind:     global_buffer
      - .address_space:  global
        .offset:         56
        .size:           8
        .value_kind:     global_buffer
      - .address_space:  global
        .offset:         64
        .size:           8
        .value_kind:     global_buffer
      - .offset:         72
        .size:           4
        .value_kind:     by_value
      - .offset:         80
        .size:           4
        .value_kind:     hidden_block_count_x
      - .offset:         84
        .size:           4
        .value_kind:     hidden_block_count_y
      - .offset:         88
        .size:           4
        .value_kind:     hidden_block_count_z
      - .offset:         92
        .size:           2
        .value_kind:     hidden_group_size_x
      - .offset:         94
        .size:           2
        .value_kind:     hidden_group_size_y
      - .offset:         96
        .size:           2
        .value_kind:     hidden_group_size_z
      - .offset:         98
        .size:           2
        .value_kind:     hidden_remainder_x
      - .offset:         100
        .size:           2
        .value_kind:     hidden_remainder_y
      - .offset:         102
        .size:           2
        .value_kind:     hidden_remainder_z
      - .offset:         120
        .size:           8
        .value_kind:     hidden_global_offset_x
      - .offset:         128
        .size:           8
        .value_kind:     hidden_global_offset_y
      - .offset:         136
        .size:           8
        .value_kind:     hidden_global_offset_z
      - .offset:         144
        .size:           2
        .value_kind:     hidden_grid_dims
      - .offset:         200
        .size:           4
        .value_kind:     hidden_dynamic_lds_size
    .group_segment_fixed_size: 0
    .kernarg_segment_align: 8
    .kernarg_segment_size: 336
    .language:       OpenCL C
    .language_version:
      - 2
      - 0
    .max_flat_workgroup_size: 1024
    .name:           _ZN9rocsolver6v33100L17syevj_offd_rotateILb1E19rocblas_complex_numIfEfPS3_EEvbiiT2_iilPT0_PiS8_S8_i
    .private_segment_fixed_size: 0
    .sgpr_count:     68
    .sgpr_spill_count: 0
    .symbol:         _ZN9rocsolver6v33100L17syevj_offd_rotateILb1E19rocblas_complex_numIfEfPS3_EEvbiiT2_iilPT0_PiS8_S8_i.kd
    .uniform_work_group_size: 1
    .uses_dynamic_stack: false
    .vgpr_count:     28
    .vgpr_spill_count: 0
    .wavefront_size: 32
  - .args:
      - .offset:         0
        .size:           4
        .value_kind:     by_value
      - .address_space:  global
        .offset:         8
        .size:           8
        .value_kind:     global_buffer
      - .address_space:  global
        .offset:         16
        .size:           8
        .value_kind:     global_buffer
      - .offset:         24
        .size:           4
        .value_kind:     hidden_block_count_x
      - .offset:         28
        .size:           4
        .value_kind:     hidden_block_count_y
      - .offset:         32
        .size:           4
        .value_kind:     hidden_block_count_z
      - .offset:         36
        .size:           2
        .value_kind:     hidden_group_size_x
      - .offset:         38
        .size:           2
        .value_kind:     hidden_group_size_y
      - .offset:         40
        .size:           2
        .value_kind:     hidden_group_size_z
      - .offset:         42
        .size:           2
        .value_kind:     hidden_remainder_x
      - .offset:         44
        .size:           2
        .value_kind:     hidden_remainder_y
      - .offset:         46
        .size:           2
        .value_kind:     hidden_remainder_z
      - .offset:         64
        .size:           8
        .value_kind:     hidden_global_offset_x
      - .offset:         72
        .size:           8
        .value_kind:     hidden_global_offset_y
      - .offset:         80
        .size:           8
        .value_kind:     hidden_global_offset_z
      - .offset:         88
        .size:           2
        .value_kind:     hidden_grid_dims
    .group_segment_fixed_size: 0
    .kernarg_segment_align: 8
    .kernarg_segment_size: 280
    .language:       OpenCL C
    .language_version:
      - 2
      - 0
    .max_flat_workgroup_size: 1024
    .name:           _ZN9rocsolver6v33100L17syevj_cycle_pairsI19rocblas_complex_numIfEEEviPiS4_
    .private_segment_fixed_size: 0
    .sgpr_count:     18
    .sgpr_spill_count: 0
    .symbol:         _ZN9rocsolver6v33100L17syevj_cycle_pairsI19rocblas_complex_numIfEEEviPiS4_.kd
    .uniform_work_group_size: 1
    .uses_dynamic_stack: false
    .vgpr_count:     10
    .vgpr_spill_count: 0
    .wavefront_size: 32
  - .args:
      - .offset:         0
        .size:           4
        .value_kind:     by_value
      - .offset:         4
        .size:           4
        .value_kind:     by_value
      - .address_space:  global
        .offset:         8
        .size:           8
        .value_kind:     global_buffer
      - .address_space:  global
        .offset:         16
        .size:           8
        .value_kind:     global_buffer
      - .address_space:  global
        .offset:         24
        .size:           8
        .value_kind:     global_buffer
      - .address_space:  global
        .offset:         32
        .size:           8
        .value_kind:     global_buffer
      - .offset:         40
        .size:           4
        .value_kind:     hidden_block_count_x
      - .offset:         44
        .size:           4
        .value_kind:     hidden_block_count_y
      - .offset:         48
        .size:           4
        .value_kind:     hidden_block_count_z
      - .offset:         52
        .size:           2
        .value_kind:     hidden_group_size_x
      - .offset:         54
        .size:           2
        .value_kind:     hidden_group_size_y
      - .offset:         56
        .size:           2
        .value_kind:     hidden_group_size_z
      - .offset:         58
        .size:           2
        .value_kind:     hidden_remainder_x
      - .offset:         60
        .size:           2
        .value_kind:     hidden_remainder_y
      - .offset:         62
        .size:           2
        .value_kind:     hidden_remainder_z
      - .offset:         80
        .size:           8
        .value_kind:     hidden_global_offset_x
      - .offset:         88
        .size:           8
        .value_kind:     hidden_global_offset_y
      - .offset:         96
        .size:           8
        .value_kind:     hidden_global_offset_z
      - .offset:         104
        .size:           2
        .value_kind:     hidden_grid_dims
      - .offset:         160
        .size:           4
        .value_kind:     hidden_dynamic_lds_size
    .group_segment_fixed_size: 0
    .kernarg_segment_align: 8
    .kernarg_segment_size: 296
    .language:       OpenCL C
    .language_version:
      - 2
      - 0
    .max_flat_workgroup_size: 1024
    .name:           _ZN9rocsolver6v33100L15syevj_calc_normI19rocblas_complex_numIfEfEEviiPT0_PT_S5_Pi
    .private_segment_fixed_size: 0
    .sgpr_count:     23
    .sgpr_spill_count: 0
    .symbol:         _ZN9rocsolver6v33100L15syevj_calc_normI19rocblas_complex_numIfEfEEviiPT0_PT_S5_Pi.kd
    .uniform_work_group_size: 1
    .uses_dynamic_stack: false
    .vgpr_count:     10
    .vgpr_spill_count: 0
    .wavefront_size: 32
  - .args:
      - .offset:         0
        .size:           4
        .value_kind:     by_value
      - .offset:         4
        .size:           4
        .value_kind:     by_value
      - .offset:         8
        .size:           4
        .value_kind:     by_value
      - .address_space:  global
        .offset:         16
        .size:           8
        .value_kind:     global_buffer
      - .offset:         24
        .size:           4
        .value_kind:     by_value
      - .offset:         28
        .size:           4
        .value_kind:     by_value
      - .offset:         32
        .size:           8
        .value_kind:     by_value
      - .address_space:  global
        .offset:         40
        .size:           8
        .value_kind:     global_buffer
      - .offset:         48
        .size:           4
        .value_kind:     by_value
      - .address_space:  global
        .offset:         56
        .size:           8
        .value_kind:     global_buffer
      - .address_space:  global
        .offset:         64
        .size:           8
        .value_kind:     global_buffer
      - .offset:         72
        .size:           8
        .value_kind:     by_value
      - .address_space:  global
        .offset:         80
        .size:           8
        .value_kind:     global_buffer
      - .address_space:  global
        .offset:         88
        .size:           8
        .value_kind:     global_buffer
      - .address_space:  global
        .offset:         96
        .size:           8
        .value_kind:     global_buffer
      - .offset:         104
        .size:           4
        .value_kind:     hidden_block_count_x
      - .offset:         108
        .size:           4
        .value_kind:     hidden_block_count_y
      - .offset:         112
        .size:           4
        .value_kind:     hidden_block_count_z
      - .offset:         116
        .size:           2
        .value_kind:     hidden_group_size_x
      - .offset:         118
        .size:           2
        .value_kind:     hidden_group_size_y
      - .offset:         120
        .size:           2
        .value_kind:     hidden_group_size_z
      - .offset:         122
        .size:           2
        .value_kind:     hidden_remainder_x
      - .offset:         124
        .size:           2
        .value_kind:     hidden_remainder_y
      - .offset:         126
        .size:           2
        .value_kind:     hidden_remainder_z
      - .offset:         144
        .size:           8
        .value_kind:     hidden_global_offset_x
      - .offset:         152
        .size:           8
        .value_kind:     hidden_global_offset_y
      - .offset:         160
        .size:           8
        .value_kind:     hidden_global_offset_z
      - .offset:         168
        .size:           2
        .value_kind:     hidden_grid_dims
    .group_segment_fixed_size: 0
    .kernarg_segment_align: 8
    .kernarg_segment_size: 360
    .language:       OpenCL C
    .language_version:
      - 2
      - 0
    .max_flat_workgroup_size: 1024
    .name:           _ZN9rocsolver6v33100L14syevj_finalizeI19rocblas_complex_numIfEfPS3_EEv14rocblas_esort_14rocblas_evect_iT1_iilPT0_iPiS9_lSA_PT_SA_
    .private_segment_fixed_size: 0
    .sgpr_count:     32
    .sgpr_spill_count: 0
    .symbol:         _ZN9rocsolver6v33100L14syevj_finalizeI19rocblas_complex_numIfEfPS3_EEv14rocblas_esort_14rocblas_evect_iT1_iilPT0_iPiS9_lSA_PT_SA_.kd
    .uniform_work_group_size: 1
    .uses_dynamic_stack: false
    .vgpr_count:     10
    .vgpr_spill_count: 0
    .wavefront_size: 32
  - .args:
      - .offset:         0
        .size:           4
        .value_kind:     by_value
      - .offset:         4
        .size:           4
        .value_kind:     by_value
      - .address_space:  global
        .offset:         8
        .size:           8
        .value_kind:     global_buffer
      - .offset:         16
        .size:           8
        .value_kind:     by_value
      - .offset:         24
        .size:           4
        .value_kind:     by_value
      - .offset:         32
        .size:           8
        .value_kind:     by_value
      - .address_space:  global
        .offset:         40
        .size:           8
        .value_kind:     global_buffer
      - .offset:         48
        .size:           8
        .value_kind:     by_value
      - .address_space:  global
        .offset:         56
        .size:           8
        .value_kind:     global_buffer
      - .offset:         64
        .size:           8
        .value_kind:     by_value
    .group_segment_fixed_size: 0
    .kernarg_segment_align: 8
    .kernarg_segment_size: 72
    .language:       OpenCL C
    .language_version:
      - 2
      - 0
    .max_flat_workgroup_size: 256
    .name:           _ZN9rocsolver6v33100L18geqr2_kernel_smallILi256E19rocblas_complex_numIfEifPS3_EEvT1_S5_T3_lS5_lPT2_lPT0_l
    .private_segment_fixed_size: 0
    .sgpr_count:     39
    .sgpr_spill_count: 0
    .symbol:         _ZN9rocsolver6v33100L18geqr2_kernel_smallILi256E19rocblas_complex_numIfEifPS3_EEvT1_S5_T3_lS5_lPT2_lPT0_l.kd
    .uniform_work_group_size: 1
    .uses_dynamic_stack: false
    .vgpr_count:     44
    .vgpr_spill_count: 0
    .wavefront_size: 32
  - .args:
      - .address_space:  global
        .offset:         0
        .size:           8
        .value_kind:     global_buffer
      - .offset:         8
        .size:           8
        .value_kind:     by_value
      - .offset:         16
        .size:           4
        .value_kind:     by_value
      - .offset:         20
        .size:           4
        .value_kind:     by_value
      - .offset:         24
        .size:           4
        .value_kind:     hidden_block_count_x
      - .offset:         28
        .size:           4
        .value_kind:     hidden_block_count_y
      - .offset:         32
        .size:           4
        .value_kind:     hidden_block_count_z
      - .offset:         36
        .size:           2
        .value_kind:     hidden_group_size_x
      - .offset:         38
        .size:           2
        .value_kind:     hidden_group_size_y
      - .offset:         40
        .size:           2
        .value_kind:     hidden_group_size_z
      - .offset:         42
        .size:           2
        .value_kind:     hidden_remainder_x
      - .offset:         44
        .size:           2
        .value_kind:     hidden_remainder_y
      - .offset:         46
        .size:           2
        .value_kind:     hidden_remainder_z
      - .offset:         64
        .size:           8
        .value_kind:     hidden_global_offset_x
      - .offset:         72
        .size:           8
        .value_kind:     hidden_global_offset_y
      - .offset:         80
        .size:           8
        .value_kind:     hidden_global_offset_z
      - .offset:         88
        .size:           2
        .value_kind:     hidden_grid_dims
    .group_segment_fixed_size: 0
    .kernarg_segment_align: 8
    .kernarg_segment_size: 280
    .language:       OpenCL C
    .language_version:
      - 2
      - 0
    .max_flat_workgroup_size: 1024
    .name:           _ZN9rocsolver6v33100L16reset_batch_infoI19rocblas_complex_numIfEiiPS3_EEvT2_lT0_T1_
    .private_segment_fixed_size: 0
    .sgpr_count:     14
    .sgpr_spill_count: 0
    .symbol:         _ZN9rocsolver6v33100L16reset_batch_infoI19rocblas_complex_numIfEiiPS3_EEvT2_lT0_T1_.kd
    .uniform_work_group_size: 1
    .uses_dynamic_stack: false
    .vgpr_count:     4
    .vgpr_spill_count: 0
    .wavefront_size: 32
  - .args:
      - .address_space:  global
        .offset:         0
        .size:           8
        .value_kind:     global_buffer
      - .offset:         8
        .size:           8
        .value_kind:     by_value
      - .offset:         16
        .size:           8
        .value_kind:     by_value
      - .address_space:  global
        .offset:         24
        .size:           8
        .value_kind:     global_buffer
      - .offset:         32
        .size:           8
        .value_kind:     by_value
      - .offset:         40
        .size:           4
        .value_kind:     by_value
      - .offset:         48
        .size:           8
        .value_kind:     by_value
      - .offset:         56
        .size:           4
        .value_kind:     by_value
      - .offset:         60
        .size:           1
        .value_kind:     by_value
      - .offset:         64
        .size:           4
        .value_kind:     hidden_block_count_x
      - .offset:         68
        .size:           4
        .value_kind:     hidden_block_count_y
      - .offset:         72
        .size:           4
        .value_kind:     hidden_block_count_z
      - .offset:         76
        .size:           2
        .value_kind:     hidden_group_size_x
      - .offset:         78
        .size:           2
        .value_kind:     hidden_group_size_y
      - .offset:         80
        .size:           2
        .value_kind:     hidden_group_size_z
      - .offset:         82
        .size:           2
        .value_kind:     hidden_remainder_x
      - .offset:         84
        .size:           2
        .value_kind:     hidden_remainder_y
      - .offset:         86
        .size:           2
        .value_kind:     hidden_remainder_z
      - .offset:         104
        .size:           8
        .value_kind:     hidden_global_offset_x
      - .offset:         112
        .size:           8
        .value_kind:     hidden_global_offset_y
      - .offset:         120
        .size:           8
        .value_kind:     hidden_global_offset_z
      - .offset:         128
        .size:           2
        .value_kind:     hidden_grid_dims
    .group_segment_fixed_size: 0
    .kernarg_segment_align: 8
    .kernarg_segment_size: 320
    .language:       OpenCL C
    .language_version:
      - 2
      - 0
    .max_flat_workgroup_size: 1024
    .name:           _ZN9rocsolver6v33100L8set_diagI19rocblas_complex_numIfEifPS3_TnNSt9enable_ifIXaa18rocblas_is_complexIT_Ent18rocblas_is_complexIT1_EEiE4typeELi0EEEvPS7_llT2_lT0_lSC_b
    .private_segment_fixed_size: 0
    .sgpr_count:     22
    .sgpr_spill_count: 0
    .symbol:         _ZN9rocsolver6v33100L8set_diagI19rocblas_complex_numIfEifPS3_TnNSt9enable_ifIXaa18rocblas_is_complexIT_Ent18rocblas_is_complexIT1_EEiE4typeELi0EEEvPS7_llT2_lT0_lSC_b.kd
    .uniform_work_group_size: 1
    .uses_dynamic_stack: false
    .vgpr_count:     4
    .vgpr_spill_count: 0
    .wavefront_size: 32
  - .args:
      - .address_space:  global
        .offset:         0
        .size:           8
        .value_kind:     global_buffer
      - .offset:         8
        .size:           8
        .value_kind:     by_value
      - .address_space:  global
        .offset:         16
        .size:           8
        .value_kind:     global_buffer
      - .address_space:  global
        .offset:         24
        .size:           8
        .value_kind:     global_buffer
      - .offset:         32
        .size:           8
        .value_kind:     by_value
      - .offset:         40
        .size:           8
        .value_kind:     by_value
      - .address_space:  global
        .offset:         48
        .size:           8
        .value_kind:     global_buffer
      - .offset:         56
        .size:           8
        .value_kind:     by_value
      - .offset:         64
        .size:           8
        .value_kind:     by_value
    .group_segment_fixed_size: 0
    .kernarg_segment_align: 8
    .kernarg_segment_size: 72
    .language:       OpenCL C
    .language_version:
      - 2
      - 0
    .max_flat_workgroup_size: 1024
    .name:           _ZN9rocsolver6v33100L11set_taubetaI19rocblas_complex_numIfEifPS3_EEvPT_lS6_T2_llPT1_ll
    .private_segment_fixed_size: 0
    .sgpr_count:     25
    .sgpr_spill_count: 0
    .symbol:         _ZN9rocsolver6v33100L11set_taubetaI19rocblas_complex_numIfEifPS3_EEvPT_lS6_T2_llPT1_ll.kd
    .uniform_work_group_size: 1
    .uses_dynamic_stack: false
    .vgpr_count:     25
    .vgpr_spill_count: 0
    .wavefront_size: 32
  - .args:
      - .offset:         0
        .size:           4
        .value_kind:     by_value
      - .offset:         4
        .size:           4
        .value_kind:     by_value
      - .address_space:  global
        .offset:         8
        .size:           8
        .value_kind:     global_buffer
      - .offset:         16
        .size:           8
        .value_kind:     by_value
      - .offset:         24
        .size:           4
        .value_kind:     by_value
      - .offset:         32
        .size:           8
        .value_kind:     by_value
      - .offset:         40
        .size:           4
        .value_kind:     hidden_block_count_x
      - .offset:         44
        .size:           4
        .value_kind:     hidden_block_count_y
      - .offset:         48
        .size:           4
        .value_kind:     hidden_block_count_z
      - .offset:         52
        .size:           2
        .value_kind:     hidden_group_size_x
      - .offset:         54
        .size:           2
        .value_kind:     hidden_group_size_y
      - .offset:         56
        .size:           2
        .value_kind:     hidden_group_size_z
      - .offset:         58
        .size:           2
        .value_kind:     hidden_remainder_x
      - .offset:         60
        .size:           2
        .value_kind:     hidden_remainder_y
      - .offset:         62
        .size:           2
        .value_kind:     hidden_remainder_z
      - .offset:         80
        .size:           8
        .value_kind:     hidden_global_offset_x
      - .offset:         88
        .size:           8
        .value_kind:     hidden_global_offset_y
      - .offset:         96
        .size:           8
        .value_kind:     hidden_global_offset_z
      - .offset:         104
        .size:           2
        .value_kind:     hidden_grid_dims
    .group_segment_fixed_size: 0
    .kernarg_segment_align: 8
    .kernarg_segment_size: 296
    .language:       OpenCL C
    .language_version:
      - 2
      - 0
    .max_flat_workgroup_size: 1024
    .name:           _ZN9rocsolver6v33100L13conj_in_placeI19rocblas_complex_numIfEiPS3_TnNSt9enable_ifIX18rocblas_is_complexIT_EEiE4typeELi0EEEvT0_S9_T1_lS9_l
    .private_segment_fixed_size: 0
    .sgpr_count:     16
    .sgpr_spill_count: 0
    .symbol:         _ZN9rocsolver6v33100L13conj_in_placeI19rocblas_complex_numIfEiPS3_TnNSt9enable_ifIX18rocblas_is_complexIT_EEiE4typeELi0EEEvT0_S9_T1_lS9_l.kd
    .uniform_work_group_size: 1
    .uses_dynamic_stack: false
    .vgpr_count:     6
    .vgpr_spill_count: 0
    .wavefront_size: 32
  - .args:
      - .offset:         0
        .size:           4
        .value_kind:     by_value
      - .offset:         4
        .size:           4
        .value_kind:     by_value
      - .address_space:  global
        .offset:         8
        .size:           8
        .value_kind:     global_buffer
      - .offset:         16
        .size:           8
        .value_kind:     by_value
      - .offset:         24
        .size:           4
        .value_kind:     by_value
      - .offset:         32
        .size:           8
        .value_kind:     by_value
      - .address_space:  global
        .offset:         40
        .size:           8
        .value_kind:     global_buffer
      - .offset:         48
        .size:           8
        .value_kind:     by_value
      - .address_space:  global
        .offset:         56
        .size:           8
        .value_kind:     global_buffer
      - .offset:         64
        .size:           8
        .value_kind:     by_value
      - .offset:         72
        .size:           4
        .value_kind:     by_value
      - .offset:         80
        .size:           8
        .value_kind:     by_value
    .group_segment_fixed_size: 0
    .kernarg_segment_align: 8
    .kernarg_segment_size: 88
    .language:       OpenCL C
    .language_version:
      - 2
      - 0
    .max_flat_workgroup_size: 1024
    .name:           _ZN9rocsolver6v33100L16larf_left_kernelILi1024E19rocblas_complex_numIfEiPS3_EEvT1_S5_T2_lS5_lPKT0_lS6_lS5_l
    .private_segment_fixed_size: 0
    .sgpr_count:     28
    .sgpr_spill_count: 0
    .symbol:         _ZN9rocsolver6v33100L16larf_left_kernelILi1024E19rocblas_complex_numIfEiPS3_EEvT1_S5_T2_lS5_lPKT0_lS6_lS5_l.kd
    .uniform_work_group_size: 1
    .uses_dynamic_stack: false
    .vgpr_count:     28
    .vgpr_spill_count: 0
    .wavefront_size: 32
  - .args:
      - .offset:         0
        .size:           4
        .value_kind:     by_value
      - .offset:         4
        .size:           4
        .value_kind:     by_value
      - .address_space:  global
        .offset:         8
        .size:           8
        .value_kind:     global_buffer
      - .offset:         16
        .size:           8
        .value_kind:     by_value
      - .offset:         24
        .size:           4
        .value_kind:     by_value
      - .offset:         32
        .size:           8
        .value_kind:     by_value
      - .address_space:  global
        .offset:         40
        .size:           8
        .value_kind:     global_buffer
      - .offset:         48
        .size:           8
        .value_kind:     by_value
      - .address_space:  global
        .offset:         56
        .size:           8
        .value_kind:     global_buffer
      - .offset:         64
        .size:           8
        .value_kind:     by_value
      - .offset:         72
        .size:           4
        .value_kind:     by_value
      - .offset:         80
        .size:           8
        .value_kind:     by_value
    .group_segment_fixed_size: 0
    .kernarg_segment_align: 8
    .kernarg_segment_size: 88
    .language:       OpenCL C
    .language_version:
      - 2
      - 0
    .max_flat_workgroup_size: 1024
    .name:           _ZN9rocsolver6v33100L17larf_right_kernelILi1024E19rocblas_complex_numIfEiPS3_EEvT1_S5_T2_lS5_lPKT0_lS6_lS5_l
    .private_segment_fixed_size: 0
    .sgpr_count:     28
    .sgpr_spill_count: 0
    .symbol:         _ZN9rocsolver6v33100L17larf_right_kernelILi1024E19rocblas_complex_numIfEiPS3_EEvT1_S5_T2_lS5_lPKT0_lS6_lS5_l.kd
    .uniform_work_group_size: 1
    .uses_dynamic_stack: false
    .vgpr_count:     20
    .vgpr_spill_count: 0
    .wavefront_size: 32
  - .args:
      - .address_space:  global
        .offset:         0
        .size:           8
        .value_kind:     global_buffer
      - .offset:         8
        .size:           8
        .value_kind:     by_value
      - .offset:         16
        .size:           8
        .value_kind:     by_value
      - .address_space:  global
        .offset:         24
        .size:           8
        .value_kind:     global_buffer
      - .offset:         32
        .size:           8
        .value_kind:     by_value
      - .offset:         40
        .size:           4
        .value_kind:     by_value
      - .offset:         48
        .size:           8
        .value_kind:     by_value
      - .offset:         56
        .size:           4
        .value_kind:     by_value
      - .offset:         64
        .size:           4
        .value_kind:     hidden_block_count_x
      - .offset:         68
        .size:           4
        .value_kind:     hidden_block_count_y
      - .offset:         72
        .size:           4
        .value_kind:     hidden_block_count_z
      - .offset:         76
        .size:           2
        .value_kind:     hidden_group_size_x
      - .offset:         78
        .size:           2
        .value_kind:     hidden_group_size_y
      - .offset:         80
        .size:           2
        .value_kind:     hidden_group_size_z
      - .offset:         82
        .size:           2
        .value_kind:     hidden_remainder_x
      - .offset:         84
        .size:           2
        .value_kind:     hidden_remainder_y
      - .offset:         86
        .size:           2
        .value_kind:     hidden_remainder_z
      - .offset:         104
        .size:           8
        .value_kind:     hidden_global_offset_x
      - .offset:         112
        .size:           8
        .value_kind:     hidden_global_offset_y
      - .offset:         120
        .size:           8
        .value_kind:     hidden_global_offset_z
      - .offset:         128
        .size:           2
        .value_kind:     hidden_grid_dims
    .group_segment_fixed_size: 0
    .kernarg_segment_align: 8
    .kernarg_segment_size: 320
    .language:       OpenCL C
    .language_version:
      - 2
      - 0
    .max_flat_workgroup_size: 1024
    .name:           _ZN9rocsolver6v33100L12restore_diagI19rocblas_complex_numIfEifPS3_EEvPT1_llT2_lT0_lS8_
    .private_segment_fixed_size: 0
    .sgpr_count:     13
    .sgpr_spill_count: 0
    .symbol:         _ZN9rocsolver6v33100L12restore_diagI19rocblas_complex_numIfEifPS3_EEvPT1_llT2_lT0_lS8_.kd
    .uniform_work_group_size: 1
    .uses_dynamic_stack: false
    .vgpr_count:     4
    .vgpr_spill_count: 0
    .wavefront_size: 32
  - .args:
      - .offset:         0
        .size:           4
        .value_kind:     by_value
      - .offset:         4
        .size:           4
        .value_kind:     by_value
      - .address_space:  global
        .offset:         8
        .size:           8
        .value_kind:     global_buffer
      - .offset:         16
        .size:           4
        .value_kind:     by_value
      - .offset:         20
        .size:           4
        .value_kind:     by_value
      - .offset:         24
        .size:           8
        .value_kind:     by_value
      - .address_space:  global
        .offset:         32
        .size:           8
        .value_kind:     global_buffer
      - .offset:         40
        .size:           8
        .value_kind:     by_value
      - .address_space:  global
        .offset:         48
        .size:           8
        .value_kind:     global_buffer
      - .offset:         56
        .size:           4
        .value_kind:     by_value
      - .offset:         64
        .size:           8
        .value_kind:     by_value
      - .offset:         72
        .size:           4
        .value_kind:     by_value
      - .offset:         76
        .size:           4
        .value_kind:     by_value
      - .offset:         80
        .size:           1
        .value_kind:     by_value
      - .offset:         88
        .size:           4
        .value_kind:     hidden_block_count_x
      - .offset:         92
        .size:           4
        .value_kind:     hidden_block_count_y
      - .offset:         96
        .size:           4
        .value_kind:     hidden_block_count_z
      - .offset:         100
        .size:           2
        .value_kind:     hidden_group_size_x
      - .offset:         102
        .size:           2
        .value_kind:     hidden_group_size_y
      - .offset:         104
        .size:           2
        .value_kind:     hidden_group_size_z
      - .offset:         106
        .size:           2
        .value_kind:     hidden_remainder_x
      - .offset:         108
        .size:           2
        .value_kind:     hidden_remainder_y
      - .offset:         110
        .size:           2
        .value_kind:     hidden_remainder_z
      - .offset:         128
        .size:           8
        .value_kind:     hidden_global_offset_x
      - .offset:         136
        .size:           8
        .value_kind:     hidden_global_offset_y
      - .offset:         144
        .size:           8
        .value_kind:     hidden_global_offset_z
      - .offset:         152
        .size:           2
        .value_kind:     hidden_grid_dims
    .group_segment_fixed_size: 0
    .kernarg_segment_align: 8
    .kernarg_segment_size: 344
    .language:       OpenCL C
    .language_version:
      - 2
      - 0
    .max_flat_workgroup_size: 1024
    .name:           _ZN9rocsolver6v33100L14set_triangularI19rocblas_complex_numIfEPS3_TnNSt9enable_ifIX18rocblas_is_complexIT_EEiE4typeELi0EEEviiT0_iilPS6_lSA_il15rocblas_direct_15rocblas_storev_b
    .private_segment_fixed_size: 0
    .sgpr_count:     24
    .sgpr_spill_count: 0
    .symbol:         _ZN9rocsolver6v33100L14set_triangularI19rocblas_complex_numIfEPS3_TnNSt9enable_ifIX18rocblas_is_complexIT_EEiE4typeELi0EEEviiT0_iilPS6_lSA_il15rocblas_direct_15rocblas_storev_b.kd
    .uniform_work_group_size: 1
    .uses_dynamic_stack: false
    .vgpr_count:     14
    .vgpr_spill_count: 0
    .wavefront_size: 32
  - .args:
      - .offset:         0
        .size:           4
        .value_kind:     by_value
      - .address_space:  global
        .offset:         8
        .size:           8
        .value_kind:     global_buffer
      - .offset:         16
        .size:           8
        .value_kind:     by_value
      - .offset:         24
        .size:           4
        .value_kind:     hidden_block_count_x
      - .offset:         28
        .size:           4
        .value_kind:     hidden_block_count_y
      - .offset:         32
        .size:           4
        .value_kind:     hidden_block_count_z
      - .offset:         36
        .size:           2
        .value_kind:     hidden_group_size_x
      - .offset:         38
        .size:           2
        .value_kind:     hidden_group_size_y
      - .offset:         40
        .size:           2
        .value_kind:     hidden_group_size_z
      - .offset:         42
        .size:           2
        .value_kind:     hidden_remainder_x
      - .offset:         44
        .size:           2
        .value_kind:     hidden_remainder_y
      - .offset:         46
        .size:           2
        .value_kind:     hidden_remainder_z
      - .offset:         64
        .size:           8
        .value_kind:     hidden_global_offset_x
      - .offset:         72
        .size:           8
        .value_kind:     hidden_global_offset_y
      - .offset:         80
        .size:           8
        .value_kind:     hidden_global_offset_z
      - .offset:         88
        .size:           2
        .value_kind:     hidden_grid_dims
    .group_segment_fixed_size: 0
    .kernarg_segment_align: 8
    .kernarg_segment_size: 280
    .language:       OpenCL C
    .language_version:
      - 2
      - 0
    .max_flat_workgroup_size: 1024
    .name:           _ZN9rocsolver6v33100L7set_tauI19rocblas_complex_numIfEEEviPT_l
    .private_segment_fixed_size: 0
    .sgpr_count:     10
    .sgpr_spill_count: 0
    .symbol:         _ZN9rocsolver6v33100L7set_tauI19rocblas_complex_numIfEEEviPT_l.kd
    .uniform_work_group_size: 1
    .uses_dynamic_stack: false
    .vgpr_count:     4
    .vgpr_spill_count: 0
    .wavefront_size: 32
  - .args:
      - .offset:         0
        .size:           4
        .value_kind:     by_value
      - .offset:         4
        .size:           4
        .value_kind:     by_value
      - .offset:         8
        .size:           4
        .value_kind:     by_value
      - .address_space:  global
        .offset:         16
        .size:           8
        .value_kind:     global_buffer
      - .offset:         24
        .size:           4
        .value_kind:     by_value
      - .offset:         28
        .size:           4
        .value_kind:     by_value
      - .offset:         32
        .size:           8
        .value_kind:     by_value
      - .address_space:  global
        .offset:         40
        .size:           8
        .value_kind:     global_buffer
      - .offset:         48
        .size:           8
        .value_kind:     by_value
      - .address_space:  global
        .offset:         56
        .size:           8
        .value_kind:     global_buffer
      - .offset:         64
        .size:           4
        .value_kind:     by_value
      - .offset:         72
        .size:           8
        .value_kind:     by_value
      - .offset:         80
        .size:           4
        .value_kind:     hidden_block_count_x
      - .offset:         84
        .size:           4
        .value_kind:     hidden_block_count_y
      - .offset:         88
        .size:           4
        .value_kind:     hidden_block_count_z
      - .offset:         92
        .size:           2
        .value_kind:     hidden_group_size_x
      - .offset:         94
        .size:           2
        .value_kind:     hidden_group_size_y
      - .offset:         96
        .size:           2
        .value_kind:     hidden_group_size_z
      - .offset:         98
        .size:           2
        .value_kind:     hidden_remainder_x
      - .offset:         100
        .size:           2
        .value_kind:     hidden_remainder_y
      - .offset:         102
        .size:           2
        .value_kind:     hidden_remainder_z
      - .offset:         120
        .size:           8
        .value_kind:     hidden_global_offset_x
      - .offset:         128
        .size:           8
        .value_kind:     hidden_global_offset_y
      - .offset:         136
        .size:           8
        .value_kind:     hidden_global_offset_z
      - .offset:         144
        .size:           2
        .value_kind:     hidden_grid_dims
      - .offset:         200
        .size:           4
        .value_kind:     hidden_dynamic_lds_size
    .group_segment_fixed_size: 0
    .kernarg_segment_align: 8
    .kernarg_segment_size: 336
    .language:       OpenCL C
    .language_version:
      - 2
      - 0
    .max_flat_workgroup_size: 1024
    .name:           _ZN9rocsolver6v33100L20larft_kernel_forwardI19rocblas_complex_numIfEPS3_EEv15rocblas_storev_iiT0_iilPT_lS8_il
    .private_segment_fixed_size: 0
    .sgpr_count:     52
    .sgpr_spill_count: 0
    .symbol:         _ZN9rocsolver6v33100L20larft_kernel_forwardI19rocblas_complex_numIfEPS3_EEv15rocblas_storev_iiT0_iilPT_lS8_il.kd
    .uniform_work_group_size: 1
    .uses_dynamic_stack: false
    .vgpr_count:     24
    .vgpr_spill_count: 0
    .wavefront_size: 32
  - .args:
      - .offset:         0
        .size:           4
        .value_kind:     by_value
      - .offset:         4
        .size:           4
        .value_kind:     by_value
      - .offset:         8
        .size:           4
        .value_kind:     by_value
      - .address_space:  global
        .offset:         16
        .size:           8
        .value_kind:     global_buffer
      - .offset:         24
        .size:           4
        .value_kind:     by_value
      - .offset:         28
        .size:           4
        .value_kind:     by_value
      - .offset:         32
        .size:           8
        .value_kind:     by_value
      - .address_space:  global
        .offset:         40
        .size:           8
        .value_kind:     global_buffer
      - .offset:         48
        .size:           8
        .value_kind:     by_value
      - .address_space:  global
        .offset:         56
        .size:           8
        .value_kind:     global_buffer
      - .offset:         64
        .size:           4
        .value_kind:     by_value
      - .offset:         72
        .size:           8
        .value_kind:     by_value
      - .offset:         80
        .size:           4
        .value_kind:     hidden_block_count_x
      - .offset:         84
        .size:           4
        .value_kind:     hidden_block_count_y
      - .offset:         88
        .size:           4
        .value_kind:     hidden_block_count_z
      - .offset:         92
        .size:           2
        .value_kind:     hidden_group_size_x
      - .offset:         94
        .size:           2
        .value_kind:     hidden_group_size_y
      - .offset:         96
        .size:           2
        .value_kind:     hidden_group_size_z
      - .offset:         98
        .size:           2
        .value_kind:     hidden_remainder_x
      - .offset:         100
        .size:           2
        .value_kind:     hidden_remainder_y
      - .offset:         102
        .size:           2
        .value_kind:     hidden_remainder_z
      - .offset:         120
        .size:           8
        .value_kind:     hidden_global_offset_x
      - .offset:         128
        .size:           8
        .value_kind:     hidden_global_offset_y
      - .offset:         136
        .size:           8
        .value_kind:     hidden_global_offset_z
      - .offset:         144
        .size:           2
        .value_kind:     hidden_grid_dims
      - .offset:         200
        .size:           4
        .value_kind:     hidden_dynamic_lds_size
    .group_segment_fixed_size: 0
    .kernarg_segment_align: 8
    .kernarg_segment_size: 336
    .language:       OpenCL C
    .language_version:
      - 2
      - 0
    .max_flat_workgroup_size: 1024
    .name:           _ZN9rocsolver6v33100L21larft_kernel_backwardI19rocblas_complex_numIfEPS3_EEv15rocblas_storev_iiT0_iilPT_lS8_il
    .private_segment_fixed_size: 0
    .sgpr_count:     50
    .sgpr_spill_count: 0
    .symbol:         _ZN9rocsolver6v33100L21larft_kernel_backwardI19rocblas_complex_numIfEPS3_EEv15rocblas_storev_iiT0_iilPT_lS8_il.kd
    .uniform_work_group_size: 1
    .uses_dynamic_stack: false
    .vgpr_count:     22
    .vgpr_spill_count: 0
    .wavefront_size: 32
  - .args:
      - .offset:         0
        .size:           4
        .value_kind:     by_value
      - .offset:         4
        .size:           4
        .value_kind:     by_value
      - .address_space:  global
        .offset:         8
        .size:           8
        .value_kind:     global_buffer
      - .offset:         16
        .size:           4
        .value_kind:     by_value
      - .offset:         20
        .size:           4
        .value_kind:     by_value
      - .offset:         24
        .size:           8
        .value_kind:     by_value
      - .address_space:  global
        .offset:         32
        .size:           8
        .value_kind:     global_buffer
      - .offset:         40
        .size:           4
        .value_kind:     hidden_block_count_x
      - .offset:         44
        .size:           4
        .value_kind:     hidden_block_count_y
      - .offset:         48
        .size:           4
        .value_kind:     hidden_block_count_z
      - .offset:         52
        .size:           2
        .value_kind:     hidden_group_size_x
      - .offset:         54
        .size:           2
        .value_kind:     hidden_group_size_y
      - .offset:         56
        .size:           2
        .value_kind:     hidden_group_size_z
      - .offset:         58
        .size:           2
        .value_kind:     hidden_remainder_x
      - .offset:         60
        .size:           2
        .value_kind:     hidden_remainder_y
      - .offset:         62
        .size:           2
        .value_kind:     hidden_remainder_z
      - .offset:         80
        .size:           8
        .value_kind:     hidden_global_offset_x
      - .offset:         88
        .size:           8
        .value_kind:     hidden_global_offset_y
      - .offset:         96
        .size:           8
        .value_kind:     hidden_global_offset_z
      - .offset:         104
        .size:           2
        .value_kind:     hidden_grid_dims
    .group_segment_fixed_size: 0
    .kernarg_segment_align: 8
    .kernarg_segment_size: 296
    .language:       OpenCL C
    .language_version:
      - 2
      - 0
    .max_flat_workgroup_size: 1024
    .name:           _ZN9rocsolver6v33100L9copymatA1I19rocblas_complex_numIfEPS3_EEviiT0_iilPT_
    .private_segment_fixed_size: 0
    .sgpr_count:     19
    .sgpr_spill_count: 0
    .symbol:         _ZN9rocsolver6v33100L9copymatA1I19rocblas_complex_numIfEPS3_EEviiT0_iilPT_.kd
    .uniform_work_group_size: 1
    .uses_dynamic_stack: false
    .vgpr_count:     4
    .vgpr_spill_count: 0
    .wavefront_size: 32
  - .args:
      - .offset:         0
        .size:           4
        .value_kind:     by_value
      - .offset:         4
        .size:           4
        .value_kind:     by_value
      - .address_space:  global
        .offset:         8
        .size:           8
        .value_kind:     global_buffer
      - .offset:         16
        .size:           4
        .value_kind:     by_value
      - .offset:         20
        .size:           4
        .value_kind:     by_value
      - .offset:         24
        .size:           8
        .value_kind:     by_value
      - .address_space:  global
        .offset:         32
        .size:           8
        .value_kind:     global_buffer
      - .offset:         40
        .size:           4
        .value_kind:     hidden_block_count_x
      - .offset:         44
        .size:           4
        .value_kind:     hidden_block_count_y
      - .offset:         48
        .size:           4
        .value_kind:     hidden_block_count_z
      - .offset:         52
        .size:           2
        .value_kind:     hidden_group_size_x
      - .offset:         54
        .size:           2
        .value_kind:     hidden_group_size_y
      - .offset:         56
        .size:           2
        .value_kind:     hidden_group_size_z
      - .offset:         58
        .size:           2
        .value_kind:     hidden_remainder_x
      - .offset:         60
        .size:           2
        .value_kind:     hidden_remainder_y
      - .offset:         62
        .size:           2
        .value_kind:     hidden_remainder_z
      - .offset:         80
        .size:           8
        .value_kind:     hidden_global_offset_x
      - .offset:         88
        .size:           8
        .value_kind:     hidden_global_offset_y
      - .offset:         96
        .size:           8
        .value_kind:     hidden_global_offset_z
      - .offset:         104
        .size:           2
        .value_kind:     hidden_grid_dims
    .group_segment_fixed_size: 0
    .kernarg_segment_align: 8
    .kernarg_segment_size: 296
    .language:       OpenCL C
    .language_version:
      - 2
      - 0
    .max_flat_workgroup_size: 1024
    .name:           _ZN9rocsolver6v33100L8addmatA1I19rocblas_complex_numIfEPS3_EEviiT0_iilPT_
    .private_segment_fixed_size: 0
    .sgpr_count:     19
    .sgpr_spill_count: 0
    .symbol:         _ZN9rocsolver6v33100L8addmatA1I19rocblas_complex_numIfEPS3_EEviiT0_iilPT_.kd
    .uniform_work_group_size: 1
    .uses_dynamic_stack: false
    .vgpr_count:     6
    .vgpr_spill_count: 0
    .wavefront_size: 32
  - .args:
      - .offset:         0
        .size:           4
        .value_kind:     by_value
      - .address_space:  global
        .offset:         8
        .size:           8
        .value_kind:     global_buffer
      - .offset:         16
        .size:           8
        .value_kind:     by_value
      - .address_space:  global
        .offset:         24
        .size:           8
        .value_kind:     global_buffer
      - .offset:         32
        .size:           4
        .value_kind:     by_value
      - .offset:         40
        .size:           8
        .value_kind:     by_value
      - .address_space:  global
        .offset:         48
        .size:           8
        .value_kind:     global_buffer
      - .offset:         56
        .size:           4
        .value_kind:     by_value
      - .offset:         64
        .size:           8
        .value_kind:     by_value
      - .offset:         72
        .size:           4
        .value_kind:     hidden_block_count_x
      - .offset:         76
        .size:           4
        .value_kind:     hidden_block_count_y
      - .offset:         80
        .size:           4
        .value_kind:     hidden_block_count_z
      - .offset:         84
        .size:           2
        .value_kind:     hidden_group_size_x
      - .offset:         86
        .size:           2
        .value_kind:     hidden_group_size_y
      - .offset:         88
        .size:           2
        .value_kind:     hidden_group_size_z
      - .offset:         90
        .size:           2
        .value_kind:     hidden_remainder_x
      - .offset:         92
        .size:           2
        .value_kind:     hidden_remainder_y
      - .offset:         94
        .size:           2
        .value_kind:     hidden_remainder_z
      - .offset:         112
        .size:           8
        .value_kind:     hidden_global_offset_x
      - .offset:         120
        .size:           8
        .value_kind:     hidden_global_offset_y
      - .offset:         128
        .size:           8
        .value_kind:     hidden_global_offset_z
      - .offset:         136
        .size:           2
        .value_kind:     hidden_grid_dims
    .group_segment_fixed_size: 0
    .kernarg_segment_align: 8
    .kernarg_segment_size: 328
    .language:       OpenCL C
    .language_version:
      - 2
      - 0
    .max_flat_workgroup_size: 1024
    .name:           _ZN9rocsolver6v33100L15gesvdj_finalizeI19rocblas_complex_numIfEfEEviPT0_lPT_ilS7_il
    .private_segment_fixed_size: 0
    .sgpr_count:     24
    .sgpr_spill_count: 0
    .symbol:         _ZN9rocsolver6v33100L15gesvdj_finalizeI19rocblas_complex_numIfEfEEviPT0_lPT_ilS7_il.kd
    .uniform_work_group_size: 1
    .uses_dynamic_stack: false
    .vgpr_count:     4
    .vgpr_spill_count: 0
    .wavefront_size: 32
  - .args:
      - .offset:         0
        .size:           4
        .value_kind:     by_value
      - .offset:         4
        .size:           4
        .value_kind:     by_value
      - .offset:         8
        .size:           4
        .value_kind:     by_value
      - .address_space:  global
        .offset:         16
        .size:           8
        .value_kind:     global_buffer
      - .offset:         24
        .size:           4
        .value_kind:     by_value
      - .offset:         28
        .size:           4
        .value_kind:     by_value
      - .offset:         32
        .size:           8
        .value_kind:     by_value
      - .offset:         40
        .size:           4
        .value_kind:     hidden_block_count_x
      - .offset:         44
        .size:           4
        .value_kind:     hidden_block_count_y
      - .offset:         48
        .size:           4
        .value_kind:     hidden_block_count_z
      - .offset:         52
        .size:           2
        .value_kind:     hidden_group_size_x
      - .offset:         54
        .size:           2
        .value_kind:     hidden_group_size_y
      - .offset:         56
        .size:           2
        .value_kind:     hidden_group_size_z
      - .offset:         58
        .size:           2
        .value_kind:     hidden_remainder_x
      - .offset:         60
        .size:           2
        .value_kind:     hidden_remainder_y
      - .offset:         62
        .size:           2
        .value_kind:     hidden_remainder_z
      - .offset:         80
        .size:           8
        .value_kind:     hidden_global_offset_x
      - .offset:         88
        .size:           8
        .value_kind:     hidden_global_offset_y
      - .offset:         96
        .size:           8
        .value_kind:     hidden_global_offset_z
      - .offset:         104
        .size:           2
        .value_kind:     hidden_grid_dims
    .group_segment_fixed_size: 0
    .kernarg_segment_align: 8
    .kernarg_segment_size: 296
    .language:       OpenCL C
    .language_version:
      - 2
      - 0
    .max_flat_workgroup_size: 1024
    .name:           _ZN9rocsolver6v33100L16org2r_init_identI19rocblas_complex_numIfEPS3_EEviiiT0_iil
    .private_segment_fixed_size: 0
    .sgpr_count:     14
    .sgpr_spill_count: 0
    .symbol:         _ZN9rocsolver6v33100L16org2r_init_identI19rocblas_complex_numIfEPS3_EEviiiT0_iil.kd
    .uniform_work_group_size: 1
    .uses_dynamic_stack: false
    .vgpr_count:     3
    .vgpr_spill_count: 0
    .wavefront_size: 32
  - .args:
      - .offset:         0
        .size:           4
        .value_kind:     by_value
      - .offset:         4
        .size:           4
        .value_kind:     by_value
      - .address_space:  global
        .offset:         8
        .size:           8
        .value_kind:     global_buffer
      - .offset:         16
        .size:           4
        .value_kind:     by_value
      - .offset:         20
        .size:           4
        .value_kind:     by_value
      - .offset:         24
        .size:           8
        .value_kind:     by_value
      - .address_space:  global
        .offset:         32
        .size:           8
        .value_kind:     global_buffer
      - .offset:         40
        .size:           8
        .value_kind:     by_value
    .group_segment_fixed_size: 0
    .kernarg_segment_align: 8
    .kernarg_segment_size: 48
    .language:       OpenCL C
    .language_version:
      - 2
      - 0
    .max_flat_workgroup_size: 1024
    .name:           _ZN9rocsolver6v33100L12subtract_tauI19rocblas_complex_numIfEPS3_EEviiT0_iilPT_l
    .private_segment_fixed_size: 0
    .sgpr_count:     16
    .sgpr_spill_count: 0
    .symbol:         _ZN9rocsolver6v33100L12subtract_tauI19rocblas_complex_numIfEPS3_EEviiT0_iilPT_l.kd
    .uniform_work_group_size: 1
    .uses_dynamic_stack: false
    .vgpr_count:     6
    .vgpr_spill_count: 0
    .wavefront_size: 32
  - .args:
      - .offset:         0
        .size:           4
        .value_kind:     by_value
      - .address_space:  global
        .offset:         8
        .size:           8
        .value_kind:     global_buffer
      - .offset:         16
        .size:           8
        .value_kind:     by_value
      - .offset:         24
        .size:           4
        .value_kind:     hidden_block_count_x
      - .offset:         28
        .size:           4
        .value_kind:     hidden_block_count_y
      - .offset:         32
        .size:           4
        .value_kind:     hidden_block_count_z
      - .offset:         36
        .size:           2
        .value_kind:     hidden_group_size_x
      - .offset:         38
        .size:           2
        .value_kind:     hidden_group_size_y
      - .offset:         40
        .size:           2
        .value_kind:     hidden_group_size_z
      - .offset:         42
        .size:           2
        .value_kind:     hidden_remainder_x
      - .offset:         44
        .size:           2
        .value_kind:     hidden_remainder_y
      - .offset:         46
        .size:           2
        .value_kind:     hidden_remainder_z
      - .offset:         64
        .size:           8
        .value_kind:     hidden_global_offset_x
      - .offset:         72
        .size:           8
        .value_kind:     hidden_global_offset_y
      - .offset:         80
        .size:           8
        .value_kind:     hidden_global_offset_z
      - .offset:         88
        .size:           2
        .value_kind:     hidden_grid_dims
    .group_segment_fixed_size: 0
    .kernarg_segment_align: 8
    .kernarg_segment_size: 280
    .language:       OpenCL C
    .language_version:
      - 2
      - 0
    .max_flat_workgroup_size: 1024
    .name:           _ZN9rocsolver6v33100L6restauI19rocblas_complex_numIfEEEviPT_l
    .private_segment_fixed_size: 0
    .sgpr_count:     10
    .sgpr_spill_count: 0
    .symbol:         _ZN9rocsolver6v33100L6restauI19rocblas_complex_numIfEEEviPT_l.kd
    .uniform_work_group_size: 1
    .uses_dynamic_stack: false
    .vgpr_count:     4
    .vgpr_spill_count: 0
    .wavefront_size: 32
  - .args:
      - .offset:         0
        .size:           4
        .value_kind:     by_value
      - .offset:         4
        .size:           4
        .value_kind:     by_value
      - .address_space:  global
        .offset:         8
        .size:           8
        .value_kind:     global_buffer
      - .offset:         16
        .size:           4
        .value_kind:     by_value
      - .offset:         20
        .size:           4
        .value_kind:     by_value
      - .offset:         24
        .size:           8
        .value_kind:     by_value
      - .offset:         32
        .size:           4
        .value_kind:     by_value
      - .offset:         40
        .size:           4
        .value_kind:     hidden_block_count_x
      - .offset:         44
        .size:           4
        .value_kind:     hidden_block_count_y
      - .offset:         48
        .size:           4
        .value_kind:     hidden_block_count_z
      - .offset:         52
        .size:           2
        .value_kind:     hidden_group_size_x
      - .offset:         54
        .size:           2
        .value_kind:     hidden_group_size_y
      - .offset:         56
        .size:           2
        .value_kind:     hidden_group_size_z
      - .offset:         58
        .size:           2
        .value_kind:     hidden_remainder_x
      - .offset:         60
        .size:           2
        .value_kind:     hidden_remainder_y
      - .offset:         62
        .size:           2
        .value_kind:     hidden_remainder_z
      - .offset:         80
        .size:           8
        .value_kind:     hidden_global_offset_x
      - .offset:         88
        .size:           8
        .value_kind:     hidden_global_offset_y
      - .offset:         96
        .size:           8
        .value_kind:     hidden_global_offset_z
      - .offset:         104
        .size:           2
        .value_kind:     hidden_grid_dims
    .group_segment_fixed_size: 0
    .kernarg_segment_align: 8
    .kernarg_segment_size: 296
    .language:       OpenCL C
    .language_version:
      - 2
      - 0
    .max_flat_workgroup_size: 1024
    .name:           _ZN9rocsolver6v33100L8set_zeroI19rocblas_complex_numIfEPS3_EEviiT0_iil13rocblas_fill_
    .private_segment_fixed_size: 0
    .sgpr_count:     14
    .sgpr_spill_count: 0
    .symbol:         _ZN9rocsolver6v33100L8set_zeroI19rocblas_complex_numIfEPS3_EEviiT0_iil13rocblas_fill_.kd
    .uniform_work_group_size: 1
    .uses_dynamic_stack: false
    .vgpr_count:     3
    .vgpr_spill_count: 0
    .wavefront_size: 32
  - .args:
      - .offset:         0
        .size:           4
        .value_kind:     by_value
      - .offset:         4
        .size:           4
        .value_kind:     by_value
      - .offset:         8
        .size:           4
        .value_kind:     by_value
      - .address_space:  global
        .offset:         16
        .size:           8
        .value_kind:     global_buffer
      - .offset:         24
        .size:           4
        .value_kind:     by_value
      - .offset:         28
        .size:           4
        .value_kind:     by_value
      - .offset:         32
        .size:           8
        .value_kind:     by_value
      - .address_space:  global
        .offset:         40
        .size:           8
        .value_kind:     global_buffer
      - .offset:         48
        .size:           4
        .value_kind:     by_value
      - .offset:         52
        .size:           4
        .value_kind:     by_value
      - .offset:         56
        .size:           8
        .value_kind:     by_value
      - .offset:         64
        .size:           1
        .value_kind:     by_value
      - .offset:         68
        .size:           4
        .value_kind:     by_value
      - .offset:         72
        .size:           4
        .value_kind:     by_value
      - .offset:         80
        .size:           4
        .value_kind:     hidden_block_count_x
      - .offset:         84
        .size:           4
        .value_kind:     hidden_block_count_y
      - .offset:         88
        .size:           4
        .value_kind:     hidden_block_count_z
      - .offset:         92
        .size:           2
        .value_kind:     hidden_group_size_x
      - .offset:         94
        .size:           2
        .value_kind:     hidden_group_size_y
      - .offset:         96
        .size:           2
        .value_kind:     hidden_group_size_z
      - .offset:         98
        .size:           2
        .value_kind:     hidden_remainder_x
      - .offset:         100
        .size:           2
        .value_kind:     hidden_remainder_y
      - .offset:         102
        .size:           2
        .value_kind:     hidden_remainder_z
      - .offset:         120
        .size:           8
        .value_kind:     hidden_global_offset_x
      - .offset:         128
        .size:           8
        .value_kind:     hidden_global_offset_y
      - .offset:         136
        .size:           8
        .value_kind:     hidden_global_offset_z
      - .offset:         144
        .size:           2
        .value_kind:     hidden_grid_dims
    .group_segment_fixed_size: 0
    .kernarg_segment_align: 8
    .kernarg_segment_size: 336
    .language:       OpenCL C
    .language_version:
      - 2
      - 0
    .max_flat_workgroup_size: 1024
    .name:           _ZN9rocsolver6v33100L14copy_trans_matI19rocblas_complex_numIfES3_PS3_S4_NS0_7no_maskEEEv18rocblas_operation_iiT1_iilT2_iilT3_13rocblas_fill_17rocblas_diagonal_
    .private_segment_fixed_size: 0
    .sgpr_count:     22
    .sgpr_spill_count: 0
    .symbol:         _ZN9rocsolver6v33100L14copy_trans_matI19rocblas_complex_numIfES3_PS3_S4_NS0_7no_maskEEEv18rocblas_operation_iiT1_iilT2_iilT3_13rocblas_fill_17rocblas_diagonal_.kd
    .uniform_work_group_size: 1
    .uses_dynamic_stack: false
    .vgpr_count:     7
    .vgpr_spill_count: 0
    .wavefront_size: 32
  - .args:
      - .address_space:  global
        .offset:         0
        .size:           8
        .value_kind:     global_buffer
      - .offset:         8
        .size:           8
        .value_kind:     by_value
      - .offset:         16
        .size:           8
        .value_kind:     by_value
      - .address_space:  global
        .offset:         24
        .size:           8
        .value_kind:     global_buffer
      - .offset:         32
        .size:           8
        .value_kind:     by_value
      - .offset:         40
        .size:           4
        .value_kind:     by_value
      - .offset:         48
        .size:           8
        .value_kind:     by_value
      - .offset:         56
        .size:           4
        .value_kind:     by_value
      - .offset:         60
        .size:           1
        .value_kind:     by_value
      - .offset:         64
        .size:           4
        .value_kind:     hidden_block_count_x
      - .offset:         68
        .size:           4
        .value_kind:     hidden_block_count_y
      - .offset:         72
        .size:           4
        .value_kind:     hidden_block_count_z
      - .offset:         76
        .size:           2
        .value_kind:     hidden_group_size_x
      - .offset:         78
        .size:           2
        .value_kind:     hidden_group_size_y
      - .offset:         80
        .size:           2
        .value_kind:     hidden_group_size_z
      - .offset:         82
        .size:           2
        .value_kind:     hidden_remainder_x
      - .offset:         84
        .size:           2
        .value_kind:     hidden_remainder_y
      - .offset:         86
        .size:           2
        .value_kind:     hidden_remainder_z
      - .offset:         104
        .size:           8
        .value_kind:     hidden_global_offset_x
      - .offset:         112
        .size:           8
        .value_kind:     hidden_global_offset_y
      - .offset:         120
        .size:           8
        .value_kind:     hidden_global_offset_z
      - .offset:         128
        .size:           2
        .value_kind:     hidden_grid_dims
    .group_segment_fixed_size: 0
    .kernarg_segment_align: 8
    .kernarg_segment_size: 320
    .language:       OpenCL C
    .language_version:
      - 2
      - 0
    .max_flat_workgroup_size: 1024
    .name:           _ZN9rocsolver6v33100L8set_diagI19rocblas_complex_numIfEiS3_PS3_TnNSt9enable_ifIXoont18rocblas_is_complexIT_E18rocblas_is_complexIT1_EEiE4typeELi0EEEvPS7_llT2_lT0_lSC_b
    .private_segment_fixed_size: 0
    .sgpr_count:     22
    .sgpr_spill_count: 0
    .symbol:         _ZN9rocsolver6v33100L8set_diagI19rocblas_complex_numIfEiS3_PS3_TnNSt9enable_ifIXoont18rocblas_is_complexIT_E18rocblas_is_complexIT1_EEiE4typeELi0EEEvPS7_llT2_lT0_lSC_b.kd
    .uniform_work_group_size: 1
    .uses_dynamic_stack: false
    .vgpr_count:     6
    .vgpr_spill_count: 0
    .wavefront_size: 32
  - .args:
      - .address_space:  global
        .offset:         0
        .size:           8
        .value_kind:     global_buffer
      - .offset:         8
        .size:           8
        .value_kind:     by_value
      - .offset:         16
        .size:           8
        .value_kind:     by_value
      - .address_space:  global
        .offset:         24
        .size:           8
        .value_kind:     global_buffer
      - .offset:         32
        .size:           8
        .value_kind:     by_value
      - .offset:         40
        .size:           4
        .value_kind:     by_value
      - .offset:         48
        .size:           8
        .value_kind:     by_value
      - .offset:         56
        .size:           4
        .value_kind:     by_value
      - .offset:         64
        .size:           4
        .value_kind:     hidden_block_count_x
      - .offset:         68
        .size:           4
        .value_kind:     hidden_block_count_y
      - .offset:         72
        .size:           4
        .value_kind:     hidden_block_count_z
      - .offset:         76
        .size:           2
        .value_kind:     hidden_group_size_x
      - .offset:         78
        .size:           2
        .value_kind:     hidden_group_size_y
      - .offset:         80
        .size:           2
        .value_kind:     hidden_group_size_z
      - .offset:         82
        .size:           2
        .value_kind:     hidden_remainder_x
      - .offset:         84
        .size:           2
        .value_kind:     hidden_remainder_y
      - .offset:         86
        .size:           2
        .value_kind:     hidden_remainder_z
      - .offset:         104
        .size:           8
        .value_kind:     hidden_global_offset_x
      - .offset:         112
        .size:           8
        .value_kind:     hidden_global_offset_y
      - .offset:         120
        .size:           8
        .value_kind:     hidden_global_offset_z
      - .offset:         128
        .size:           2
        .value_kind:     hidden_grid_dims
    .group_segment_fixed_size: 0
    .kernarg_segment_align: 8
    .kernarg_segment_size: 320
    .language:       OpenCL C
    .language_version:
      - 2
      - 0
    .max_flat_workgroup_size: 1024
    .name:           _ZN9rocsolver6v33100L12restore_diagI19rocblas_complex_numIfEiS3_PS3_EEvPT1_llT2_lT0_lS8_
    .private_segment_fixed_size: 0
    .sgpr_count:     13
    .sgpr_spill_count: 0
    .symbol:         _ZN9rocsolver6v33100L12restore_diagI19rocblas_complex_numIfEiS3_PS3_EEvPT1_llT2_lT0_lS8_.kd
    .uniform_work_group_size: 1
    .uses_dynamic_stack: false
    .vgpr_count:     4
    .vgpr_spill_count: 0
    .wavefront_size: 32
  - .args:
      - .offset:         0
        .size:           4
        .value_kind:     by_value
      - .offset:         4
        .size:           4
        .value_kind:     by_value
      - .offset:         8
        .size:           4
        .value_kind:     by_value
      - .address_space:  global
        .offset:         16
        .size:           8
        .value_kind:     global_buffer
      - .offset:         24
        .size:           4
        .value_kind:     by_value
      - .offset:         28
        .size:           4
        .value_kind:     by_value
      - .offset:         32
        .size:           8
        .value_kind:     by_value
      - .offset:         40
        .size:           4
        .value_kind:     hidden_block_count_x
      - .offset:         44
        .size:           4
        .value_kind:     hidden_block_count_y
      - .offset:         48
        .size:           4
        .value_kind:     hidden_block_count_z
      - .offset:         52
        .size:           2
        .value_kind:     hidden_group_size_x
      - .offset:         54
        .size:           2
        .value_kind:     hidden_group_size_y
      - .offset:         56
        .size:           2
        .value_kind:     hidden_group_size_z
      - .offset:         58
        .size:           2
        .value_kind:     hidden_remainder_x
      - .offset:         60
        .size:           2
        .value_kind:     hidden_remainder_y
      - .offset:         62
        .size:           2
        .value_kind:     hidden_remainder_z
      - .offset:         80
        .size:           8
        .value_kind:     hidden_global_offset_x
      - .offset:         88
        .size:           8
        .value_kind:     hidden_global_offset_y
      - .offset:         96
        .size:           8
        .value_kind:     hidden_global_offset_z
      - .offset:         104
        .size:           2
        .value_kind:     hidden_grid_dims
    .group_segment_fixed_size: 0
    .kernarg_segment_align: 8
    .kernarg_segment_size: 296
    .language:       OpenCL C
    .language_version:
      - 2
      - 0
    .max_flat_workgroup_size: 1024
    .name:           _ZN9rocsolver6v33100L16orgl2_init_identI19rocblas_complex_numIfEPS3_EEviiiT0_iil
    .private_segment_fixed_size: 0
    .sgpr_count:     14
    .sgpr_spill_count: 0
    .symbol:         _ZN9rocsolver6v33100L16orgl2_init_identI19rocblas_complex_numIfEPS3_EEviiiT0_iil.kd
    .uniform_work_group_size: 1
    .uses_dynamic_stack: false
    .vgpr_count:     3
    .vgpr_spill_count: 0
    .wavefront_size: 32
  - .args:
      - .address_space:  global
        .offset:         0
        .size:           8
        .value_kind:     global_buffer
      - .offset:         8
        .size:           4
        .value_kind:     by_value
      - .offset:         16
        .size:           16
        .value_kind:     by_value
    .group_segment_fixed_size: 0
    .kernarg_segment_align: 8
    .kernarg_segment_size: 32
    .language:       OpenCL C
    .language_version:
      - 2
      - 0
    .max_flat_workgroup_size: 32
    .name:           _ZN9rocsolver6v33100L6iota_nI19rocblas_complex_numIdEEEvPT_jS4_
    .private_segment_fixed_size: 0
    .sgpr_count:     10
    .sgpr_spill_count: 0
    .symbol:         _ZN9rocsolver6v33100L6iota_nI19rocblas_complex_numIdEEEvPT_jS4_.kd
    .uniform_work_group_size: 1
    .uses_dynamic_stack: false
    .vgpr_count:     6
    .vgpr_spill_count: 0
    .wavefront_size: 32
  - .args:
      - .offset:         0
        .size:           4
        .value_kind:     by_value
      - .address_space:  global
        .offset:         8
        .size:           8
        .value_kind:     global_buffer
      - .offset:         16
        .size:           8
        .value_kind:     by_value
      - .address_space:  global
        .offset:         24
        .size:           8
        .value_kind:     global_buffer
      - .offset:         32
        .size:           8
        .value_kind:     by_value
      - .offset:         40
        .size:           4
        .value_kind:     by_value
      - .offset:         48
        .size:           4
        .value_kind:     hidden_block_count_x
      - .offset:         52
        .size:           4
        .value_kind:     hidden_block_count_y
      - .offset:         56
        .size:           4
        .value_kind:     hidden_block_count_z
      - .offset:         60
        .size:           2
        .value_kind:     hidden_group_size_x
      - .offset:         62
        .size:           2
        .value_kind:     hidden_group_size_y
      - .offset:         64
        .size:           2
        .value_kind:     hidden_group_size_z
      - .offset:         66
        .size:           2
        .value_kind:     hidden_remainder_x
      - .offset:         68
        .size:           2
        .value_kind:     hidden_remainder_y
      - .offset:         70
        .size:           2
        .value_kind:     hidden_remainder_z
      - .offset:         88
        .size:           8
        .value_kind:     hidden_global_offset_x
      - .offset:         96
        .size:           8
        .value_kind:     hidden_global_offset_y
      - .offset:         104
        .size:           8
        .value_kind:     hidden_global_offset_z
      - .offset:         112
        .size:           2
        .value_kind:     hidden_grid_dims
    .group_segment_fixed_size: 0
    .kernarg_segment_align: 8
    .kernarg_segment_size: 304
    .language:       OpenCL C
    .language_version:
      - 2
      - 0
    .max_flat_workgroup_size: 1024
    .name:           _ZN9rocsolver6v33100L16syev_scalar_caseI19rocblas_complex_numIdEdPS3_TnNSt9enable_ifIX18rocblas_is_complexIT_EEiE4typeELi0EEEv14rocblas_evect_T1_lPT0_li
    .private_segment_fixed_size: 0
    .sgpr_count:     12
    .sgpr_spill_count: 0
    .symbol:         _ZN9rocsolver6v33100L16syev_scalar_caseI19rocblas_complex_numIdEdPS3_TnNSt9enable_ifIX18rocblas_is_complexIT_EEiE4typeELi0EEEv14rocblas_evect_T1_lPT0_li.kd
    .uniform_work_group_size: 1
    .uses_dynamic_stack: false
    .vgpr_count:     8
    .vgpr_spill_count: 0
    .wavefront_size: 32
  - .args:
      - .offset:         0
        .size:           4
        .value_kind:     by_value
      - .offset:         4
        .size:           4
        .value_kind:     by_value
      - .offset:         8
        .size:           4
        .value_kind:     by_value
      - .offset:         12
        .size:           4
        .value_kind:     by_value
      - .address_space:  global
        .offset:         16
        .size:           8
        .value_kind:     global_buffer
      - .offset:         24
        .size:           4
        .value_kind:     by_value
      - .offset:         28
        .size:           4
        .value_kind:     by_value
      - .offset:         32
        .size:           8
        .value_kind:     by_value
      - .offset:         40
        .size:           8
        .value_kind:     by_value
      - .offset:         48
        .size:           8
        .value_kind:     by_value
      - .address_space:  global
        .offset:         56
        .size:           8
        .value_kind:     global_buffer
      - .offset:         64
        .size:           4
        .value_kind:     by_value
      - .address_space:  global
        .offset:         72
        .size:           8
        .value_kind:     global_buffer
      - .address_space:  global
        .offset:         80
        .size:           8
        .value_kind:     global_buffer
      - .offset:         88
        .size:           8
        .value_kind:     by_value
      - .address_space:  global
        .offset:         96
        .size:           8
        .value_kind:     global_buffer
      - .address_space:  global
        .offset:         104
        .size:           8
        .value_kind:     global_buffer
    .group_segment_fixed_size: 0
    .kernarg_segment_align: 8
    .kernarg_segment_size: 112
    .language:       OpenCL C
    .language_version:
      - 2
      - 0
    .max_flat_workgroup_size: 1024
    .name:           _ZN9rocsolver6v33100L18syevj_small_kernelI19rocblas_complex_numIdEdPS3_EEv14rocblas_esort_14rocblas_evect_13rocblas_fill_iT1_iilT0_S9_PS9_iPiSA_lSB_PT_
    .private_segment_fixed_size: 24
    .sgpr_count:     65
    .sgpr_spill_count: 0
    .symbol:         _ZN9rocsolver6v33100L18syevj_small_kernelI19rocblas_complex_numIdEdPS3_EEv14rocblas_esort_14rocblas_evect_13rocblas_fill_iT1_iilT0_S9_PS9_iPiSA_lSB_PT_.kd
    .uniform_work_group_size: 1
    .uses_dynamic_stack: false
    .vgpr_count:     56
    .vgpr_spill_count: 0
    .wavefront_size: 32
  - .args:
      - .offset:         0
        .size:           4
        .value_kind:     by_value
      - .offset:         4
        .size:           4
        .value_kind:     by_value
      - .offset:         8
        .size:           4
        .value_kind:     by_value
      - .offset:         12
        .size:           4
        .value_kind:     by_value
      - .address_space:  global
        .offset:         16
        .size:           8
        .value_kind:     global_buffer
      - .offset:         24
        .size:           4
        .value_kind:     by_value
      - .offset:         28
        .size:           4
        .value_kind:     by_value
      - .offset:         32
        .size:           8
        .value_kind:     by_value
      - .offset:         40
        .size:           8
        .value_kind:     by_value
      - .address_space:  global
        .offset:         48
        .size:           8
        .value_kind:     global_buffer
      - .address_space:  global
        .offset:         56
        .size:           8
        .value_kind:     global_buffer
      - .address_space:  global
        .offset:         64
        .size:           8
        .value_kind:     global_buffer
      - .address_space:  global
        .offset:         72
        .size:           8
        .value_kind:     global_buffer
      - .address_space:  global
        .offset:         80
        .size:           8
        .value_kind:     global_buffer
      - .address_space:  global
        .offset:         88
        .size:           8
        .value_kind:     global_buffer
      - .offset:         96
        .size:           4
        .value_kind:     hidden_block_count_x
      - .offset:         100
        .size:           4
        .value_kind:     hidden_block_count_y
      - .offset:         104
        .size:           4
        .value_kind:     hidden_block_count_z
      - .offset:         108
        .size:           2
        .value_kind:     hidden_group_size_x
      - .offset:         110
        .size:           2
        .value_kind:     hidden_group_size_y
      - .offset:         112
        .size:           2
        .value_kind:     hidden_group_size_z
      - .offset:         114
        .size:           2
        .value_kind:     hidden_remainder_x
      - .offset:         116
        .size:           2
        .value_kind:     hidden_remainder_y
      - .offset:         118
        .size:           2
        .value_kind:     hidden_remainder_z
      - .offset:         136
        .size:           8
        .value_kind:     hidden_global_offset_x
      - .offset:         144
        .size:           8
        .value_kind:     hidden_global_offset_y
      - .offset:         152
        .size:           8
        .value_kind:     hidden_global_offset_z
      - .offset:         160
        .size:           2
        .value_kind:     hidden_grid_dims
      - .offset:         216
        .size:           4
        .value_kind:     hidden_dynamic_lds_size
    .group_segment_fixed_size: 0
    .kernarg_segment_align: 8
    .kernarg_segment_size: 352
    .language:       OpenCL C
    .language_version:
      - 2
      - 0
    .max_flat_workgroup_size: 1024
    .name:           _ZN9rocsolver6v33100L10syevj_initI19rocblas_complex_numIdEdPS3_EEv14rocblas_evect_13rocblas_fill_iiT1_iilT0_PS8_PT_S9_PiSC_SC_
    .private_segment_fixed_size: 0
    .sgpr_count:     48
    .sgpr_spill_count: 0
    .symbol:         _ZN9rocsolver6v33100L10syevj_initI19rocblas_complex_numIdEdPS3_EEv14rocblas_evect_13rocblas_fill_iiT1_iilT0_PS8_PT_S9_PiSC_SC_.kd
    .uniform_work_group_size: 1
    .uses_dynamic_stack: false
    .vgpr_count:     34
    .vgpr_spill_count: 0
    .wavefront_size: 32
  - .args:
      - .offset:         0
        .size:           4
        .value_kind:     by_value
      - .address_space:  global
        .offset:         8
        .size:           8
        .value_kind:     global_buffer
      - .offset:         16
        .size:           4
        .value_kind:     by_value
      - .offset:         20
        .size:           4
        .value_kind:     by_value
      - .offset:         24
        .size:           8
        .value_kind:     by_value
      - .offset:         32
        .size:           8
        .value_kind:     by_value
      - .address_space:  global
        .offset:         40
        .size:           8
        .value_kind:     global_buffer
      - .address_space:  global
        .offset:         48
        .size:           8
        .value_kind:     global_buffer
      - .offset:         56
        .size:           4
        .value_kind:     hidden_block_count_x
      - .offset:         60
        .size:           4
        .value_kind:     hidden_block_count_y
      - .offset:         64
        .size:           4
        .value_kind:     hidden_block_count_z
      - .offset:         68
        .size:           2
        .value_kind:     hidden_group_size_x
      - .offset:         70
        .size:           2
        .value_kind:     hidden_group_size_y
      - .offset:         72
        .size:           2
        .value_kind:     hidden_group_size_z
      - .offset:         74
        .size:           2
        .value_kind:     hidden_remainder_x
      - .offset:         76
        .size:           2
        .value_kind:     hidden_remainder_y
      - .offset:         78
        .size:           2
        .value_kind:     hidden_remainder_z
      - .offset:         96
        .size:           8
        .value_kind:     hidden_global_offset_x
      - .offset:         104
        .size:           8
        .value_kind:     hidden_global_offset_y
      - .offset:         112
        .size:           8
        .value_kind:     hidden_global_offset_z
      - .offset:         120
        .size:           2
        .value_kind:     hidden_grid_dims
      - .offset:         176
        .size:           4
        .value_kind:     hidden_dynamic_lds_size
    .group_segment_fixed_size: 0
    .kernarg_segment_align: 8
    .kernarg_segment_size: 312
    .language:       OpenCL C
    .language_version:
      - 2
      - 0
    .max_flat_workgroup_size: 1024
    .name:           _ZN9rocsolver6v33100L17syevj_diag_kernelI19rocblas_complex_numIdEdPS3_EEviT1_iilT0_PT_Pi
    .private_segment_fixed_size: 0
    .sgpr_count:     26
    .sgpr_spill_count: 0
    .symbol:         _ZN9rocsolver6v33100L17syevj_diag_kernelI19rocblas_complex_numIdEdPS3_EEviT1_iilT0_PT_Pi.kd
    .uniform_work_group_size: 1
    .uses_dynamic_stack: false
    .vgpr_count:     46
    .vgpr_spill_count: 0
    .wavefront_size: 32
  - .args:
      - .offset:         0
        .size:           1
        .value_kind:     by_value
      - .offset:         4
        .size:           4
        .value_kind:     by_value
      - .address_space:  global
        .offset:         8
        .size:           8
        .value_kind:     global_buffer
      - .offset:         16
        .size:           4
        .value_kind:     by_value
      - .offset:         20
        .size:           4
        .value_kind:     by_value
      - .offset:         24
        .size:           8
        .value_kind:     by_value
      - .address_space:  global
        .offset:         32
        .size:           8
        .value_kind:     global_buffer
      - .address_space:  global
        .offset:         40
        .size:           8
        .value_kind:     global_buffer
      - .offset:         48
        .size:           4
        .value_kind:     hidden_block_count_x
      - .offset:         52
        .size:           4
        .value_kind:     hidden_block_count_y
      - .offset:         56
        .size:           4
        .value_kind:     hidden_block_count_z
      - .offset:         60
        .size:           2
        .value_kind:     hidden_group_size_x
      - .offset:         62
        .size:           2
        .value_kind:     hidden_group_size_y
      - .offset:         64
        .size:           2
        .value_kind:     hidden_group_size_z
      - .offset:         66
        .size:           2
        .value_kind:     hidden_remainder_x
      - .offset:         68
        .size:           2
        .value_kind:     hidden_remainder_y
      - .offset:         70
        .size:           2
        .value_kind:     hidden_remainder_z
      - .offset:         88
        .size:           8
        .value_kind:     hidden_global_offset_x
      - .offset:         96
        .size:           8
        .value_kind:     hidden_global_offset_y
      - .offset:         104
        .size:           8
        .value_kind:     hidden_global_offset_z
      - .offset:         112
        .size:           2
        .value_kind:     hidden_grid_dims
    .group_segment_fixed_size: 0
    .kernarg_segment_align: 8
    .kernarg_segment_size: 304
    .language:       OpenCL C
    .language_version:
      - 2
      - 0
    .max_flat_workgroup_size: 1024
    .name:           _ZN9rocsolver6v33100L21syevj_diag_rotate_orgILb0E19rocblas_complex_numIdEdPS3_EEvbiT2_iilPT0_Pi
    .private_segment_fixed_size: 0
    .sgpr_count:     20
    .sgpr_spill_count: 0
    .symbol:         _ZN9rocsolver6v33100L21syevj_diag_rotate_orgILb0E19rocblas_complex_numIdEdPS3_EEvbiT2_iilPT0_Pi.kd
    .uniform_work_group_size: 1
    .uses_dynamic_stack: false
    .vgpr_count:     20
    .vgpr_spill_count: 0
    .wavefront_size: 32
  - .args:
      - .offset:         0
        .size:           1
        .value_kind:     by_value
      - .offset:         4
        .size:           4
        .value_kind:     by_value
      - .address_space:  global
        .offset:         8
        .size:           8
        .value_kind:     global_buffer
      - .offset:         16
        .size:           4
        .value_kind:     by_value
      - .offset:         20
        .size:           4
        .value_kind:     by_value
      - .offset:         24
        .size:           8
        .value_kind:     by_value
      - .address_space:  global
        .offset:         32
        .size:           8
        .value_kind:     global_buffer
      - .address_space:  global
        .offset:         40
        .size:           8
        .value_kind:     global_buffer
      - .offset:         48
        .size:           4
        .value_kind:     hidden_block_count_x
      - .offset:         52
        .size:           4
        .value_kind:     hidden_block_count_y
      - .offset:         56
        .size:           4
        .value_kind:     hidden_block_count_z
      - .offset:         60
        .size:           2
        .value_kind:     hidden_group_size_x
      - .offset:         62
        .size:           2
        .value_kind:     hidden_group_size_y
      - .offset:         64
        .size:           2
        .value_kind:     hidden_group_size_z
      - .offset:         66
        .size:           2
        .value_kind:     hidden_remainder_x
      - .offset:         68
        .size:           2
        .value_kind:     hidden_remainder_y
      - .offset:         70
        .size:           2
        .value_kind:     hidden_remainder_z
      - .offset:         88
        .size:           8
        .value_kind:     hidden_global_offset_x
      - .offset:         96
        .size:           8
        .value_kind:     hidden_global_offset_y
      - .offset:         104
        .size:           8
        .value_kind:     hidden_global_offset_z
      - .offset:         112
        .size:           2
        .value_kind:     hidden_grid_dims
    .group_segment_fixed_size: 0
    .kernarg_segment_align: 8
    .kernarg_segment_size: 304
    .language:       OpenCL C
    .language_version:
      - 2
      - 0
    .max_flat_workgroup_size: 1024
    .name:           _ZN9rocsolver6v33100L21syevj_diag_rotate_orgILb1E19rocblas_complex_numIdEdPS3_EEvbiT2_iilPT0_Pi
    .private_segment_fixed_size: 0
    .sgpr_count:     19
    .sgpr_spill_count: 0
    .symbol:         _ZN9rocsolver6v33100L21syevj_diag_rotate_orgILb1E19rocblas_complex_numIdEdPS3_EEvbiT2_iilPT0_Pi.kd
    .uniform_work_group_size: 1
    .uses_dynamic_stack: false
    .vgpr_count:     20
    .vgpr_spill_count: 0
    .wavefront_size: 32
  - .args:
      - .offset:         0
        .size:           1
        .value_kind:     by_value
      - .offset:         4
        .size:           4
        .value_kind:     by_value
      - .offset:         8
        .size:           4
        .value_kind:     by_value
      - .address_space:  global
        .offset:         16
        .size:           8
        .value_kind:     global_buffer
      - .offset:         24
        .size:           4
        .value_kind:     by_value
      - .offset:         28
        .size:           4
        .value_kind:     by_value
      - .offset:         32
        .size:           8
        .value_kind:     by_value
      - .address_space:  global
        .offset:         40
        .size:           8
        .value_kind:     global_buffer
      - .address_space:  global
        .offset:         48
        .size:           8
        .value_kind:     global_buffer
      - .offset:         56
        .size:           4
        .value_kind:     by_value
      - .offset:         64
        .size:           4
        .value_kind:     hidden_block_count_x
      - .offset:         68
        .size:           4
        .value_kind:     hidden_block_count_y
      - .offset:         72
        .size:           4
        .value_kind:     hidden_block_count_z
      - .offset:         76
        .size:           2
        .value_kind:     hidden_group_size_x
      - .offset:         78
        .size:           2
        .value_kind:     hidden_group_size_y
      - .offset:         80
        .size:           2
        .value_kind:     hidden_group_size_z
      - .offset:         82
        .size:           2
        .value_kind:     hidden_remainder_x
      - .offset:         84
        .size:           2
        .value_kind:     hidden_remainder_y
      - .offset:         86
        .size:           2
        .value_kind:     hidden_remainder_z
      - .offset:         104
        .size:           8
        .value_kind:     hidden_global_offset_x
      - .offset:         112
        .size:           8
        .value_kind:     hidden_global_offset_y
      - .offset:         120
        .size:           8
        .value_kind:     hidden_global_offset_z
      - .offset:         128
        .size:           2
        .value_kind:     hidden_grid_dims
      - .offset:         144
        .size:           8
        .value_kind:     hidden_hostcall_buffer
      - .offset:         184
        .size:           4
        .value_kind:     hidden_dynamic_lds_size
    .group_segment_fixed_size: 0
    .kernarg_segment_align: 8
    .kernarg_segment_size: 320
    .language:       OpenCL C
    .language_version:
      - 2
      - 0
    .max_flat_workgroup_size: 1024
    .name:           _ZN9rocsolver6v33100L17syevj_diag_rotateILb0E19rocblas_complex_numIdEdPS3_EEvbiiT2_iilPT0_Pii
    .private_segment_fixed_size: 64
    .sgpr_count:     62
    .sgpr_spill_count: 0
    .symbol:         _ZN9rocsolver6v33100L17syevj_diag_rotateILb0E19rocblas_complex_numIdEdPS3_EEvbiiT2_iilPT0_Pii.kd
    .uniform_work_group_size: 1
    .uses_dynamic_stack: false
    .vgpr_count:     49
    .vgpr_spill_count: 0
    .wavefront_size: 32
  - .args:
      - .offset:         0
        .size:           1
        .value_kind:     by_value
      - .offset:         4
        .size:           4
        .value_kind:     by_value
      - .offset:         8
        .size:           4
        .value_kind:     by_value
      - .address_space:  global
        .offset:         16
        .size:           8
        .value_kind:     global_buffer
      - .offset:         24
        .size:           4
        .value_kind:     by_value
      - .offset:         28
        .size:           4
        .value_kind:     by_value
      - .offset:         32
        .size:           8
        .value_kind:     by_value
      - .address_space:  global
        .offset:         40
        .size:           8
        .value_kind:     global_buffer
      - .address_space:  global
        .offset:         48
        .size:           8
        .value_kind:     global_buffer
      - .offset:         56
        .size:           4
        .value_kind:     by_value
      - .offset:         64
        .size:           4
        .value_kind:     hidden_block_count_x
      - .offset:         68
        .size:           4
        .value_kind:     hidden_block_count_y
      - .offset:         72
        .size:           4
        .value_kind:     hidden_block_count_z
      - .offset:         76
        .size:           2
        .value_kind:     hidden_group_size_x
      - .offset:         78
        .size:           2
        .value_kind:     hidden_group_size_y
      - .offset:         80
        .size:           2
        .value_kind:     hidden_group_size_z
      - .offset:         82
        .size:           2
        .value_kind:     hidden_remainder_x
      - .offset:         84
        .size:           2
        .value_kind:     hidden_remainder_y
      - .offset:         86
        .size:           2
        .value_kind:     hidden_remainder_z
      - .offset:         104
        .size:           8
        .value_kind:     hidden_global_offset_x
      - .offset:         112
        .size:           8
        .value_kind:     hidden_global_offset_y
      - .offset:         120
        .size:           8
        .value_kind:     hidden_global_offset_z
      - .offset:         128
        .size:           2
        .value_kind:     hidden_grid_dims
      - .offset:         144
        .size:           8
        .value_kind:     hidden_hostcall_buffer
      - .offset:         184
        .size:           4
        .value_kind:     hidden_dynamic_lds_size
    .group_segment_fixed_size: 0
    .kernarg_segment_align: 8
    .kernarg_segment_size: 320
    .language:       OpenCL C
    .language_version:
      - 2
      - 0
    .max_flat_workgroup_size: 1024
    .name:           _ZN9rocsolver6v33100L17syevj_diag_rotateILb1E19rocblas_complex_numIdEdPS3_EEvbiiT2_iilPT0_Pii
    .private_segment_fixed_size: 64
    .sgpr_count:     60
    .sgpr_spill_count: 0
    .symbol:         _ZN9rocsolver6v33100L17syevj_diag_rotateILb1E19rocblas_complex_numIdEdPS3_EEvbiiT2_iilPT0_Pii.kd
    .uniform_work_group_size: 1
    .uses_dynamic_stack: false
    .vgpr_count:     49
    .vgpr_spill_count: 0
    .wavefront_size: 32
  - .args:
      - .offset:         0
        .size:           4
        .value_kind:     by_value
      - .offset:         4
        .size:           4
        .value_kind:     by_value
      - .address_space:  global
        .offset:         8
        .size:           8
        .value_kind:     global_buffer
      - .offset:         16
        .size:           4
        .value_kind:     by_value
      - .offset:         20
        .size:           4
        .value_kind:     by_value
      - .offset:         24
        .size:           8
        .value_kind:     by_value
      - .offset:         32
        .size:           8
        .value_kind:     by_value
      - .address_space:  global
        .offset:         40
        .size:           8
        .value_kind:     global_buffer
      - .address_space:  global
        .offset:         48
        .size:           8
        .value_kind:     global_buffer
      - .address_space:  global
        .offset:         56
        .size:           8
        .value_kind:     global_buffer
      - .address_space:  global
        .offset:         64
        .size:           8
        .value_kind:     global_buffer
      - .offset:         72
        .size:           4
        .value_kind:     hidden_block_count_x
      - .offset:         76
        .size:           4
        .value_kind:     hidden_block_count_y
      - .offset:         80
        .size:           4
        .value_kind:     hidden_block_count_z
      - .offset:         84
        .size:           2
        .value_kind:     hidden_group_size_x
      - .offset:         86
        .size:           2
        .value_kind:     hidden_group_size_y
      - .offset:         88
        .size:           2
        .value_kind:     hidden_group_size_z
      - .offset:         90
        .size:           2
        .value_kind:     hidden_remainder_x
      - .offset:         92
        .size:           2
        .value_kind:     hidden_remainder_y
      - .offset:         94
        .size:           2
        .value_kind:     hidden_remainder_z
      - .offset:         112
        .size:           8
        .value_kind:     hidden_global_offset_x
      - .offset:         120
        .size:           8
        .value_kind:     hidden_global_offset_y
      - .offset:         128
        .size:           8
        .value_kind:     hidden_global_offset_z
      - .offset:         136
        .size:           2
        .value_kind:     hidden_grid_dims
      - .offset:         192
        .size:           4
        .value_kind:     hidden_dynamic_lds_size
    .group_segment_fixed_size: 0
    .kernarg_segment_align: 8
    .kernarg_segment_size: 328
    .language:       OpenCL C
    .language_version:
      - 2
      - 0
    .max_flat_workgroup_size: 1024
    .name:           _ZN9rocsolver6v33100L21syevj_offd_kernel_orgI19rocblas_complex_numIdEdPS3_EEviiT1_iilT0_PT_PiS9_S9_
    .private_segment_fixed_size: 0
    .sgpr_count:     26
    .sgpr_spill_count: 0
    .symbol:         _ZN9rocsolver6v33100L21syevj_offd_kernel_orgI19rocblas_complex_numIdEdPS3_EEviiT1_iilT0_PT_PiS9_S9_.kd
    .uniform_work_group_size: 1
    .uses_dynamic_stack: false
    .vgpr_count:     60
    .vgpr_spill_count: 0
    .wavefront_size: 32
  - .args:
      - .offset:         0
        .size:           4
        .value_kind:     by_value
      - .offset:         4
        .size:           4
        .value_kind:     by_value
      - .address_space:  global
        .offset:         8
        .size:           8
        .value_kind:     global_buffer
      - .offset:         16
        .size:           4
        .value_kind:     by_value
      - .offset:         20
        .size:           4
        .value_kind:     by_value
      - .offset:         24
        .size:           8
        .value_kind:     by_value
      - .offset:         32
        .size:           8
        .value_kind:     by_value
      - .address_space:  global
        .offset:         40
        .size:           8
        .value_kind:     global_buffer
      - .address_space:  global
        .offset:         48
        .size:           8
        .value_kind:     global_buffer
      - .address_space:  global
        .offset:         56
        .size:           8
        .value_kind:     global_buffer
      - .address_space:  global
        .offset:         64
        .size:           8
        .value_kind:     global_buffer
      - .offset:         72
        .size:           4
        .value_kind:     by_value
      - .offset:         80
        .size:           4
        .value_kind:     hidden_block_count_x
      - .offset:         84
        .size:           4
        .value_kind:     hidden_block_count_y
      - .offset:         88
        .size:           4
        .value_kind:     hidden_block_count_z
      - .offset:         92
        .size:           2
        .value_kind:     hidden_group_size_x
      - .offset:         94
        .size:           2
        .value_kind:     hidden_group_size_y
      - .offset:         96
        .size:           2
        .value_kind:     hidden_group_size_z
      - .offset:         98
        .size:           2
        .value_kind:     hidden_remainder_x
      - .offset:         100
        .size:           2
        .value_kind:     hidden_remainder_y
      - .offset:         102
        .size:           2
        .value_kind:     hidden_remainder_z
      - .offset:         120
        .size:           8
        .value_kind:     hidden_global_offset_x
      - .offset:         128
        .size:           8
        .value_kind:     hidden_global_offset_y
      - .offset:         136
        .size:           8
        .value_kind:     hidden_global_offset_z
      - .offset:         144
        .size:           2
        .value_kind:     hidden_grid_dims
      - .offset:         200
        .size:           4
        .value_kind:     hidden_dynamic_lds_size
    .group_segment_fixed_size: 0
    .kernarg_segment_align: 8
    .kernarg_segment_size: 336
    .language:       OpenCL C
    .language_version:
      - 2
      - 0
    .max_flat_workgroup_size: 1024
    .name:           _ZN9rocsolver6v33100L17syevj_offd_kernelI19rocblas_complex_numIdEdPS3_EEviiT1_iilT0_PT_PiS9_S9_i
    .private_segment_fixed_size: 0
    .sgpr_count:     68
    .sgpr_spill_count: 0
    .symbol:         _ZN9rocsolver6v33100L17syevj_offd_kernelI19rocblas_complex_numIdEdPS3_EEviiT1_iilT0_PT_PiS9_S9_i.kd
    .uniform_work_group_size: 1
    .uses_dynamic_stack: false
    .vgpr_count:     56
    .vgpr_spill_count: 0
    .wavefront_size: 32
  - .args:
      - .offset:         0
        .size:           1
        .value_kind:     by_value
      - .offset:         4
        .size:           4
        .value_kind:     by_value
      - .offset:         8
        .size:           4
        .value_kind:     by_value
      - .address_space:  global
        .offset:         16
        .size:           8
        .value_kind:     global_buffer
      - .offset:         24
        .size:           4
        .value_kind:     by_value
      - .offset:         28
        .size:           4
        .value_kind:     by_value
      - .offset:         32
        .size:           8
        .value_kind:     by_value
      - .address_space:  global
        .offset:         40
        .size:           8
        .value_kind:     global_buffer
      - .address_space:  global
        .offset:         48
        .size:           8
        .value_kind:     global_buffer
      - .address_space:  global
        .offset:         56
        .size:           8
        .value_kind:     global_buffer
      - .address_space:  global
        .offset:         64
        .size:           8
        .value_kind:     global_buffer
      - .offset:         72
        .size:           4
        .value_kind:     hidden_block_count_x
      - .offset:         76
        .size:           4
        .value_kind:     hidden_block_count_y
      - .offset:         80
        .size:           4
        .value_kind:     hidden_block_count_z
      - .offset:         84
        .size:           2
        .value_kind:     hidden_group_size_x
      - .offset:         86
        .size:           2
        .value_kind:     hidden_group_size_y
      - .offset:         88
        .size:           2
        .value_kind:     hidden_group_size_z
      - .offset:         90
        .size:           2
        .value_kind:     hidden_remainder_x
      - .offset:         92
        .size:           2
        .value_kind:     hidden_remainder_y
      - .offset:         94
        .size:           2
        .value_kind:     hidden_remainder_z
      - .offset:         112
        .size:           8
        .value_kind:     hidden_global_offset_x
      - .offset:         120
        .size:           8
        .value_kind:     hidden_global_offset_y
      - .offset:         128
        .size:           8
        .value_kind:     hidden_global_offset_z
      - .offset:         136
        .size:           2
        .value_kind:     hidden_grid_dims
    .group_segment_fixed_size: 0
    .kernarg_segment_align: 8
    .kernarg_segment_size: 328
    .language:       OpenCL C
    .language_version:
      - 2
      - 0
    .max_flat_workgroup_size: 1024
    .name:           _ZN9rocsolver6v33100L21syevj_offd_rotate_orgILb0E19rocblas_complex_numIdEdPS3_EEvbiiT2_iilPT0_PiS8_S8_
    .private_segment_fixed_size: 0
    .sgpr_count:     24
    .sgpr_spill_count: 0
    .symbol:         _ZN9rocsolver6v33100L21syevj_offd_rotate_orgILb0E19rocblas_complex_numIdEdPS3_EEvbiiT2_iilPT0_PiS8_S8_.kd
    .uniform_work_group_size: 1
    .uses_dynamic_stack: false
    .vgpr_count:     20
    .vgpr_spill_count: 0
    .wavefront_size: 32
  - .args:
      - .offset:         0
        .size:           1
        .value_kind:     by_value
      - .offset:         4
        .size:           4
        .value_kind:     by_value
      - .offset:         8
        .size:           4
        .value_kind:     by_value
      - .address_space:  global
        .offset:         16
        .size:           8
        .value_kind:     global_buffer
      - .offset:         24
        .size:           4
        .value_kind:     by_value
      - .offset:         28
        .size:           4
        .value_kind:     by_value
      - .offset:         32
        .size:           8
        .value_kind:     by_value
      - .address_space:  global
        .offset:         40
        .size:           8
        .value_kind:     global_buffer
      - .address_space:  global
        .offset:         48
        .size:           8
        .value_kind:     global_buffer
      - .address_space:  global
        .offset:         56
        .size:           8
        .value_kind:     global_buffer
      - .address_space:  global
        .offset:         64
        .size:           8
        .value_kind:     global_buffer
      - .offset:         72
        .size:           4
        .value_kind:     by_value
      - .offset:         80
        .size:           4
        .value_kind:     hidden_block_count_x
      - .offset:         84
        .size:           4
        .value_kind:     hidden_block_count_y
      - .offset:         88
        .size:           4
        .value_kind:     hidden_block_count_z
      - .offset:         92
        .size:           2
        .value_kind:     hidden_group_size_x
      - .offset:         94
        .size:           2
        .value_kind:     hidden_group_size_y
      - .offset:         96
        .size:           2
        .value_kind:     hidden_group_size_z
      - .offset:         98
        .size:           2
        .value_kind:     hidden_remainder_x
      - .offset:         100
        .size:           2
        .value_kind:     hidden_remainder_y
      - .offset:         102
        .size:           2
        .value_kind:     hidden_remainder_z
      - .offset:         120
        .size:           8
        .value_kind:     hidden_global_offset_x
      - .offset:         128
        .size:           8
        .value_kind:     hidden_global_offset_y
      - .offset:         136
        .size:           8
        .value_kind:     hidden_global_offset_z
      - .offset:         144
        .size:           2
        .value_kind:     hidden_grid_dims
      - .offset:         200
        .size:           4
        .value_kind:     hidden_dynamic_lds_size
    .group_segment_fixed_size: 0
    .kernarg_segment_align: 8
    .kernarg_segment_size: 336
    .language:       OpenCL C
    .language_version:
      - 2
      - 0
    .max_flat_workgroup_size: 1024
    .name:           _ZN9rocsolver6v33100L17syevj_offd_rotateILb0E19rocblas_complex_numIdEdPS3_EEvbiiT2_iilPT0_PiS8_S8_i
    .private_segment_fixed_size: 0
    .sgpr_count:     72
    .sgpr_spill_count: 0
    .symbol:         _ZN9rocsolver6v33100L17syevj_offd_rotateILb0E19rocblas_complex_numIdEdPS3_EEvbiiT2_iilPT0_PiS8_S8_i.kd
    .uniform_work_group_size: 1
    .uses_dynamic_stack: false
    .vgpr_count:     30
    .vgpr_spill_count: 0
    .wavefront_size: 32
  - .args:
      - .offset:         0
        .size:           1
        .value_kind:     by_value
      - .offset:         4
        .size:           4
        .value_kind:     by_value
      - .offset:         8
        .size:           4
        .value_kind:     by_value
      - .address_space:  global
        .offset:         16
        .size:           8
        .value_kind:     global_buffer
      - .offset:         24
        .size:           4
        .value_kind:     by_value
      - .offset:         28
        .size:           4
        .value_kind:     by_value
      - .offset:         32
        .size:           8
        .value_kind:     by_value
      - .address_space:  global
        .offset:         40
        .size:           8
        .value_kind:     global_buffer
      - .address_space:  global
        .offset:         48
        .size:           8
        .value_kind:     global_buffer
      - .address_space:  global
        .offset:         56
        .size:           8
        .value_kind:     global_buffer
      - .address_space:  global
        .offset:         64
        .size:           8
        .value_kind:     global_buffer
      - .offset:         72
        .size:           4
        .value_kind:     hidden_block_count_x
      - .offset:         76
        .size:           4
        .value_kind:     hidden_block_count_y
      - .offset:         80
        .size:           4
        .value_kind:     hidden_block_count_z
      - .offset:         84
        .size:           2
        .value_kind:     hidden_group_size_x
      - .offset:         86
        .size:           2
        .value_kind:     hidden_group_size_y
      - .offset:         88
        .size:           2
        .value_kind:     hidden_group_size_z
      - .offset:         90
        .size:           2
        .value_kind:     hidden_remainder_x
      - .offset:         92
        .size:           2
        .value_kind:     hidden_remainder_y
      - .offset:         94
        .size:           2
        .value_kind:     hidden_remainder_z
      - .offset:         112
        .size:           8
        .value_kind:     hidden_global_offset_x
      - .offset:         120
        .size:           8
        .value_kind:     hidden_global_offset_y
      - .offset:         128
        .size:           8
        .value_kind:     hidden_global_offset_z
      - .offset:         136
        .size:           2
        .value_kind:     hidden_grid_dims
    .group_segment_fixed_size: 0
    .kernarg_segment_align: 8
    .kernarg_segment_size: 328
    .language:       OpenCL C
    .language_version:
      - 2
      - 0
    .max_flat_workgroup_size: 1024
    .name:           _ZN9rocsolver6v33100L21syevj_offd_rotate_orgILb1E19rocblas_complex_numIdEdPS3_EEvbiiT2_iilPT0_PiS8_S8_
    .private_segment_fixed_size: 0
    .sgpr_count:     22
    .sgpr_spill_count: 0
    .symbol:         _ZN9rocsolver6v33100L21syevj_offd_rotate_orgILb1E19rocblas_complex_numIdEdPS3_EEvbiiT2_iilPT0_PiS8_S8_.kd
    .uniform_work_group_size: 1
    .uses_dynamic_stack: false
    .vgpr_count:     20
    .vgpr_spill_count: 0
    .wavefront_size: 32
  - .args:
      - .offset:         0
        .size:           1
        .value_kind:     by_value
      - .offset:         4
        .size:           4
        .value_kind:     by_value
      - .offset:         8
        .size:           4
        .value_kind:     by_value
      - .address_space:  global
        .offset:         16
        .size:           8
        .value_kind:     global_buffer
      - .offset:         24
        .size:           4
        .value_kind:     by_value
      - .offset:         28
        .size:           4
        .value_kind:     by_value
      - .offset:         32
        .size:           8
        .value_kind:     by_value
      - .address_space:  global
        .offset:         40
        .size:           8
        .value_kind:     global_buffer
      - .address_space:  global
        .offset:         48
        .size:           8
        .value_kind:     global_buffer
      - .address_space:  global
        .offset:         56
        .size:           8
        .value_kind:     global_buffer
      - .address_space:  global
        .offset:         64
        .size:           8
        .value_kind:     global_buffer
      - .offset:         72
        .size:           4
        .value_kind:     by_value
      - .offset:         80
        .size:           4
        .value_kind:     hidden_block_count_x
      - .offset:         84
        .size:           4
        .value_kind:     hidden_block_count_y
      - .offset:         88
        .size:           4
        .value_kind:     hidden_block_count_z
      - .offset:         92
        .size:           2
        .value_kind:     hidden_group_size_x
      - .offset:         94
        .size:           2
        .value_kind:     hidden_group_size_y
      - .offset:         96
        .size:           2
        .value_kind:     hidden_group_size_z
      - .offset:         98
        .size:           2
        .value_kind:     hidden_remainder_x
      - .offset:         100
        .size:           2
        .value_kind:     hidden_remainder_y
      - .offset:         102
        .size:           2
        .value_kind:     hidden_remainder_z
      - .offset:         120
        .size:           8
        .value_kind:     hidden_global_offset_x
      - .offset:         128
        .size:           8
        .value_kind:     hidden_global_offset_y
      - .offset:         136
        .size:           8
        .value_kind:     hidden_global_offset_z
      - .offset:         144
        .size:           2
        .value_kind:     hidden_grid_dims
      - .offset:         200
        .size:           4
        .value_kind:     hidden_dynamic_lds_size
    .group_segment_fixed_size: 0
    .kernarg_segment_align: 8
    .kernarg_segment_size: 336
    .language:       OpenCL C
    .language_version:
      - 2
      - 0
    .max_flat_workgroup_size: 1024
    .name:           _ZN9rocsolver6v33100L17syevj_offd_rotateILb1E19rocblas_complex_numIdEdPS3_EEvbiiT2_iilPT0_PiS8_S8_i
    .private_segment_fixed_size: 0
    .sgpr_count:     68
    .sgpr_spill_count: 0
    .symbol:         _ZN9rocsolver6v33100L17syevj_offd_rotateILb1E19rocblas_complex_numIdEdPS3_EEvbiiT2_iilPT0_PiS8_S8_i.kd
    .uniform_work_group_size: 1
    .uses_dynamic_stack: false
    .vgpr_count:     32
    .vgpr_spill_count: 0
    .wavefront_size: 32
  - .args:
      - .offset:         0
        .size:           4
        .value_kind:     by_value
      - .address_space:  global
        .offset:         8
        .size:           8
        .value_kind:     global_buffer
      - .address_space:  global
        .offset:         16
        .size:           8
        .value_kind:     global_buffer
      - .offset:         24
        .size:           4
        .value_kind:     hidden_block_count_x
      - .offset:         28
        .size:           4
        .value_kind:     hidden_block_count_y
      - .offset:         32
        .size:           4
        .value_kind:     hidden_block_count_z
      - .offset:         36
        .size:           2
        .value_kind:     hidden_group_size_x
      - .offset:         38
        .size:           2
        .value_kind:     hidden_group_size_y
      - .offset:         40
        .size:           2
        .value_kind:     hidden_group_size_z
      - .offset:         42
        .size:           2
        .value_kind:     hidden_remainder_x
      - .offset:         44
        .size:           2
        .value_kind:     hidden_remainder_y
      - .offset:         46
        .size:           2
        .value_kind:     hidden_remainder_z
      - .offset:         64
        .size:           8
        .value_kind:     hidden_global_offset_x
      - .offset:         72
        .size:           8
        .value_kind:     hidden_global_offset_y
      - .offset:         80
        .size:           8
        .value_kind:     hidden_global_offset_z
      - .offset:         88
        .size:           2
        .value_kind:     hidden_grid_dims
    .group_segment_fixed_size: 0
    .kernarg_segment_align: 8
    .kernarg_segment_size: 280
    .language:       OpenCL C
    .language_version:
      - 2
      - 0
    .max_flat_workgroup_size: 1024
    .name:           _ZN9rocsolver6v33100L17syevj_cycle_pairsI19rocblas_complex_numIdEEEviPiS4_
    .private_segment_fixed_size: 0
    .sgpr_count:     18
    .sgpr_spill_count: 0
    .symbol:         _ZN9rocsolver6v33100L17syevj_cycle_pairsI19rocblas_complex_numIdEEEviPiS4_.kd
    .uniform_work_group_size: 1
    .uses_dynamic_stack: false
    .vgpr_count:     10
    .vgpr_spill_count: 0
    .wavefront_size: 32
  - .args:
      - .offset:         0
        .size:           4
        .value_kind:     by_value
      - .offset:         4
        .size:           4
        .value_kind:     by_value
      - .address_space:  global
        .offset:         8
        .size:           8
        .value_kind:     global_buffer
      - .address_space:  global
        .offset:         16
        .size:           8
        .value_kind:     global_buffer
      - .address_space:  global
        .offset:         24
        .size:           8
        .value_kind:     global_buffer
      - .address_space:  global
        .offset:         32
        .size:           8
        .value_kind:     global_buffer
      - .offset:         40
        .size:           4
        .value_kind:     hidden_block_count_x
      - .offset:         44
        .size:           4
        .value_kind:     hidden_block_count_y
      - .offset:         48
        .size:           4
        .value_kind:     hidden_block_count_z
      - .offset:         52
        .size:           2
        .value_kind:     hidden_group_size_x
      - .offset:         54
        .size:           2
        .value_kind:     hidden_group_size_y
      - .offset:         56
        .size:           2
        .value_kind:     hidden_group_size_z
      - .offset:         58
        .size:           2
        .value_kind:     hidden_remainder_x
      - .offset:         60
        .size:           2
        .value_kind:     hidden_remainder_y
      - .offset:         62
        .size:           2
        .value_kind:     hidden_remainder_z
      - .offset:         80
        .size:           8
        .value_kind:     hidden_global_offset_x
      - .offset:         88
        .size:           8
        .value_kind:     hidden_global_offset_y
      - .offset:         96
        .size:           8
        .value_kind:     hidden_global_offset_z
      - .offset:         104
        .size:           2
        .value_kind:     hidden_grid_dims
      - .offset:         160
        .size:           4
        .value_kind:     hidden_dynamic_lds_size
    .group_segment_fixed_size: 0
    .kernarg_segment_align: 8
    .kernarg_segment_size: 296
    .language:       OpenCL C
    .language_version:
      - 2
      - 0
    .max_flat_workgroup_size: 1024
    .name:           _ZN9rocsolver6v33100L15syevj_calc_normI19rocblas_complex_numIdEdEEviiPT0_PT_S5_Pi
    .private_segment_fixed_size: 0
    .sgpr_count:     23
    .sgpr_spill_count: 0
    .symbol:         _ZN9rocsolver6v33100L15syevj_calc_normI19rocblas_complex_numIdEdEEviiPT0_PT_S5_Pi.kd
    .uniform_work_group_size: 1
    .uses_dynamic_stack: false
    .vgpr_count:     14
    .vgpr_spill_count: 0
    .wavefront_size: 32
  - .args:
      - .offset:         0
        .size:           4
        .value_kind:     by_value
      - .offset:         4
        .size:           4
        .value_kind:     by_value
      - .offset:         8
        .size:           4
        .value_kind:     by_value
      - .address_space:  global
        .offset:         16
        .size:           8
        .value_kind:     global_buffer
      - .offset:         24
        .size:           4
        .value_kind:     by_value
      - .offset:         28
        .size:           4
        .value_kind:     by_value
      - .offset:         32
        .size:           8
        .value_kind:     by_value
      - .address_space:  global
        .offset:         40
        .size:           8
        .value_kind:     global_buffer
      - .offset:         48
        .size:           4
        .value_kind:     by_value
      - .address_space:  global
        .offset:         56
        .size:           8
        .value_kind:     global_buffer
      - .address_space:  global
        .offset:         64
        .size:           8
        .value_kind:     global_buffer
      - .offset:         72
        .size:           8
        .value_kind:     by_value
      - .address_space:  global
        .offset:         80
        .size:           8
        .value_kind:     global_buffer
      - .address_space:  global
        .offset:         88
        .size:           8
        .value_kind:     global_buffer
      - .address_space:  global
        .offset:         96
        .size:           8
        .value_kind:     global_buffer
      - .offset:         104
        .size:           4
        .value_kind:     hidden_block_count_x
      - .offset:         108
        .size:           4
        .value_kind:     hidden_block_count_y
      - .offset:         112
        .size:           4
        .value_kind:     hidden_block_count_z
      - .offset:         116
        .size:           2
        .value_kind:     hidden_group_size_x
      - .offset:         118
        .size:           2
        .value_kind:     hidden_group_size_y
      - .offset:         120
        .size:           2
        .value_kind:     hidden_group_size_z
      - .offset:         122
        .size:           2
        .value_kind:     hidden_remainder_x
      - .offset:         124
        .size:           2
        .value_kind:     hidden_remainder_y
      - .offset:         126
        .size:           2
        .value_kind:     hidden_remainder_z
      - .offset:         144
        .size:           8
        .value_kind:     hidden_global_offset_x
      - .offset:         152
        .size:           8
        .value_kind:     hidden_global_offset_y
      - .offset:         160
        .size:           8
        .value_kind:     hidden_global_offset_z
      - .offset:         168
        .size:           2
        .value_kind:     hidden_grid_dims
    .group_segment_fixed_size: 16384
    .kernarg_segment_align: 8
    .kernarg_segment_size: 360
    .language:       OpenCL C
    .language_version:
      - 2
      - 0
    .max_flat_workgroup_size: 1024
    .name:           _ZN9rocsolver6v33100L14syevj_finalizeI19rocblas_complex_numIdEdPS3_EEv14rocblas_esort_14rocblas_evect_iT1_iilPT0_iPiS9_lSA_PT_SA_
    .private_segment_fixed_size: 0
    .sgpr_count:     32
    .sgpr_spill_count: 0
    .symbol:         _ZN9rocsolver6v33100L14syevj_finalizeI19rocblas_complex_numIdEdPS3_EEv14rocblas_esort_14rocblas_evect_iT1_iilPT0_iPiS9_lSA_PT_SA_.kd
    .uniform_work_group_size: 1
    .uses_dynamic_stack: false
    .vgpr_count:     14
    .vgpr_spill_count: 0
    .wavefront_size: 32
  - .args:
      - .offset:         0
        .size:           4
        .value_kind:     by_value
      - .offset:         4
        .size:           4
        .value_kind:     by_value
      - .address_space:  global
        .offset:         8
        .size:           8
        .value_kind:     global_buffer
      - .offset:         16
        .size:           8
        .value_kind:     by_value
      - .offset:         24
        .size:           4
        .value_kind:     by_value
      - .offset:         32
        .size:           8
        .value_kind:     by_value
      - .address_space:  global
        .offset:         40
        .size:           8
        .value_kind:     global_buffer
      - .offset:         48
        .size:           8
        .value_kind:     by_value
      - .address_space:  global
        .offset:         56
        .size:           8
        .value_kind:     global_buffer
      - .offset:         64
        .size:           8
        .value_kind:     by_value
    .group_segment_fixed_size: 0
    .kernarg_segment_align: 8
    .kernarg_segment_size: 72
    .language:       OpenCL C
    .language_version:
      - 2
      - 0
    .max_flat_workgroup_size: 256
    .name:           _ZN9rocsolver6v33100L18geqr2_kernel_smallILi256E19rocblas_complex_numIdEidPS3_EEvT1_S5_T3_lS5_lPT2_lPT0_l
    .private_segment_fixed_size: 0
    .sgpr_count:     40
    .sgpr_spill_count: 0
    .symbol:         _ZN9rocsolver6v33100L18geqr2_kernel_smallILi256E19rocblas_complex_numIdEidPS3_EEvT1_S5_T3_lS5_lPT2_lPT0_l.kd
    .uniform_work_group_size: 1
    .uses_dynamic_stack: false
    .vgpr_count:     58
    .vgpr_spill_count: 0
    .wavefront_size: 32
  - .args:
      - .address_space:  global
        .offset:         0
        .size:           8
        .value_kind:     global_buffer
      - .offset:         8
        .size:           8
        .value_kind:     by_value
      - .offset:         16
        .size:           4
        .value_kind:     by_value
      - .offset:         20
        .size:           4
        .value_kind:     by_value
      - .offset:         24
        .size:           4
        .value_kind:     hidden_block_count_x
      - .offset:         28
        .size:           4
        .value_kind:     hidden_block_count_y
      - .offset:         32
        .size:           4
        .value_kind:     hidden_block_count_z
      - .offset:         36
        .size:           2
        .value_kind:     hidden_group_size_x
      - .offset:         38
        .size:           2
        .value_kind:     hidden_group_size_y
      - .offset:         40
        .size:           2
        .value_kind:     hidden_group_size_z
      - .offset:         42
        .size:           2
        .value_kind:     hidden_remainder_x
      - .offset:         44
        .size:           2
        .value_kind:     hidden_remainder_y
      - .offset:         46
        .size:           2
        .value_kind:     hidden_remainder_z
      - .offset:         64
        .size:           8
        .value_kind:     hidden_global_offset_x
      - .offset:         72
        .size:           8
        .value_kind:     hidden_global_offset_y
      - .offset:         80
        .size:           8
        .value_kind:     hidden_global_offset_z
      - .offset:         88
        .size:           2
        .value_kind:     hidden_grid_dims
    .group_segment_fixed_size: 0
    .kernarg_segment_align: 8
    .kernarg_segment_size: 280
    .language:       OpenCL C
    .language_version:
      - 2
      - 0
    .max_flat_workgroup_size: 1024
    .name:           _ZN9rocsolver6v33100L16reset_batch_infoI19rocblas_complex_numIdEiiPS3_EEvT2_lT0_T1_
    .private_segment_fixed_size: 0
    .sgpr_count:     10
    .sgpr_spill_count: 0
    .symbol:         _ZN9rocsolver6v33100L16reset_batch_infoI19rocblas_complex_numIdEiiPS3_EEvT2_lT0_T1_.kd
    .uniform_work_group_size: 1
    .uses_dynamic_stack: false
    .vgpr_count:     6
    .vgpr_spill_count: 0
    .wavefront_size: 32
  - .args:
      - .address_space:  global
        .offset:         0
        .size:           8
        .value_kind:     global_buffer
      - .offset:         8
        .size:           8
        .value_kind:     by_value
      - .offset:         16
        .size:           8
        .value_kind:     by_value
      - .address_space:  global
        .offset:         24
        .size:           8
        .value_kind:     global_buffer
      - .offset:         32
        .size:           8
        .value_kind:     by_value
      - .offset:         40
        .size:           4
        .value_kind:     by_value
      - .offset:         48
        .size:           8
        .value_kind:     by_value
      - .offset:         56
        .size:           4
        .value_kind:     by_value
      - .offset:         60
        .size:           1
        .value_kind:     by_value
      - .offset:         64
        .size:           4
        .value_kind:     hidden_block_count_x
      - .offset:         68
        .size:           4
        .value_kind:     hidden_block_count_y
      - .offset:         72
        .size:           4
        .value_kind:     hidden_block_count_z
      - .offset:         76
        .size:           2
        .value_kind:     hidden_group_size_x
      - .offset:         78
        .size:           2
        .value_kind:     hidden_group_size_y
      - .offset:         80
        .size:           2
        .value_kind:     hidden_group_size_z
      - .offset:         82
        .size:           2
        .value_kind:     hidden_remainder_x
      - .offset:         84
        .size:           2
        .value_kind:     hidden_remainder_y
      - .offset:         86
        .size:           2
        .value_kind:     hidden_remainder_z
      - .offset:         104
        .size:           8
        .value_kind:     hidden_global_offset_x
      - .offset:         112
        .size:           8
        .value_kind:     hidden_global_offset_y
      - .offset:         120
        .size:           8
        .value_kind:     hidden_global_offset_z
      - .offset:         128
        .size:           2
        .value_kind:     hidden_grid_dims
    .group_segment_fixed_size: 0
    .kernarg_segment_align: 8
    .kernarg_segment_size: 320
    .language:       OpenCL C
    .language_version:
      - 2
      - 0
    .max_flat_workgroup_size: 1024
    .name:           _ZN9rocsolver6v33100L8set_diagI19rocblas_complex_numIdEidPS3_TnNSt9enable_ifIXaa18rocblas_is_complexIT_Ent18rocblas_is_complexIT1_EEiE4typeELi0EEEvPS7_llT2_lT0_lSC_b
    .private_segment_fixed_size: 0
    .sgpr_count:     22
    .sgpr_spill_count: 0
    .symbol:         _ZN9rocsolver6v33100L8set_diagI19rocblas_complex_numIdEidPS3_TnNSt9enable_ifIXaa18rocblas_is_complexIT_Ent18rocblas_is_complexIT1_EEiE4typeELi0EEEvPS7_llT2_lT0_lSC_b.kd
    .uniform_work_group_size: 1
    .uses_dynamic_stack: false
    .vgpr_count:     6
    .vgpr_spill_count: 0
    .wavefront_size: 32
  - .args:
      - .address_space:  global
        .offset:         0
        .size:           8
        .value_kind:     global_buffer
      - .offset:         8
        .size:           8
        .value_kind:     by_value
      - .address_space:  global
        .offset:         16
        .size:           8
        .value_kind:     global_buffer
      - .address_space:  global
        .offset:         24
        .size:           8
        .value_kind:     global_buffer
      - .offset:         32
        .size:           8
        .value_kind:     by_value
      - .offset:         40
        .size:           8
        .value_kind:     by_value
      - .address_space:  global
        .offset:         48
        .size:           8
        .value_kind:     global_buffer
      - .offset:         56
        .size:           8
        .value_kind:     by_value
      - .offset:         64
        .size:           8
        .value_kind:     by_value
    .group_segment_fixed_size: 0
    .kernarg_segment_align: 8
    .kernarg_segment_size: 72
    .language:       OpenCL C
    .language_version:
      - 2
      - 0
    .max_flat_workgroup_size: 1024
    .name:           _ZN9rocsolver6v33100L11set_taubetaI19rocblas_complex_numIdEidPS3_EEvPT_lS6_T2_llPT1_ll
    .private_segment_fixed_size: 0
    .sgpr_count:     25
    .sgpr_spill_count: 0
    .symbol:         _ZN9rocsolver6v33100L11set_taubetaI19rocblas_complex_numIdEidPS3_EEvPT_lS6_T2_llPT1_ll.kd
    .uniform_work_group_size: 1
    .uses_dynamic_stack: false
    .vgpr_count:     41
    .vgpr_spill_count: 0
    .wavefront_size: 32
  - .args:
      - .offset:         0
        .size:           4
        .value_kind:     by_value
      - .offset:         4
        .size:           4
        .value_kind:     by_value
      - .address_space:  global
        .offset:         8
        .size:           8
        .value_kind:     global_buffer
      - .offset:         16
        .size:           8
        .value_kind:     by_value
      - .offset:         24
        .size:           4
        .value_kind:     by_value
      - .offset:         32
        .size:           8
        .value_kind:     by_value
      - .offset:         40
        .size:           4
        .value_kind:     hidden_block_count_x
      - .offset:         44
        .size:           4
        .value_kind:     hidden_block_count_y
      - .offset:         48
        .size:           4
        .value_kind:     hidden_block_count_z
      - .offset:         52
        .size:           2
        .value_kind:     hidden_group_size_x
      - .offset:         54
        .size:           2
        .value_kind:     hidden_group_size_y
      - .offset:         56
        .size:           2
        .value_kind:     hidden_group_size_z
      - .offset:         58
        .size:           2
        .value_kind:     hidden_remainder_x
      - .offset:         60
        .size:           2
        .value_kind:     hidden_remainder_y
      - .offset:         62
        .size:           2
        .value_kind:     hidden_remainder_z
      - .offset:         80
        .size:           8
        .value_kind:     hidden_global_offset_x
      - .offset:         88
        .size:           8
        .value_kind:     hidden_global_offset_y
      - .offset:         96
        .size:           8
        .value_kind:     hidden_global_offset_z
      - .offset:         104
        .size:           2
        .value_kind:     hidden_grid_dims
    .group_segment_fixed_size: 0
    .kernarg_segment_align: 8
    .kernarg_segment_size: 296
    .language:       OpenCL C
    .language_version:
      - 2
      - 0
    .max_flat_workgroup_size: 1024
    .name:           _ZN9rocsolver6v33100L13conj_in_placeI19rocblas_complex_numIdEiPS3_TnNSt9enable_ifIX18rocblas_is_complexIT_EEiE4typeELi0EEEvT0_S9_T1_lS9_l
    .private_segment_fixed_size: 0
    .sgpr_count:     16
    .sgpr_spill_count: 0
    .symbol:         _ZN9rocsolver6v33100L13conj_in_placeI19rocblas_complex_numIdEiPS3_TnNSt9enable_ifIX18rocblas_is_complexIT_EEiE4typeELi0EEEvT0_S9_T1_lS9_l.kd
    .uniform_work_group_size: 1
    .uses_dynamic_stack: false
    .vgpr_count:     8
    .vgpr_spill_count: 0
    .wavefront_size: 32
  - .args:
      - .offset:         0
        .size:           4
        .value_kind:     by_value
      - .offset:         4
        .size:           4
        .value_kind:     by_value
      - .address_space:  global
        .offset:         8
        .size:           8
        .value_kind:     global_buffer
      - .offset:         16
        .size:           8
        .value_kind:     by_value
      - .offset:         24
        .size:           4
        .value_kind:     by_value
      - .offset:         32
        .size:           8
        .value_kind:     by_value
      - .address_space:  global
        .offset:         40
        .size:           8
        .value_kind:     global_buffer
      - .offset:         48
        .size:           8
        .value_kind:     by_value
      - .address_space:  global
        .offset:         56
        .size:           8
        .value_kind:     global_buffer
      - .offset:         64
        .size:           8
        .value_kind:     by_value
      - .offset:         72
        .size:           4
        .value_kind:     by_value
      - .offset:         80
        .size:           8
        .value_kind:     by_value
    .group_segment_fixed_size: 0
    .kernarg_segment_align: 8
    .kernarg_segment_size: 88
    .language:       OpenCL C
    .language_version:
      - 2
      - 0
    .max_flat_workgroup_size: 1024
    .name:           _ZN9rocsolver6v33100L16larf_left_kernelILi1024E19rocblas_complex_numIdEiPS3_EEvT1_S5_T2_lS5_lPKT0_lS6_lS5_l
    .private_segment_fixed_size: 0
    .sgpr_count:     28
    .sgpr_spill_count: 0
    .symbol:         _ZN9rocsolver6v33100L16larf_left_kernelILi1024E19rocblas_complex_numIdEiPS3_EEvT1_S5_T2_lS5_lPKT0_lS6_lS5_l.kd
    .uniform_work_group_size: 1
    .uses_dynamic_stack: false
    .vgpr_count:     20
    .vgpr_spill_count: 0
    .wavefront_size: 32
  - .args:
      - .offset:         0
        .size:           4
        .value_kind:     by_value
      - .offset:         4
        .size:           4
        .value_kind:     by_value
      - .address_space:  global
        .offset:         8
        .size:           8
        .value_kind:     global_buffer
      - .offset:         16
        .size:           8
        .value_kind:     by_value
      - .offset:         24
        .size:           4
        .value_kind:     by_value
      - .offset:         32
        .size:           8
        .value_kind:     by_value
      - .address_space:  global
        .offset:         40
        .size:           8
        .value_kind:     global_buffer
      - .offset:         48
        .size:           8
        .value_kind:     by_value
      - .address_space:  global
        .offset:         56
        .size:           8
        .value_kind:     global_buffer
      - .offset:         64
        .size:           8
        .value_kind:     by_value
      - .offset:         72
        .size:           4
        .value_kind:     by_value
      - .offset:         80
        .size:           8
        .value_kind:     by_value
    .group_segment_fixed_size: 0
    .kernarg_segment_align: 8
    .kernarg_segment_size: 88
    .language:       OpenCL C
    .language_version:
      - 2
      - 0
    .max_flat_workgroup_size: 1024
    .name:           _ZN9rocsolver6v33100L17larf_right_kernelILi1024E19rocblas_complex_numIdEiPS3_EEvT1_S5_T2_lS5_lPKT0_lS6_lS5_l
    .private_segment_fixed_size: 0
    .sgpr_count:     28
    .sgpr_spill_count: 0
    .symbol:         _ZN9rocsolver6v33100L17larf_right_kernelILi1024E19rocblas_complex_numIdEiPS3_EEvT1_S5_T2_lS5_lPKT0_lS6_lS5_l.kd
    .uniform_work_group_size: 1
    .uses_dynamic_stack: false
    .vgpr_count:     20
    .vgpr_spill_count: 0
    .wavefront_size: 32
  - .args:
      - .address_space:  global
        .offset:         0
        .size:           8
        .value_kind:     global_buffer
      - .offset:         8
        .size:           8
        .value_kind:     by_value
      - .offset:         16
        .size:           8
        .value_kind:     by_value
      - .address_space:  global
        .offset:         24
        .size:           8
        .value_kind:     global_buffer
      - .offset:         32
        .size:           8
        .value_kind:     by_value
      - .offset:         40
        .size:           4
        .value_kind:     by_value
      - .offset:         48
        .size:           8
        .value_kind:     by_value
      - .offset:         56
        .size:           4
        .value_kind:     by_value
      - .offset:         64
        .size:           4
        .value_kind:     hidden_block_count_x
      - .offset:         68
        .size:           4
        .value_kind:     hidden_block_count_y
      - .offset:         72
        .size:           4
        .value_kind:     hidden_block_count_z
      - .offset:         76
        .size:           2
        .value_kind:     hidden_group_size_x
      - .offset:         78
        .size:           2
        .value_kind:     hidden_group_size_y
      - .offset:         80
        .size:           2
        .value_kind:     hidden_group_size_z
      - .offset:         82
        .size:           2
        .value_kind:     hidden_remainder_x
      - .offset:         84
        .size:           2
        .value_kind:     hidden_remainder_y
      - .offset:         86
        .size:           2
        .value_kind:     hidden_remainder_z
      - .offset:         104
        .size:           8
        .value_kind:     hidden_global_offset_x
      - .offset:         112
        .size:           8
        .value_kind:     hidden_global_offset_y
      - .offset:         120
        .size:           8
        .value_kind:     hidden_global_offset_z
      - .offset:         128
        .size:           2
        .value_kind:     hidden_grid_dims
    .group_segment_fixed_size: 0
    .kernarg_segment_align: 8
    .kernarg_segment_size: 320
    .language:       OpenCL C
    .language_version:
      - 2
      - 0
    .max_flat_workgroup_size: 1024
    .name:           _ZN9rocsolver6v33100L12restore_diagI19rocblas_complex_numIdEidPS3_EEvPT1_llT2_lT0_lS8_
    .private_segment_fixed_size: 0
    .sgpr_count:     13
    .sgpr_spill_count: 0
    .symbol:         _ZN9rocsolver6v33100L12restore_diagI19rocblas_complex_numIdEidPS3_EEvPT1_llT2_lT0_lS8_.kd
    .uniform_work_group_size: 1
    .uses_dynamic_stack: false
    .vgpr_count:     6
    .vgpr_spill_count: 0
    .wavefront_size: 32
  - .args:
      - .offset:         0
        .size:           4
        .value_kind:     by_value
      - .offset:         4
        .size:           4
        .value_kind:     by_value
      - .address_space:  global
        .offset:         8
        .size:           8
        .value_kind:     global_buffer
      - .offset:         16
        .size:           4
        .value_kind:     by_value
      - .offset:         20
        .size:           4
        .value_kind:     by_value
      - .offset:         24
        .size:           8
        .value_kind:     by_value
      - .address_space:  global
        .offset:         32
        .size:           8
        .value_kind:     global_buffer
      - .offset:         40
        .size:           8
        .value_kind:     by_value
      - .address_space:  global
        .offset:         48
        .size:           8
        .value_kind:     global_buffer
      - .offset:         56
        .size:           4
        .value_kind:     by_value
      - .offset:         64
        .size:           8
        .value_kind:     by_value
      - .offset:         72
        .size:           4
        .value_kind:     by_value
      - .offset:         76
        .size:           4
        .value_kind:     by_value
      - .offset:         80
        .size:           1
        .value_kind:     by_value
      - .offset:         88
        .size:           4
        .value_kind:     hidden_block_count_x
      - .offset:         92
        .size:           4
        .value_kind:     hidden_block_count_y
      - .offset:         96
        .size:           4
        .value_kind:     hidden_block_count_z
      - .offset:         100
        .size:           2
        .value_kind:     hidden_group_size_x
      - .offset:         102
        .size:           2
        .value_kind:     hidden_group_size_y
      - .offset:         104
        .size:           2
        .value_kind:     hidden_group_size_z
      - .offset:         106
        .size:           2
        .value_kind:     hidden_remainder_x
      - .offset:         108
        .size:           2
        .value_kind:     hidden_remainder_y
      - .offset:         110
        .size:           2
        .value_kind:     hidden_remainder_z
      - .offset:         128
        .size:           8
        .value_kind:     hidden_global_offset_x
      - .offset:         136
        .size:           8
        .value_kind:     hidden_global_offset_y
      - .offset:         144
        .size:           8
        .value_kind:     hidden_global_offset_z
      - .offset:         152
        .size:           2
        .value_kind:     hidden_grid_dims
    .group_segment_fixed_size: 0
    .kernarg_segment_align: 8
    .kernarg_segment_size: 344
    .language:       OpenCL C
    .language_version:
      - 2
      - 0
    .max_flat_workgroup_size: 1024
    .name:           _ZN9rocsolver6v33100L14set_triangularI19rocblas_complex_numIdEPS3_TnNSt9enable_ifIX18rocblas_is_complexIT_EEiE4typeELi0EEEviiT0_iilPS6_lSA_il15rocblas_direct_15rocblas_storev_b
    .private_segment_fixed_size: 0
    .sgpr_count:     24
    .sgpr_spill_count: 0
    .symbol:         _ZN9rocsolver6v33100L14set_triangularI19rocblas_complex_numIdEPS3_TnNSt9enable_ifIX18rocblas_is_complexIT_EEiE4typeELi0EEEviiT0_iilPS6_lSA_il15rocblas_direct_15rocblas_storev_b.kd
    .uniform_work_group_size: 1
    .uses_dynamic_stack: false
    .vgpr_count:     20
    .vgpr_spill_count: 0
    .wavefront_size: 32
  - .args:
      - .offset:         0
        .size:           4
        .value_kind:     by_value
      - .address_space:  global
        .offset:         8
        .size:           8
        .value_kind:     global_buffer
      - .offset:         16
        .size:           8
        .value_kind:     by_value
      - .offset:         24
        .size:           4
        .value_kind:     hidden_block_count_x
      - .offset:         28
        .size:           4
        .value_kind:     hidden_block_count_y
      - .offset:         32
        .size:           4
        .value_kind:     hidden_block_count_z
      - .offset:         36
        .size:           2
        .value_kind:     hidden_group_size_x
      - .offset:         38
        .size:           2
        .value_kind:     hidden_group_size_y
      - .offset:         40
        .size:           2
        .value_kind:     hidden_group_size_z
      - .offset:         42
        .size:           2
        .value_kind:     hidden_remainder_x
      - .offset:         44
        .size:           2
        .value_kind:     hidden_remainder_y
      - .offset:         46
        .size:           2
        .value_kind:     hidden_remainder_z
      - .offset:         64
        .size:           8
        .value_kind:     hidden_global_offset_x
      - .offset:         72
        .size:           8
        .value_kind:     hidden_global_offset_y
      - .offset:         80
        .size:           8
        .value_kind:     hidden_global_offset_z
      - .offset:         88
        .size:           2
        .value_kind:     hidden_grid_dims
    .group_segment_fixed_size: 0
    .kernarg_segment_align: 8
    .kernarg_segment_size: 280
    .language:       OpenCL C
    .language_version:
      - 2
      - 0
    .max_flat_workgroup_size: 1024
    .name:           _ZN9rocsolver6v33100L7set_tauI19rocblas_complex_numIdEEEviPT_l
    .private_segment_fixed_size: 0
    .sgpr_count:     10
    .sgpr_spill_count: 0
    .symbol:         _ZN9rocsolver6v33100L7set_tauI19rocblas_complex_numIdEEEviPT_l.kd
    .uniform_work_group_size: 1
    .uses_dynamic_stack: false
    .vgpr_count:     6
    .vgpr_spill_count: 0
    .wavefront_size: 32
  - .args:
      - .offset:         0
        .size:           4
        .value_kind:     by_value
      - .offset:         4
        .size:           4
        .value_kind:     by_value
      - .offset:         8
        .size:           4
        .value_kind:     by_value
      - .address_space:  global
        .offset:         16
        .size:           8
        .value_kind:     global_buffer
      - .offset:         24
        .size:           4
        .value_kind:     by_value
      - .offset:         28
        .size:           4
        .value_kind:     by_value
      - .offset:         32
        .size:           8
        .value_kind:     by_value
      - .address_space:  global
        .offset:         40
        .size:           8
        .value_kind:     global_buffer
      - .offset:         48
        .size:           8
        .value_kind:     by_value
      - .address_space:  global
        .offset:         56
        .size:           8
        .value_kind:     global_buffer
      - .offset:         64
        .size:           4
        .value_kind:     by_value
      - .offset:         72
        .size:           8
        .value_kind:     by_value
      - .offset:         80
        .size:           4
        .value_kind:     hidden_block_count_x
      - .offset:         84
        .size:           4
        .value_kind:     hidden_block_count_y
      - .offset:         88
        .size:           4
        .value_kind:     hidden_block_count_z
      - .offset:         92
        .size:           2
        .value_kind:     hidden_group_size_x
      - .offset:         94
        .size:           2
        .value_kind:     hidden_group_size_y
      - .offset:         96
        .size:           2
        .value_kind:     hidden_group_size_z
      - .offset:         98
        .size:           2
        .value_kind:     hidden_remainder_x
      - .offset:         100
        .size:           2
        .value_kind:     hidden_remainder_y
      - .offset:         102
        .size:           2
        .value_kind:     hidden_remainder_z
      - .offset:         120
        .size:           8
        .value_kind:     hidden_global_offset_x
      - .offset:         128
        .size:           8
        .value_kind:     hidden_global_offset_y
      - .offset:         136
        .size:           8
        .value_kind:     hidden_global_offset_z
      - .offset:         144
        .size:           2
        .value_kind:     hidden_grid_dims
      - .offset:         200
        .size:           4
        .value_kind:     hidden_dynamic_lds_size
    .group_segment_fixed_size: 0
    .kernarg_segment_align: 8
    .kernarg_segment_size: 336
    .language:       OpenCL C
    .language_version:
      - 2
      - 0
    .max_flat_workgroup_size: 1024
    .name:           _ZN9rocsolver6v33100L20larft_kernel_forwardI19rocblas_complex_numIdEPS3_EEv15rocblas_storev_iiT0_iilPT_lS8_il
    .private_segment_fixed_size: 0
    .sgpr_count:     52
    .sgpr_spill_count: 0
    .symbol:         _ZN9rocsolver6v33100L20larft_kernel_forwardI19rocblas_complex_numIdEPS3_EEv15rocblas_storev_iiT0_iilPT_lS8_il.kd
    .uniform_work_group_size: 1
    .uses_dynamic_stack: false
    .vgpr_count:     28
    .vgpr_spill_count: 0
    .wavefront_size: 32
  - .args:
      - .offset:         0
        .size:           4
        .value_kind:     by_value
      - .offset:         4
        .size:           4
        .value_kind:     by_value
      - .offset:         8
        .size:           4
        .value_kind:     by_value
      - .address_space:  global
        .offset:         16
        .size:           8
        .value_kind:     global_buffer
      - .offset:         24
        .size:           4
        .value_kind:     by_value
      - .offset:         28
        .size:           4
        .value_kind:     by_value
      - .offset:         32
        .size:           8
        .value_kind:     by_value
      - .address_space:  global
        .offset:         40
        .size:           8
        .value_kind:     global_buffer
      - .offset:         48
        .size:           8
        .value_kind:     by_value
      - .address_space:  global
        .offset:         56
        .size:           8
        .value_kind:     global_buffer
      - .offset:         64
        .size:           4
        .value_kind:     by_value
      - .offset:         72
        .size:           8
        .value_kind:     by_value
      - .offset:         80
        .size:           4
        .value_kind:     hidden_block_count_x
      - .offset:         84
        .size:           4
        .value_kind:     hidden_block_count_y
      - .offset:         88
        .size:           4
        .value_kind:     hidden_block_count_z
      - .offset:         92
        .size:           2
        .value_kind:     hidden_group_size_x
      - .offset:         94
        .size:           2
        .value_kind:     hidden_group_size_y
      - .offset:         96
        .size:           2
        .value_kind:     hidden_group_size_z
      - .offset:         98
        .size:           2
        .value_kind:     hidden_remainder_x
      - .offset:         100
        .size:           2
        .value_kind:     hidden_remainder_y
      - .offset:         102
        .size:           2
        .value_kind:     hidden_remainder_z
      - .offset:         120
        .size:           8
        .value_kind:     hidden_global_offset_x
      - .offset:         128
        .size:           8
        .value_kind:     hidden_global_offset_y
      - .offset:         136
        .size:           8
        .value_kind:     hidden_global_offset_z
      - .offset:         144
        .size:           2
        .value_kind:     hidden_grid_dims
      - .offset:         200
        .size:           4
        .value_kind:     hidden_dynamic_lds_size
    .group_segment_fixed_size: 0
    .kernarg_segment_align: 8
    .kernarg_segment_size: 336
    .language:       OpenCL C
    .language_version:
      - 2
      - 0
    .max_flat_workgroup_size: 1024
    .name:           _ZN9rocsolver6v33100L21larft_kernel_backwardI19rocblas_complex_numIdEPS3_EEv15rocblas_storev_iiT0_iilPT_lS8_il
    .private_segment_fixed_size: 0
    .sgpr_count:     52
    .sgpr_spill_count: 0
    .symbol:         _ZN9rocsolver6v33100L21larft_kernel_backwardI19rocblas_complex_numIdEPS3_EEv15rocblas_storev_iiT0_iilPT_lS8_il.kd
    .uniform_work_group_size: 1
    .uses_dynamic_stack: false
    .vgpr_count:     26
    .vgpr_spill_count: 0
    .wavefront_size: 32
  - .args:
      - .offset:         0
        .size:           4
        .value_kind:     by_value
      - .offset:         4
        .size:           4
        .value_kind:     by_value
      - .address_space:  global
        .offset:         8
        .size:           8
        .value_kind:     global_buffer
      - .offset:         16
        .size:           4
        .value_kind:     by_value
      - .offset:         20
        .size:           4
        .value_kind:     by_value
      - .offset:         24
        .size:           8
        .value_kind:     by_value
      - .address_space:  global
        .offset:         32
        .size:           8
        .value_kind:     global_buffer
      - .offset:         40
        .size:           4
        .value_kind:     hidden_block_count_x
      - .offset:         44
        .size:           4
        .value_kind:     hidden_block_count_y
      - .offset:         48
        .size:           4
        .value_kind:     hidden_block_count_z
      - .offset:         52
        .size:           2
        .value_kind:     hidden_group_size_x
      - .offset:         54
        .size:           2
        .value_kind:     hidden_group_size_y
      - .offset:         56
        .size:           2
        .value_kind:     hidden_group_size_z
      - .offset:         58
        .size:           2
        .value_kind:     hidden_remainder_x
      - .offset:         60
        .size:           2
        .value_kind:     hidden_remainder_y
      - .offset:         62
        .size:           2
        .value_kind:     hidden_remainder_z
      - .offset:         80
        .size:           8
        .value_kind:     hidden_global_offset_x
      - .offset:         88
        .size:           8
        .value_kind:     hidden_global_offset_y
      - .offset:         96
        .size:           8
        .value_kind:     hidden_global_offset_z
      - .offset:         104
        .size:           2
        .value_kind:     hidden_grid_dims
    .group_segment_fixed_size: 0
    .kernarg_segment_align: 8
    .kernarg_segment_size: 296
    .language:       OpenCL C
    .language_version:
      - 2
      - 0
    .max_flat_workgroup_size: 1024
    .name:           _ZN9rocsolver6v33100L9copymatA1I19rocblas_complex_numIdEPS3_EEviiT0_iilPT_
    .private_segment_fixed_size: 0
    .sgpr_count:     19
    .sgpr_spill_count: 0
    .symbol:         _ZN9rocsolver6v33100L9copymatA1I19rocblas_complex_numIdEPS3_EEviiT0_iilPT_.kd
    .uniform_work_group_size: 1
    .uses_dynamic_stack: false
    .vgpr_count:     6
    .vgpr_spill_count: 0
    .wavefront_size: 32
  - .args:
      - .offset:         0
        .size:           4
        .value_kind:     by_value
      - .offset:         4
        .size:           4
        .value_kind:     by_value
      - .address_space:  global
        .offset:         8
        .size:           8
        .value_kind:     global_buffer
      - .offset:         16
        .size:           4
        .value_kind:     by_value
      - .offset:         20
        .size:           4
        .value_kind:     by_value
      - .offset:         24
        .size:           8
        .value_kind:     by_value
      - .address_space:  global
        .offset:         32
        .size:           8
        .value_kind:     global_buffer
      - .offset:         40
        .size:           4
        .value_kind:     hidden_block_count_x
      - .offset:         44
        .size:           4
        .value_kind:     hidden_block_count_y
      - .offset:         48
        .size:           4
        .value_kind:     hidden_block_count_z
      - .offset:         52
        .size:           2
        .value_kind:     hidden_group_size_x
      - .offset:         54
        .size:           2
        .value_kind:     hidden_group_size_y
      - .offset:         56
        .size:           2
        .value_kind:     hidden_group_size_z
      - .offset:         58
        .size:           2
        .value_kind:     hidden_remainder_x
      - .offset:         60
        .size:           2
        .value_kind:     hidden_remainder_y
      - .offset:         62
        .size:           2
        .value_kind:     hidden_remainder_z
      - .offset:         80
        .size:           8
        .value_kind:     hidden_global_offset_x
      - .offset:         88
        .size:           8
        .value_kind:     hidden_global_offset_y
      - .offset:         96
        .size:           8
        .value_kind:     hidden_global_offset_z
      - .offset:         104
        .size:           2
        .value_kind:     hidden_grid_dims
    .group_segment_fixed_size: 0
    .kernarg_segment_align: 8
    .kernarg_segment_size: 296
    .language:       OpenCL C
    .language_version:
      - 2
      - 0
    .max_flat_workgroup_size: 1024
    .name:           _ZN9rocsolver6v33100L8addmatA1I19rocblas_complex_numIdEPS3_EEviiT0_iilPT_
    .private_segment_fixed_size: 0
    .sgpr_count:     19
    .sgpr_spill_count: 0
    .symbol:         _ZN9rocsolver6v33100L8addmatA1I19rocblas_complex_numIdEPS3_EEviiT0_iilPT_.kd
    .uniform_work_group_size: 1
    .uses_dynamic_stack: false
    .vgpr_count:     10
    .vgpr_spill_count: 0
    .wavefront_size: 32
  - .args:
      - .offset:         0
        .size:           4
        .value_kind:     by_value
      - .address_space:  global
        .offset:         8
        .size:           8
        .value_kind:     global_buffer
      - .offset:         16
        .size:           8
        .value_kind:     by_value
      - .address_space:  global
        .offset:         24
        .size:           8
        .value_kind:     global_buffer
      - .offset:         32
        .size:           4
        .value_kind:     by_value
      - .offset:         40
        .size:           8
        .value_kind:     by_value
      - .address_space:  global
        .offset:         48
        .size:           8
        .value_kind:     global_buffer
      - .offset:         56
        .size:           4
        .value_kind:     by_value
      - .offset:         64
        .size:           8
        .value_kind:     by_value
      - .offset:         72
        .size:           4
        .value_kind:     hidden_block_count_x
      - .offset:         76
        .size:           4
        .value_kind:     hidden_block_count_y
      - .offset:         80
        .size:           4
        .value_kind:     hidden_block_count_z
      - .offset:         84
        .size:           2
        .value_kind:     hidden_group_size_x
      - .offset:         86
        .size:           2
        .value_kind:     hidden_group_size_y
      - .offset:         88
        .size:           2
        .value_kind:     hidden_group_size_z
      - .offset:         90
        .size:           2
        .value_kind:     hidden_remainder_x
      - .offset:         92
        .size:           2
        .value_kind:     hidden_remainder_y
      - .offset:         94
        .size:           2
        .value_kind:     hidden_remainder_z
      - .offset:         112
        .size:           8
        .value_kind:     hidden_global_offset_x
      - .offset:         120
        .size:           8
        .value_kind:     hidden_global_offset_y
      - .offset:         128
        .size:           8
        .value_kind:     hidden_global_offset_z
      - .offset:         136
        .size:           2
        .value_kind:     hidden_grid_dims
    .group_segment_fixed_size: 0
    .kernarg_segment_align: 8
    .kernarg_segment_size: 328
    .language:       OpenCL C
    .language_version:
      - 2
      - 0
    .max_flat_workgroup_size: 1024
    .name:           _ZN9rocsolver6v33100L15gesvdj_finalizeI19rocblas_complex_numIdEdEEviPT0_lPT_ilS7_il
    .private_segment_fixed_size: 0
    .sgpr_count:     24
    .sgpr_spill_count: 0
    .symbol:         _ZN9rocsolver6v33100L15gesvdj_finalizeI19rocblas_complex_numIdEdEEviPT0_lPT_ilS7_il.kd
    .uniform_work_group_size: 1
    .uses_dynamic_stack: false
    .vgpr_count:     8
    .vgpr_spill_count: 0
    .wavefront_size: 32
  - .args:
      - .offset:         0
        .size:           4
        .value_kind:     by_value
      - .offset:         4
        .size:           4
        .value_kind:     by_value
      - .offset:         8
        .size:           4
        .value_kind:     by_value
      - .address_space:  global
        .offset:         16
        .size:           8
        .value_kind:     global_buffer
      - .offset:         24
        .size:           4
        .value_kind:     by_value
      - .offset:         28
        .size:           4
        .value_kind:     by_value
      - .offset:         32
        .size:           8
        .value_kind:     by_value
      - .offset:         40
        .size:           4
        .value_kind:     hidden_block_count_x
      - .offset:         44
        .size:           4
        .value_kind:     hidden_block_count_y
      - .offset:         48
        .size:           4
        .value_kind:     hidden_block_count_z
      - .offset:         52
        .size:           2
        .value_kind:     hidden_group_size_x
      - .offset:         54
        .size:           2
        .value_kind:     hidden_group_size_y
      - .offset:         56
        .size:           2
        .value_kind:     hidden_group_size_z
      - .offset:         58
        .size:           2
        .value_kind:     hidden_remainder_x
      - .offset:         60
        .size:           2
        .value_kind:     hidden_remainder_y
      - .offset:         62
        .size:           2
        .value_kind:     hidden_remainder_z
      - .offset:         80
        .size:           8
        .value_kind:     hidden_global_offset_x
      - .offset:         88
        .size:           8
        .value_kind:     hidden_global_offset_y
      - .offset:         96
        .size:           8
        .value_kind:     hidden_global_offset_z
      - .offset:         104
        .size:           2
        .value_kind:     hidden_grid_dims
    .group_segment_fixed_size: 0
    .kernarg_segment_align: 8
    .kernarg_segment_size: 296
    .language:       OpenCL C
    .language_version:
      - 2
      - 0
    .max_flat_workgroup_size: 1024
    .name:           _ZN9rocsolver6v33100L16org2r_init_identI19rocblas_complex_numIdEPS3_EEviiiT0_iil
    .private_segment_fixed_size: 0
    .sgpr_count:     14
    .sgpr_spill_count: 0
    .symbol:         _ZN9rocsolver6v33100L16org2r_init_identI19rocblas_complex_numIdEPS3_EEviiiT0_iil.kd
    .uniform_work_group_size: 1
    .uses_dynamic_stack: false
    .vgpr_count:     6
    .vgpr_spill_count: 0
    .wavefront_size: 32
  - .args:
      - .offset:         0
        .size:           4
        .value_kind:     by_value
      - .offset:         4
        .size:           4
        .value_kind:     by_value
      - .address_space:  global
        .offset:         8
        .size:           8
        .value_kind:     global_buffer
      - .offset:         16
        .size:           4
        .value_kind:     by_value
      - .offset:         20
        .size:           4
        .value_kind:     by_value
      - .offset:         24
        .size:           8
        .value_kind:     by_value
      - .address_space:  global
        .offset:         32
        .size:           8
        .value_kind:     global_buffer
      - .offset:         40
        .size:           8
        .value_kind:     by_value
    .group_segment_fixed_size: 0
    .kernarg_segment_align: 8
    .kernarg_segment_size: 48
    .language:       OpenCL C
    .language_version:
      - 2
      - 0
    .max_flat_workgroup_size: 1024
    .name:           _ZN9rocsolver6v33100L12subtract_tauI19rocblas_complex_numIdEPS3_EEviiT0_iilPT_l
    .private_segment_fixed_size: 0
    .sgpr_count:     18
    .sgpr_spill_count: 0
    .symbol:         _ZN9rocsolver6v33100L12subtract_tauI19rocblas_complex_numIdEPS3_EEviiT0_iilPT_l.kd
    .uniform_work_group_size: 1
    .uses_dynamic_stack: false
    .vgpr_count:     5
    .vgpr_spill_count: 0
    .wavefront_size: 32
  - .args:
      - .offset:         0
        .size:           4
        .value_kind:     by_value
      - .address_space:  global
        .offset:         8
        .size:           8
        .value_kind:     global_buffer
      - .offset:         16
        .size:           8
        .value_kind:     by_value
      - .offset:         24
        .size:           4
        .value_kind:     hidden_block_count_x
      - .offset:         28
        .size:           4
        .value_kind:     hidden_block_count_y
      - .offset:         32
        .size:           4
        .value_kind:     hidden_block_count_z
      - .offset:         36
        .size:           2
        .value_kind:     hidden_group_size_x
      - .offset:         38
        .size:           2
        .value_kind:     hidden_group_size_y
      - .offset:         40
        .size:           2
        .value_kind:     hidden_group_size_z
      - .offset:         42
        .size:           2
        .value_kind:     hidden_remainder_x
      - .offset:         44
        .size:           2
        .value_kind:     hidden_remainder_y
      - .offset:         46
        .size:           2
        .value_kind:     hidden_remainder_z
      - .offset:         64
        .size:           8
        .value_kind:     hidden_global_offset_x
      - .offset:         72
        .size:           8
        .value_kind:     hidden_global_offset_y
      - .offset:         80
        .size:           8
        .value_kind:     hidden_global_offset_z
      - .offset:         88
        .size:           2
        .value_kind:     hidden_grid_dims
    .group_segment_fixed_size: 0
    .kernarg_segment_align: 8
    .kernarg_segment_size: 280
    .language:       OpenCL C
    .language_version:
      - 2
      - 0
    .max_flat_workgroup_size: 1024
    .name:           _ZN9rocsolver6v33100L6restauI19rocblas_complex_numIdEEEviPT_l
    .private_segment_fixed_size: 0
    .sgpr_count:     10
    .sgpr_spill_count: 0
    .symbol:         _ZN9rocsolver6v33100L6restauI19rocblas_complex_numIdEEEviPT_l.kd
    .uniform_work_group_size: 1
    .uses_dynamic_stack: false
    .vgpr_count:     6
    .vgpr_spill_count: 0
    .wavefront_size: 32
  - .args:
      - .offset:         0
        .size:           4
        .value_kind:     by_value
      - .offset:         4
        .size:           4
        .value_kind:     by_value
      - .address_space:  global
        .offset:         8
        .size:           8
        .value_kind:     global_buffer
      - .offset:         16
        .size:           4
        .value_kind:     by_value
      - .offset:         20
        .size:           4
        .value_kind:     by_value
      - .offset:         24
        .size:           8
        .value_kind:     by_value
      - .offset:         32
        .size:           4
        .value_kind:     by_value
      - .offset:         40
        .size:           4
        .value_kind:     hidden_block_count_x
      - .offset:         44
        .size:           4
        .value_kind:     hidden_block_count_y
      - .offset:         48
        .size:           4
        .value_kind:     hidden_block_count_z
      - .offset:         52
        .size:           2
        .value_kind:     hidden_group_size_x
      - .offset:         54
        .size:           2
        .value_kind:     hidden_group_size_y
      - .offset:         56
        .size:           2
        .value_kind:     hidden_group_size_z
      - .offset:         58
        .size:           2
        .value_kind:     hidden_remainder_x
      - .offset:         60
        .size:           2
        .value_kind:     hidden_remainder_y
      - .offset:         62
        .size:           2
        .value_kind:     hidden_remainder_z
      - .offset:         80
        .size:           8
        .value_kind:     hidden_global_offset_x
      - .offset:         88
        .size:           8
        .value_kind:     hidden_global_offset_y
      - .offset:         96
        .size:           8
        .value_kind:     hidden_global_offset_z
      - .offset:         104
        .size:           2
        .value_kind:     hidden_grid_dims
    .group_segment_fixed_size: 0
    .kernarg_segment_align: 8
    .kernarg_segment_size: 296
    .language:       OpenCL C
    .language_version:
      - 2
      - 0
    .max_flat_workgroup_size: 1024
    .name:           _ZN9rocsolver6v33100L8set_zeroI19rocblas_complex_numIdEPS3_EEviiT0_iil13rocblas_fill_
    .private_segment_fixed_size: 0
    .sgpr_count:     14
    .sgpr_spill_count: 0
    .symbol:         _ZN9rocsolver6v33100L8set_zeroI19rocblas_complex_numIdEPS3_EEviiT0_iil13rocblas_fill_.kd
    .uniform_work_group_size: 1
    .uses_dynamic_stack: false
    .vgpr_count:     6
    .vgpr_spill_count: 0
    .wavefront_size: 32
  - .args:
      - .offset:         0
        .size:           4
        .value_kind:     by_value
      - .offset:         4
        .size:           4
        .value_kind:     by_value
      - .offset:         8
        .size:           4
        .value_kind:     by_value
      - .address_space:  global
        .offset:         16
        .size:           8
        .value_kind:     global_buffer
      - .offset:         24
        .size:           4
        .value_kind:     by_value
      - .offset:         28
        .size:           4
        .value_kind:     by_value
      - .offset:         32
        .size:           8
        .value_kind:     by_value
      - .address_space:  global
        .offset:         40
        .size:           8
        .value_kind:     global_buffer
      - .offset:         48
        .size:           4
        .value_kind:     by_value
      - .offset:         52
        .size:           4
        .value_kind:     by_value
      - .offset:         56
        .size:           8
        .value_kind:     by_value
      - .offset:         64
        .size:           1
        .value_kind:     by_value
      - .offset:         68
        .size:           4
        .value_kind:     by_value
      - .offset:         72
        .size:           4
        .value_kind:     by_value
      - .offset:         80
        .size:           4
        .value_kind:     hidden_block_count_x
      - .offset:         84
        .size:           4
        .value_kind:     hidden_block_count_y
      - .offset:         88
        .size:           4
        .value_kind:     hidden_block_count_z
      - .offset:         92
        .size:           2
        .value_kind:     hidden_group_size_x
      - .offset:         94
        .size:           2
        .value_kind:     hidden_group_size_y
      - .offset:         96
        .size:           2
        .value_kind:     hidden_group_size_z
      - .offset:         98
        .size:           2
        .value_kind:     hidden_remainder_x
      - .offset:         100
        .size:           2
        .value_kind:     hidden_remainder_y
      - .offset:         102
        .size:           2
        .value_kind:     hidden_remainder_z
      - .offset:         120
        .size:           8
        .value_kind:     hidden_global_offset_x
      - .offset:         128
        .size:           8
        .value_kind:     hidden_global_offset_y
      - .offset:         136
        .size:           8
        .value_kind:     hidden_global_offset_z
      - .offset:         144
        .size:           2
        .value_kind:     hidden_grid_dims
    .group_segment_fixed_size: 0
    .kernarg_segment_align: 8
    .kernarg_segment_size: 336
    .language:       OpenCL C
    .language_version:
      - 2
      - 0
    .max_flat_workgroup_size: 1024
    .name:           _ZN9rocsolver6v33100L14copy_trans_matI19rocblas_complex_numIdES3_PS3_S4_NS0_7no_maskEEEv18rocblas_operation_iiT1_iilT2_iilT3_13rocblas_fill_17rocblas_diagonal_
    .private_segment_fixed_size: 0
    .sgpr_count:     22
    .sgpr_spill_count: 0
    .symbol:         _ZN9rocsolver6v33100L14copy_trans_matI19rocblas_complex_numIdES3_PS3_S4_NS0_7no_maskEEEv18rocblas_operation_iiT1_iilT2_iilT3_13rocblas_fill_17rocblas_diagonal_.kd
    .uniform_work_group_size: 1
    .uses_dynamic_stack: false
    .vgpr_count:     9
    .vgpr_spill_count: 0
    .wavefront_size: 32
  - .args:
      - .address_space:  global
        .offset:         0
        .size:           8
        .value_kind:     global_buffer
      - .offset:         8
        .size:           8
        .value_kind:     by_value
      - .offset:         16
        .size:           8
        .value_kind:     by_value
      - .address_space:  global
        .offset:         24
        .size:           8
        .value_kind:     global_buffer
      - .offset:         32
        .size:           8
        .value_kind:     by_value
      - .offset:         40
        .size:           4
        .value_kind:     by_value
      - .offset:         48
        .size:           8
        .value_kind:     by_value
      - .offset:         56
        .size:           4
        .value_kind:     by_value
      - .offset:         60
        .size:           1
        .value_kind:     by_value
      - .offset:         64
        .size:           4
        .value_kind:     hidden_block_count_x
      - .offset:         68
        .size:           4
        .value_kind:     hidden_block_count_y
      - .offset:         72
        .size:           4
        .value_kind:     hidden_block_count_z
      - .offset:         76
        .size:           2
        .value_kind:     hidden_group_size_x
      - .offset:         78
        .size:           2
        .value_kind:     hidden_group_size_y
      - .offset:         80
        .size:           2
        .value_kind:     hidden_group_size_z
      - .offset:         82
        .size:           2
        .value_kind:     hidden_remainder_x
      - .offset:         84
        .size:           2
        .value_kind:     hidden_remainder_y
      - .offset:         86
        .size:           2
        .value_kind:     hidden_remainder_z
      - .offset:         104
        .size:           8
        .value_kind:     hidden_global_offset_x
      - .offset:         112
        .size:           8
        .value_kind:     hidden_global_offset_y
      - .offset:         120
        .size:           8
        .value_kind:     hidden_global_offset_z
      - .offset:         128
        .size:           2
        .value_kind:     hidden_grid_dims
    .group_segment_fixed_size: 0
    .kernarg_segment_align: 8
    .kernarg_segment_size: 320
    .language:       OpenCL C
    .language_version:
      - 2
      - 0
    .max_flat_workgroup_size: 1024
    .name:           _ZN9rocsolver6v33100L8set_diagI19rocblas_complex_numIdEiS3_PS3_TnNSt9enable_ifIXoont18rocblas_is_complexIT_E18rocblas_is_complexIT1_EEiE4typeELi0EEEvPS7_llT2_lT0_lSC_b
    .private_segment_fixed_size: 0
    .sgpr_count:     22
    .sgpr_spill_count: 0
    .symbol:         _ZN9rocsolver6v33100L8set_diagI19rocblas_complex_numIdEiS3_PS3_TnNSt9enable_ifIXoont18rocblas_is_complexIT_E18rocblas_is_complexIT1_EEiE4typeELi0EEEvPS7_llT2_lT0_lSC_b.kd
    .uniform_work_group_size: 1
    .uses_dynamic_stack: false
    .vgpr_count:     10
    .vgpr_spill_count: 0
    .wavefront_size: 32
  - .args:
      - .address_space:  global
        .offset:         0
        .size:           8
        .value_kind:     global_buffer
      - .offset:         8
        .size:           8
        .value_kind:     by_value
      - .offset:         16
        .size:           8
        .value_kind:     by_value
      - .address_space:  global
        .offset:         24
        .size:           8
        .value_kind:     global_buffer
      - .offset:         32
        .size:           8
        .value_kind:     by_value
      - .offset:         40
        .size:           4
        .value_kind:     by_value
      - .offset:         48
        .size:           8
        .value_kind:     by_value
      - .offset:         56
        .size:           4
        .value_kind:     by_value
      - .offset:         64
        .size:           4
        .value_kind:     hidden_block_count_x
      - .offset:         68
        .size:           4
        .value_kind:     hidden_block_count_y
      - .offset:         72
        .size:           4
        .value_kind:     hidden_block_count_z
      - .offset:         76
        .size:           2
        .value_kind:     hidden_group_size_x
      - .offset:         78
        .size:           2
        .value_kind:     hidden_group_size_y
      - .offset:         80
        .size:           2
        .value_kind:     hidden_group_size_z
      - .offset:         82
        .size:           2
        .value_kind:     hidden_remainder_x
      - .offset:         84
        .size:           2
        .value_kind:     hidden_remainder_y
      - .offset:         86
        .size:           2
        .value_kind:     hidden_remainder_z
      - .offset:         104
        .size:           8
        .value_kind:     hidden_global_offset_x
      - .offset:         112
        .size:           8
        .value_kind:     hidden_global_offset_y
      - .offset:         120
        .size:           8
        .value_kind:     hidden_global_offset_z
      - .offset:         128
        .size:           2
        .value_kind:     hidden_grid_dims
    .group_segment_fixed_size: 0
    .kernarg_segment_align: 8
    .kernarg_segment_size: 320
    .language:       OpenCL C
    .language_version:
      - 2
      - 0
    .max_flat_workgroup_size: 1024
    .name:           _ZN9rocsolver6v33100L12restore_diagI19rocblas_complex_numIdEiS3_PS3_EEvPT1_llT2_lT0_lS8_
    .private_segment_fixed_size: 0
    .sgpr_count:     13
    .sgpr_spill_count: 0
    .symbol:         _ZN9rocsolver6v33100L12restore_diagI19rocblas_complex_numIdEiS3_PS3_EEvPT1_llT2_lT0_lS8_.kd
    .uniform_work_group_size: 1
    .uses_dynamic_stack: false
    .vgpr_count:     6
    .vgpr_spill_count: 0
    .wavefront_size: 32
  - .args:
      - .offset:         0
        .size:           4
        .value_kind:     by_value
      - .offset:         4
        .size:           4
        .value_kind:     by_value
      - .offset:         8
        .size:           4
        .value_kind:     by_value
      - .address_space:  global
        .offset:         16
        .size:           8
        .value_kind:     global_buffer
      - .offset:         24
        .size:           4
        .value_kind:     by_value
      - .offset:         28
        .size:           4
        .value_kind:     by_value
      - .offset:         32
        .size:           8
        .value_kind:     by_value
      - .offset:         40
        .size:           4
        .value_kind:     hidden_block_count_x
      - .offset:         44
        .size:           4
        .value_kind:     hidden_block_count_y
      - .offset:         48
        .size:           4
        .value_kind:     hidden_block_count_z
      - .offset:         52
        .size:           2
        .value_kind:     hidden_group_size_x
      - .offset:         54
        .size:           2
        .value_kind:     hidden_group_size_y
      - .offset:         56
        .size:           2
        .value_kind:     hidden_group_size_z
      - .offset:         58
        .size:           2
        .value_kind:     hidden_remainder_x
      - .offset:         60
        .size:           2
        .value_kind:     hidden_remainder_y
      - .offset:         62
        .size:           2
        .value_kind:     hidden_remainder_z
      - .offset:         80
        .size:           8
        .value_kind:     hidden_global_offset_x
      - .offset:         88
        .size:           8
        .value_kind:     hidden_global_offset_y
      - .offset:         96
        .size:           8
        .value_kind:     hidden_global_offset_z
      - .offset:         104
        .size:           2
        .value_kind:     hidden_grid_dims
    .group_segment_fixed_size: 0
    .kernarg_segment_align: 8
    .kernarg_segment_size: 296
    .language:       OpenCL C
    .language_version:
      - 2
      - 0
    .max_flat_workgroup_size: 1024
    .name:           _ZN9rocsolver6v33100L16orgl2_init_identI19rocblas_complex_numIdEPS3_EEviiiT0_iil
    .private_segment_fixed_size: 0
    .sgpr_count:     14
    .sgpr_spill_count: 0
    .symbol:         _ZN9rocsolver6v33100L16orgl2_init_identI19rocblas_complex_numIdEPS3_EEviiiT0_iil.kd
    .uniform_work_group_size: 1
    .uses_dynamic_stack: false
    .vgpr_count:     6
    .vgpr_spill_count: 0
    .wavefront_size: 32
amdhsa.target:   amdgcn-amd-amdhsa--gfx1250
amdhsa.version:
  - 1
  - 2
...

	.end_amdgpu_metadata
